;; amdgpu-corpus repo=pytorch/pytorch kind=compiled arch=gfx1030 opt=O3
	.amdgcn_target "amdgcn-amd-amdhsa--gfx1030"
	.amdhsa_code_object_version 6
	.section	.text._ZN2at6native12_GLOBAL__N_130segment_reduce_backward_kernelIdiEEvNS0_13ReductionTypeEPT_PKS4_S7_S7_PKT0_SA_llS4_lllllll,"axG",@progbits,_ZN2at6native12_GLOBAL__N_130segment_reduce_backward_kernelIdiEEvNS0_13ReductionTypeEPT_PKS4_S7_S7_PKT0_SA_llS4_lllllll,comdat
	.globl	_ZN2at6native12_GLOBAL__N_130segment_reduce_backward_kernelIdiEEvNS0_13ReductionTypeEPT_PKS4_S7_S7_PKT0_SA_llS4_lllllll ; -- Begin function _ZN2at6native12_GLOBAL__N_130segment_reduce_backward_kernelIdiEEvNS0_13ReductionTypeEPT_PKS4_S7_S7_PKT0_SA_llS4_lllllll
	.p2align	8
	.type	_ZN2at6native12_GLOBAL__N_130segment_reduce_backward_kernelIdiEEvNS0_13ReductionTypeEPT_PKS4_S7_S7_PKT0_SA_llS4_lllllll,@function
_ZN2at6native12_GLOBAL__N_130segment_reduce_backward_kernelIdiEEvNS0_13ReductionTypeEPT_PKS4_S7_S7_PKT0_SA_llS4_lllllll: ; @_ZN2at6native12_GLOBAL__N_130segment_reduce_backward_kernelIdiEEvNS0_13ReductionTypeEPT_PKS4_S7_S7_PKT0_SA_llS4_lllllll
; %bb.0:
	s_clause 0x2
	s_load_dwordx16 s[8:23], s[4:5], 0x8
	s_load_dword s0, s[4:5], 0x94
	s_load_dwordx16 s[36:51], s[4:5], 0x48
	v_mov_b32_e32 v2, 0
	v_mov_b32_e32 v1, v2
	s_waitcnt lgkmcnt(0)
	s_and_b32 s0, s0, 0xffff
	s_mul_i32 s1, s38, s21
	s_mul_hi_u32 s2, s38, s20
	s_mul_i32 s3, s39, s20
	s_mul_i32 s7, s38, s20
	v_mad_u64_u32 v[0:1], null, s0, s6, v[0:1]
	s_add_i32 s0, s2, s1
	s_mul_i32 s1, s7, s41
	s_mul_hi_u32 s2, s7, s40
	s_add_i32 s0, s0, s3
	s_add_i32 s1, s2, s1
	s_mul_i32 s0, s0, s40
	s_add_i32 s1, s1, s0
	s_mul_i32 s0, s7, s40
	v_cmp_gt_i64_e32 vcc_lo, s[0:1], v[0:1]
	s_and_saveexec_b32 s0, vcc_lo
	s_cbranch_execz .LBB0_54
; %bb.1:
	v_or_b32_e32 v3, s41, v1
                                        ; implicit-def: $vgpr4_vgpr5
	s_mov_b32 s0, exec_lo
	v_cmpx_ne_u64_e32 0, v[2:3]
	s_xor_b32 s1, exec_lo, s0
	s_cbranch_execz .LBB0_3
; %bb.2:
	s_ashr_i32 s2, s41, 31
	v_ashrrev_i32_e32 v8, 31, v1
	s_add_u32 s6, s40, s2
	s_mov_b32 s3, s2
	s_addc_u32 s7, s41, s2
	s_xor_b64 s[6:7], s[6:7], s[2:3]
	v_add_co_u32 v4, vcc_lo, v0, v8
	v_cvt_f32_u32_e32 v2, s6
	v_cvt_f32_u32_e32 v3, s7
	s_sub_u32 s24, 0, s6
	s_subb_u32 s25, 0, s7
	v_add_co_ci_u32_e64 v5, null, v1, v8, vcc_lo
	v_fmamk_f32 v2, v3, 0x4f800000, v2
	v_xor_b32_e32 v9, v4, v8
	v_xor_b32_e32 v10, v5, v8
	v_rcp_f32_e32 v2, v2
	v_mul_f32_e32 v2, 0x5f7ffffc, v2
	v_mul_f32_e32 v3, 0x2f800000, v2
	v_trunc_f32_e32 v3, v3
	v_fmamk_f32 v2, v3, 0xcf800000, v2
	v_cvt_u32_f32_e32 v3, v3
	v_cvt_u32_f32_e32 v2, v2
	v_readfirstlane_b32 s0, v3
	v_readfirstlane_b32 s3, v2
	s_mul_i32 s26, s24, s0
	s_mul_hi_u32 s28, s24, s3
	s_mul_i32 s27, s25, s3
	s_add_i32 s26, s28, s26
	s_mul_i32 s29, s24, s3
	s_add_i32 s26, s26, s27
	s_mul_hi_u32 s28, s3, s29
	s_mul_i32 s31, s3, s26
	s_mul_hi_u32 s30, s0, s29
	s_mul_i32 s27, s0, s29
	s_mul_hi_u32 s29, s3, s26
	s_add_u32 s28, s28, s31
	s_addc_u32 s29, 0, s29
	s_mul_hi_u32 s33, s0, s26
	s_add_u32 s27, s28, s27
	s_mul_i32 s26, s0, s26
	s_addc_u32 s27, s29, s30
	s_addc_u32 s28, s33, 0
	s_add_u32 s26, s27, s26
	s_addc_u32 s27, 0, s28
	s_add_u32 s3, s3, s26
	s_cselect_b32 s26, -1, 0
	s_mul_hi_u32 s28, s24, s3
	s_cmp_lg_u32 s26, 0
	s_mul_i32 s26, s24, s3
	s_addc_u32 s0, s0, s27
	s_mul_i32 s25, s25, s3
	s_mul_i32 s24, s24, s0
	s_mul_hi_u32 s27, s3, s26
	s_add_i32 s24, s28, s24
	s_mul_hi_u32 s28, s0, s26
	s_add_i32 s24, s24, s25
	s_mul_i32 s25, s0, s26
	s_mul_i32 s30, s3, s24
	s_mul_hi_u32 s29, s3, s24
	s_add_u32 s27, s27, s30
	s_addc_u32 s29, 0, s29
	s_mul_hi_u32 s26, s0, s24
	s_add_u32 s25, s27, s25
	s_mul_i32 s24, s0, s24
	s_addc_u32 s25, s29, s28
	s_addc_u32 s26, s26, 0
	s_add_u32 s24, s25, s24
	s_addc_u32 s25, 0, s26
	s_add_u32 s3, s3, s24
	s_cselect_b32 s24, -1, 0
	v_mul_hi_u32 v11, v9, s3
	s_cmp_lg_u32 s24, 0
	v_mad_u64_u32 v[4:5], null, v10, s3, 0
	s_addc_u32 s0, s0, s25
	v_mad_u64_u32 v[2:3], null, v9, s0, 0
	v_mad_u64_u32 v[6:7], null, v10, s0, 0
	v_add_co_u32 v2, vcc_lo, v11, v2
	v_add_co_ci_u32_e64 v3, null, 0, v3, vcc_lo
	v_add_co_u32 v2, vcc_lo, v2, v4
	v_add_co_ci_u32_e32 v2, vcc_lo, v3, v5, vcc_lo
	v_add_co_ci_u32_e32 v3, vcc_lo, 0, v7, vcc_lo
	v_add_co_u32 v4, vcc_lo, v2, v6
	v_add_co_ci_u32_e64 v5, null, 0, v3, vcc_lo
	v_mul_lo_u32 v6, s7, v4
	v_mad_u64_u32 v[2:3], null, s6, v4, 0
	v_mul_lo_u32 v7, s6, v5
	v_sub_co_u32 v2, vcc_lo, v9, v2
	v_add3_u32 v3, v3, v7, v6
	v_add_co_u32 v7, s0, v4, 2
	v_add_co_ci_u32_e64 v9, null, 0, v5, s0
	v_sub_nc_u32_e32 v6, v10, v3
	v_sub_co_u32 v11, s0, v2, s6
	v_sub_co_ci_u32_e64 v3, null, v10, v3, vcc_lo
	v_subrev_co_ci_u32_e64 v6, null, s7, v6, vcc_lo
	v_cmp_le_u32_e32 vcc_lo, s6, v11
	v_subrev_co_ci_u32_e64 v6, null, 0, v6, s0
	v_cndmask_b32_e64 v10, 0, -1, vcc_lo
	v_cmp_le_u32_e32 vcc_lo, s7, v6
	v_cndmask_b32_e64 v11, 0, -1, vcc_lo
	v_cmp_le_u32_e32 vcc_lo, s6, v2
	;; [unrolled: 2-line block ×3, first 2 shown]
	v_cndmask_b32_e64 v12, 0, -1, vcc_lo
	v_cmp_eq_u32_e32 vcc_lo, s7, v6
	v_cndmask_b32_e32 v6, v11, v10, vcc_lo
	v_add_co_u32 v10, vcc_lo, v4, 1
	v_add_co_ci_u32_e64 v11, null, 0, v5, vcc_lo
	v_cmp_eq_u32_e32 vcc_lo, s7, v3
	v_cndmask_b32_e32 v2, v12, v2, vcc_lo
	v_cmp_ne_u32_e32 vcc_lo, 0, v6
	v_xor_b32_e32 v6, s2, v8
	v_cmp_ne_u32_e64 s0, 0, v2
	v_cndmask_b32_e32 v2, v10, v7, vcc_lo
	v_cndmask_b32_e32 v3, v11, v9, vcc_lo
	v_cndmask_b32_e64 v2, v4, v2, s0
	v_cndmask_b32_e64 v3, v5, v3, s0
	v_xor_b32_e32 v2, v2, v6
	v_xor_b32_e32 v3, v3, v6
	v_sub_co_u32 v4, vcc_lo, v2, v6
	v_sub_co_ci_u32_e64 v5, null, v3, v6, vcc_lo
.LBB0_3:
	s_andn2_saveexec_b32 s0, s1
	s_cbranch_execz .LBB0_5
; %bb.4:
	v_cvt_f32_u32_e32 v2, s40
	s_sub_i32 s1, 0, s40
	v_rcp_iflag_f32_e32 v2, v2
	v_mul_f32_e32 v2, 0x4f7ffffe, v2
	v_cvt_u32_f32_e32 v2, v2
	v_mul_lo_u32 v3, s1, v2
	v_mul_hi_u32 v3, v2, v3
	v_add_nc_u32_e32 v2, v2, v3
	v_mul_hi_u32 v2, v0, v2
	v_mul_lo_u32 v3, v2, s40
	v_add_nc_u32_e32 v4, 1, v2
	v_sub_nc_u32_e32 v3, v0, v3
	v_subrev_nc_u32_e32 v5, s40, v3
	v_cmp_le_u32_e32 vcc_lo, s40, v3
	v_cndmask_b32_e32 v3, v3, v5, vcc_lo
	v_cndmask_b32_e32 v2, v2, v4, vcc_lo
	v_mov_b32_e32 v5, 0
	v_cmp_le_u32_e32 vcc_lo, s40, v3
	v_add_nc_u32_e32 v4, 1, v2
	v_cndmask_b32_e32 v4, v2, v4, vcc_lo
.LBB0_5:
	s_or_b32 exec_lo, exec_lo, s0
	v_or_b32_e32 v3, s21, v5
	v_mov_b32_e32 v2, 0
	v_cmp_ne_u64_e32 vcc_lo, 0, v[2:3]
                                        ; implicit-def: $vgpr2_vgpr3
	s_and_saveexec_b32 s0, vcc_lo
	s_xor_b32 s1, exec_lo, s0
	s_cbranch_execz .LBB0_7
; %bb.6:
	s_ashr_i32 s2, s21, 31
	v_ashrrev_i32_e32 v10, 31, v5
	s_add_u32 s6, s20, s2
	s_mov_b32 s3, s2
	s_addc_u32 s7, s21, s2
	s_xor_b64 s[6:7], s[6:7], s[2:3]
	v_add_co_u32 v6, vcc_lo, v4, v10
	v_cvt_f32_u32_e32 v2, s6
	v_cvt_f32_u32_e32 v3, s7
	s_sub_u32 s24, 0, s6
	s_subb_u32 s25, 0, s7
	v_add_co_ci_u32_e64 v7, null, v5, v10, vcc_lo
	v_fmamk_f32 v2, v3, 0x4f800000, v2
	v_xor_b32_e32 v11, v6, v10
	v_xor_b32_e32 v12, v7, v10
	v_rcp_f32_e32 v2, v2
	v_mul_f32_e32 v2, 0x5f7ffffc, v2
	v_mul_f32_e32 v3, 0x2f800000, v2
	v_trunc_f32_e32 v3, v3
	v_fmamk_f32 v2, v3, 0xcf800000, v2
	v_cvt_u32_f32_e32 v3, v3
	v_cvt_u32_f32_e32 v2, v2
	v_readfirstlane_b32 s0, v3
	v_readfirstlane_b32 s3, v2
	s_mul_i32 s26, s24, s0
	s_mul_hi_u32 s28, s24, s3
	s_mul_i32 s27, s25, s3
	s_add_i32 s26, s28, s26
	s_mul_i32 s29, s24, s3
	s_add_i32 s26, s26, s27
	s_mul_hi_u32 s28, s3, s29
	s_mul_i32 s31, s3, s26
	s_mul_hi_u32 s30, s0, s29
	s_mul_i32 s27, s0, s29
	s_mul_hi_u32 s29, s3, s26
	s_add_u32 s28, s28, s31
	s_addc_u32 s29, 0, s29
	s_mul_hi_u32 s33, s0, s26
	s_add_u32 s27, s28, s27
	s_mul_i32 s26, s0, s26
	s_addc_u32 s27, s29, s30
	s_addc_u32 s28, s33, 0
	s_add_u32 s26, s27, s26
	s_addc_u32 s27, 0, s28
	s_add_u32 s3, s3, s26
	s_cselect_b32 s26, -1, 0
	s_mul_hi_u32 s28, s24, s3
	s_cmp_lg_u32 s26, 0
	s_mul_i32 s26, s24, s3
	s_addc_u32 s0, s0, s27
	s_mul_i32 s25, s25, s3
	s_mul_i32 s24, s24, s0
	s_mul_hi_u32 s27, s3, s26
	s_add_i32 s24, s28, s24
	s_mul_hi_u32 s28, s0, s26
	s_add_i32 s24, s24, s25
	s_mul_i32 s25, s0, s26
	s_mul_i32 s30, s3, s24
	s_mul_hi_u32 s29, s3, s24
	s_add_u32 s27, s27, s30
	s_addc_u32 s29, 0, s29
	s_mul_hi_u32 s26, s0, s24
	s_add_u32 s25, s27, s25
	s_mul_i32 s24, s0, s24
	s_addc_u32 s25, s29, s28
	s_addc_u32 s26, s26, 0
	s_add_u32 s24, s25, s24
	s_addc_u32 s25, 0, s26
	s_add_u32 s3, s3, s24
	s_cselect_b32 s24, -1, 0
	v_mul_hi_u32 v13, v11, s3
	s_cmp_lg_u32 s24, 0
	v_mad_u64_u32 v[6:7], null, v12, s3, 0
	s_addc_u32 s0, s0, s25
	v_mad_u64_u32 v[2:3], null, v11, s0, 0
	v_mad_u64_u32 v[8:9], null, v12, s0, 0
	v_add_co_u32 v2, vcc_lo, v13, v2
	v_add_co_ci_u32_e64 v3, null, 0, v3, vcc_lo
	v_add_co_u32 v2, vcc_lo, v2, v6
	v_add_co_ci_u32_e32 v2, vcc_lo, v3, v7, vcc_lo
	v_add_co_ci_u32_e32 v3, vcc_lo, 0, v9, vcc_lo
	v_add_co_u32 v6, vcc_lo, v2, v8
	v_add_co_ci_u32_e64 v7, null, 0, v3, vcc_lo
	v_mul_lo_u32 v8, s7, v6
	v_mad_u64_u32 v[2:3], null, s6, v6, 0
	v_mul_lo_u32 v9, s6, v7
	v_sub_co_u32 v2, vcc_lo, v11, v2
	v_add3_u32 v3, v3, v9, v8
	v_add_co_u32 v9, s0, v6, 2
	v_add_co_ci_u32_e64 v11, null, 0, v7, s0
	v_sub_nc_u32_e32 v8, v12, v3
	v_sub_co_u32 v13, s0, v2, s6
	v_sub_co_ci_u32_e64 v3, null, v12, v3, vcc_lo
	v_subrev_co_ci_u32_e64 v8, null, s7, v8, vcc_lo
	v_cmp_le_u32_e32 vcc_lo, s6, v13
	v_subrev_co_ci_u32_e64 v8, null, 0, v8, s0
	v_cndmask_b32_e64 v12, 0, -1, vcc_lo
	v_cmp_le_u32_e32 vcc_lo, s7, v8
	v_cndmask_b32_e64 v13, 0, -1, vcc_lo
	v_cmp_le_u32_e32 vcc_lo, s6, v2
	;; [unrolled: 2-line block ×3, first 2 shown]
	v_cndmask_b32_e64 v14, 0, -1, vcc_lo
	v_cmp_eq_u32_e32 vcc_lo, s7, v8
	v_cndmask_b32_e32 v8, v13, v12, vcc_lo
	v_add_co_u32 v12, vcc_lo, v6, 1
	v_add_co_ci_u32_e64 v13, null, 0, v7, vcc_lo
	v_cmp_eq_u32_e32 vcc_lo, s7, v3
	v_cndmask_b32_e32 v2, v14, v2, vcc_lo
	v_cmp_ne_u32_e32 vcc_lo, 0, v8
	v_xor_b32_e32 v8, s2, v10
	v_cmp_ne_u32_e64 s0, 0, v2
	v_cndmask_b32_e32 v2, v12, v9, vcc_lo
	v_cndmask_b32_e32 v3, v13, v11, vcc_lo
	v_cndmask_b32_e64 v2, v6, v2, s0
	v_cndmask_b32_e64 v3, v7, v3, s0
	v_xor_b32_e32 v2, v2, v8
	v_xor_b32_e32 v3, v3, v8
	v_sub_co_u32 v2, vcc_lo, v2, v8
	v_sub_co_ci_u32_e64 v3, null, v3, v8, vcc_lo
.LBB0_7:
	s_andn2_saveexec_b32 s0, s1
	s_cbranch_execz .LBB0_9
; %bb.8:
	v_cvt_f32_u32_e32 v2, s20
	s_sub_i32 s1, 0, s20
	v_rcp_iflag_f32_e32 v2, v2
	v_mul_f32_e32 v2, 0x4f7ffffe, v2
	v_cvt_u32_f32_e32 v2, v2
	v_mul_lo_u32 v3, s1, v2
	v_mul_hi_u32 v3, v2, v3
	v_add_nc_u32_e32 v2, v2, v3
	v_mul_hi_u32 v2, v4, v2
	v_mul_lo_u32 v3, v2, s20
	v_add_nc_u32_e32 v6, 1, v2
	v_sub_nc_u32_e32 v3, v4, v3
	v_subrev_nc_u32_e32 v7, s20, v3
	v_cmp_le_u32_e32 vcc_lo, s20, v3
	v_cndmask_b32_e32 v3, v3, v7, vcc_lo
	v_cndmask_b32_e32 v2, v2, v6, vcc_lo
	v_cmp_le_u32_e32 vcc_lo, s20, v3
	v_add_nc_u32_e32 v6, 1, v2
	v_mov_b32_e32 v3, 0
	v_cndmask_b32_e32 v2, v2, v6, vcc_lo
.LBB0_9:
	s_or_b32 exec_lo, exec_lo, s0
	v_mul_lo_u32 v8, v3, s20
	v_mul_lo_u32 v9, v2, s21
	v_mad_u64_u32 v[6:7], null, v2, s20, 0
	v_add3_u32 v7, v7, v9, v8
	v_mul_lo_u32 v10, v6, s23
	v_mad_u64_u32 v[8:9], null, v6, s22, 0
	v_sub_co_u32 v6, vcc_lo, v4, v6
	v_mul_lo_u32 v11, v7, s22
	v_sub_co_ci_u32_e64 v7, null, v5, v7, vcc_lo
	v_add3_u32 v9, v9, v10, v11
	v_lshlrev_b64 v[10:11], 2, v[8:9]
	v_lshlrev_b64 v[8:9], 2, v[6:7]
	v_add_co_u32 v10, vcc_lo, s16, v10
	v_add_co_ci_u32_e64 v11, null, s17, v11, vcc_lo
	v_add_co_u32 v10, vcc_lo, v10, v8
	v_add_co_ci_u32_e64 v11, null, v11, v9, vcc_lo
	global_load_dword v32, v[10:11], off
	s_waitcnt vmcnt(0)
	v_cmp_ne_u32_e32 vcc_lo, 0, v32
	s_and_b32 exec_lo, exec_lo, vcc_lo
	s_cbranch_execz .LBB0_54
; %bb.10:
	s_add_u32 s0, s20, 1
	s_addc_u32 s1, s21, 0
	s_mul_hi_u32 s2, s50, s0
	s_mul_i32 s1, s50, s1
	s_mul_i32 s3, s51, s0
	s_add_i32 s1, s2, s1
	s_mul_i32 s0, s50, s0
	s_add_i32 s1, s1, s3
	v_mul_lo_u32 v12, s0, v3
	v_mad_u64_u32 v[10:11], null, s0, v2, 0
	v_mul_lo_u32 v13, s1, v2
	s_load_dword s1, s[4:5], 0x0
	v_add3_u32 v11, v11, v12, v13
	v_mul_lo_u32 v12, v5, s40
	v_mul_lo_u32 v13, v4, s41
	v_mad_u64_u32 v[4:5], null, v4, s40, 0
	v_lshlrev_b64 v[10:11], 2, v[10:11]
	v_add3_u32 v5, v5, v13, v12
	v_add_co_u32 v10, vcc_lo, s18, v10
	v_add_co_ci_u32_e64 v11, null, s19, v11, vcc_lo
	s_waitcnt lgkmcnt(0)
	s_and_b32 s0, s1, -3
	v_add_co_u32 v8, vcc_lo, v10, v8
	v_add_co_ci_u32_e64 v9, null, v11, v9, vcc_lo
	v_mad_u64_u32 v[10:11], null, v2, s48, v[6:7]
	v_mul_lo_u32 v6, v2, s49
	global_load_dwordx2 v[8:9], v[8:9], off
	v_mul_lo_u32 v7, v3, s48
	v_sub_co_u32 v16, vcc_lo, v0, v4
	v_sub_co_ci_u32_e64 v17, null, v1, v5, vcc_lo
	s_cmp_lg_u32 s0, 0
	v_add3_u32 v11, v7, v11, v6
	v_mad_u64_u32 v[6:7], null, v10, s46, v[16:17]
	v_mul_lo_u32 v10, v10, s47
	v_mul_lo_u32 v11, v11, s46
	v_add3_u32 v7, v11, v7, v10
	s_cbranch_scc0 .LBB0_25
; %bb.11:
	s_cmp_lt_i32 s1, 3
	s_mov_b32 s0, -1
	s_cbranch_scc1 .LBB0_34
; %bb.12:
	s_cmp_lt_i32 s1, 4
	s_cbranch_scc1 .LBB0_28
; %bb.13:
	s_cmp_eq_u32 s1, 4
	s_cbranch_scc0 .LBB0_27
; %bb.14:
	s_mov_b32 s16, exec_lo
	s_waitcnt vmcnt(0)
	v_cmpx_lt_i32_e64 v8, v9
	s_cbranch_execz .LBB0_26
; %bb.15:
	v_lshlrev_b64 v[12:13], 3, v[6:7]
	v_mul_lo_u32 v22, s45, v2
	v_mul_lo_u32 v23, s44, v3
	v_mad_u64_u32 v[20:21], null, s44, v2, 0
	s_lshl_b64 s[2:3], s[42:43], 3
	v_add_co_u32 v10, vcc_lo, s10, v12
	v_add_co_ci_u32_e64 v11, null, s11, v13, vcc_lo
	v_add_co_u32 v12, vcc_lo, s12, v12
	v_add_co_ci_u32_e64 v13, null, s13, v13, vcc_lo
	global_load_dwordx2 v[14:15], v[10:11], off
	global_load_dwordx2 v[18:19], v[12:13], off
	v_ashrrev_i32_e32 v13, 31, v8
	v_mov_b32_e32 v12, v8
	v_add3_u32 v21, v21, v23, v22
	v_mul_lo_u32 v28, v20, s43
	v_mad_u64_u32 v[16:17], null, v20, s42, v[16:17]
	v_lshlrev_b64 v[22:23], 3, v[12:13]
	v_lshlrev_b64 v[24:25], 3, v[20:21]
	v_mul_lo_u32 v21, v21, s42
	s_mov_b64 s[4:5], 0
	s_mov_b32 s17, 0
	v_add_co_u32 v24, vcc_lo, v24, v22
	v_add_co_ci_u32_e64 v25, null, v25, v23, vcc_lo
	v_lshlrev_b64 v[22:23], 3, v[0:1]
	v_mul_lo_u32 v27, s43, v24
	v_add3_u32 v17, v21, v17, v28
	v_mul_lo_u32 v26, s42, v25
	v_mad_u64_u32 v[22:23], null, s42, v24, v[22:23]
	v_lshlrev_b64 v[24:25], 3, v[4:5]
	v_add3_u32 v20, v27, v23, v26
	v_sub_co_u32 v22, vcc_lo, v22, v24
	v_sub_co_ci_u32_e64 v23, null, v20, v25, vcc_lo
	v_add_co_u32 v20, vcc_lo, s14, v22
	v_add_co_ci_u32_e64 v21, null, s15, v23, vcc_lo
	v_mov_b32_e32 v23, v13
	v_mov_b32_e32 v22, v12
	s_waitcnt vmcnt(0)
	v_mul_f64 v[14:15], v[14:15], v[18:19]
	v_ashrrev_i32_e32 v19, 31, v9
	v_mov_b32_e32 v18, v9
	s_branch .LBB0_18
.LBB0_16:                               ;   in Loop: Header=BB0_18 Depth=1
	s_or_b32 exec_lo, exec_lo, s19
	global_load_dwordx2 v[28:29], v[10:11], off
	s_waitcnt vmcnt(0)
	v_mul_f64 v[26:27], v[26:27], v[28:29]
.LBB0_17:                               ;   in Loop: Header=BB0_18 Depth=1
	s_or_b32 exec_lo, exec_lo, s18
	v_add_co_u32 v22, vcc_lo, v22, 1
	v_add_co_ci_u32_e64 v23, null, 0, v23, vcc_lo
	v_add_co_u32 v24, s0, s8, v24
	v_add_co_ci_u32_e64 v25, null, s9, v25, s0
	v_cmp_ge_i64_e32 vcc_lo, v[22:23], v[18:19]
	s_add_u32 s4, s4, 1
	s_addc_u32 s5, s5, 0
	global_store_dwordx2 v[24:25], v[26:27], off
	s_or_b32 s17, vcc_lo, s17
	s_andn2_b32 exec_lo, exec_lo, s17
	s_cbranch_execz .LBB0_26
.LBB0_18:                               ; =>This Loop Header: Depth=1
                                        ;     Child Loop BB0_23 Depth 2
	v_mad_u64_u32 v[24:25], null, v22, s42, v[16:17]
	v_mul_lo_u32 v26, v22, s43
	v_mul_lo_u32 v27, v23, s42
	s_mov_b32 s0, exec_lo
	v_add3_u32 v25, v27, v25, v26
	v_lshlrev_b64 v[24:25], 3, v[24:25]
	v_add_co_u32 v26, vcc_lo, s14, v24
	v_add_co_ci_u32_e64 v27, null, s15, v25, vcc_lo
	global_load_dwordx2 v[28:29], v[26:27], off
                                        ; implicit-def: $vgpr26_vgpr27
	s_waitcnt vmcnt(0)
	v_cmpx_lg_f64_e32 0, v[28:29]
	s_xor_b32 s0, exec_lo, s0
	s_cbranch_execz .LBB0_20
; %bb.19:                               ;   in Loop: Header=BB0_18 Depth=1
	v_div_scale_f64 v[26:27], null, v[28:29], v[28:29], v[14:15]
	v_rcp_f64_e32 v[30:31], v[26:27]
	v_fma_f64 v[33:34], -v[26:27], v[30:31], 1.0
	v_fma_f64 v[30:31], v[30:31], v[33:34], v[30:31]
	v_fma_f64 v[33:34], -v[26:27], v[30:31], 1.0
	v_fma_f64 v[30:31], v[30:31], v[33:34], v[30:31]
	v_div_scale_f64 v[33:34], vcc_lo, v[14:15], v[28:29], v[14:15]
	v_mul_f64 v[35:36], v[33:34], v[30:31]
	v_fma_f64 v[26:27], -v[26:27], v[35:36], v[33:34]
	v_div_fmas_f64 v[26:27], v[26:27], v[30:31], v[35:36]
	v_div_fixup_f64 v[26:27], v[26:27], v[28:29], v[14:15]
.LBB0_20:                               ;   in Loop: Header=BB0_18 Depth=1
	s_andn2_saveexec_b32 s18, s0
	s_cbranch_execz .LBB0_17
; %bb.21:                               ;   in Loop: Header=BB0_18 Depth=1
	v_mov_b32_e32 v26, s36
	v_mov_b32_e32 v29, v21
	;; [unrolled: 1-line block ×6, first 2 shown]
	s_mov_b32 s19, 0
	s_mov_b64 s[6:7], s[4:5]
	s_branch .LBB0_23
	.p2align	6
.LBB0_22:                               ;   in Loop: Header=BB0_23 Depth=2
	v_add_co_u32 v30, vcc_lo, v30, 1
	v_add_co_ci_u32_e64 v31, null, 0, v31, vcc_lo
	v_add_co_u32 v28, s0, v28, s2
	v_add_co_ci_u32_e64 v29, null, s3, v29, s0
	v_cmp_ge_i64_e32 vcc_lo, v[30:31], v[18:19]
	s_add_u32 s6, s6, -1
	s_addc_u32 s7, s7, -1
	s_or_b32 s19, vcc_lo, s19
	s_andn2_b32 exec_lo, exec_lo, s19
	s_cbranch_execz .LBB0_16
.LBB0_23:                               ;   Parent Loop BB0_18 Depth=1
                                        ; =>  This Inner Loop Header: Depth=2
	s_cmp_eq_u64 s[6:7], 0
	s_cbranch_scc1 .LBB0_22
; %bb.24:                               ;   in Loop: Header=BB0_23 Depth=2
	global_load_dwordx2 v[33:34], v[28:29], off
	s_waitcnt vmcnt(0)
	v_mul_f64 v[26:27], v[26:27], v[33:34]
	s_branch .LBB0_22
.LBB0_25:
	s_cbranch_execnz .LBB0_41
	s_branch .LBB0_54
.LBB0_26:
	s_or_b32 exec_lo, exec_lo, s16
.LBB0_27:
	s_mov_b32 s0, 0
.LBB0_28:
	s_andn2_b32 vcc_lo, exec_lo, s0
	s_cbranch_vccnz .LBB0_33
; %bb.29:
	s_mov_b32 s4, exec_lo
	s_waitcnt vmcnt(0)
	v_cmpx_lt_i32_e64 v8, v9
	s_cbranch_execz .LBB0_32
; %bb.30:
	v_lshlrev_b64 v[10:11], 3, v[6:7]
	v_mul_lo_u32 v12, v3, s44
	v_mul_lo_u32 v16, v2, s45
	v_mad_u64_u32 v[14:15], null, v2, s44, 0
	v_ashrrev_i32_e32 v13, 31, v8
	v_add_co_u32 v10, vcc_lo, s10, v10
	v_add_co_ci_u32_e64 v11, null, s11, v11, vcc_lo
	s_lshl_b64 s[2:3], s[42:43], 3
	v_add3_u32 v15, v15, v16, v12
	v_mov_b32_e32 v12, v8
	global_load_dwordx2 v[10:11], v[10:11], off
	s_mov_b32 s5, 0
	v_lshlrev_b64 v[14:15], 3, v[14:15]
	v_lshlrev_b64 v[16:17], 3, v[12:13]
	v_add_co_u32 v16, vcc_lo, v14, v16
	v_add_co_ci_u32_e64 v17, null, v15, v17, vcc_lo
	v_lshlrev_b64 v[14:15], 3, v[0:1]
	v_mul_lo_u32 v19, s43, v16
	v_mul_lo_u32 v18, s42, v17
	v_mad_u64_u32 v[14:15], null, s42, v16, v[14:15]
	v_lshlrev_b64 v[16:17], 3, v[4:5]
	v_add3_u32 v18, v19, v15, v18
	v_sub_co_u32 v16, vcc_lo, v14, v16
	v_ashrrev_i32_e32 v15, 31, v9
	v_mov_b32_e32 v14, v9
	v_sub_co_ci_u32_e64 v17, null, v18, v17, vcc_lo
	v_add_co_u32 v16, vcc_lo, s8, v16
	v_add_co_ci_u32_e64 v17, null, s9, v17, vcc_lo
.LBB0_31:                               ; =>This Inner Loop Header: Depth=1
	v_add_co_u32 v12, vcc_lo, v12, 1
	v_add_co_ci_u32_e64 v13, null, 0, v13, vcc_lo
	s_waitcnt vmcnt(0)
	global_store_dwordx2 v[16:17], v[10:11], off
	v_add_co_u32 v16, s0, v16, s2
	v_cmp_ge_i64_e32 vcc_lo, v[12:13], v[14:15]
	v_add_co_ci_u32_e64 v17, null, s3, v17, s0
	s_or_b32 s5, vcc_lo, s5
	s_andn2_b32 exec_lo, exec_lo, s5
	s_cbranch_execnz .LBB0_31
.LBB0_32:
	s_or_b32 exec_lo, exec_lo, s4
.LBB0_33:
	s_mov_b32 s0, 0
.LBB0_34:
	s_andn2_b32 vcc_lo, exec_lo, s0
	s_cbranch_vccnz .LBB0_40
; %bb.35:
	s_cmp_lg_u32 s1, 1
	s_cbranch_scc1 .LBB0_40
; %bb.36:
	s_mov_b32 s1, exec_lo
	s_waitcnt vmcnt(0)
	v_cmpx_lt_i32_e64 v8, v9
	s_cbranch_execz .LBB0_39
; %bb.37:
	v_lshlrev_b64 v[10:11], 3, v[6:7]
	v_cvt_f64_i32_e32 v[14:15], v32
	v_mul_lo_u32 v24, v2, s45
	v_mad_u64_u32 v[22:23], null, v2, s44, 0
	s_lshl_b64 s[2:3], s[42:43], 3
	v_add_co_u32 v10, vcc_lo, s10, v10
	v_add_co_ci_u32_e64 v11, null, s11, v11, vcc_lo
	s_mov_b32 s4, 0
	global_load_dwordx2 v[12:13], v[10:11], off
	s_waitcnt vmcnt(0)
	v_div_scale_f64 v[10:11], null, v[14:15], v[14:15], v[12:13]
	v_div_scale_f64 v[20:21], vcc_lo, v[12:13], v[14:15], v[12:13]
	v_rcp_f64_e32 v[16:17], v[10:11]
	v_fma_f64 v[18:19], -v[10:11], v[16:17], 1.0
	v_fma_f64 v[16:17], v[16:17], v[18:19], v[16:17]
	v_fma_f64 v[18:19], -v[10:11], v[16:17], 1.0
	v_fma_f64 v[16:17], v[16:17], v[18:19], v[16:17]
	v_mul_f64 v[18:19], v[20:21], v[16:17]
	v_fma_f64 v[20:21], -v[10:11], v[18:19], v[20:21]
	v_mul_lo_u32 v10, v3, s44
	v_ashrrev_i32_e32 v11, 31, v8
	v_add3_u32 v23, v23, v24, v10
	v_mov_b32_e32 v10, v8
	v_div_fmas_f64 v[16:17], v[20:21], v[16:17], v[18:19]
	v_lshlrev_b64 v[18:19], 3, v[22:23]
	v_lshlrev_b64 v[20:21], 3, v[10:11]
	v_add_co_u32 v20, vcc_lo, v18, v20
	v_add_co_ci_u32_e64 v21, null, v19, v21, vcc_lo
	v_lshlrev_b64 v[18:19], 3, v[0:1]
	v_mul_lo_u32 v22, s43, v20
	v_mul_lo_u32 v21, s42, v21
	v_mad_u64_u32 v[18:19], null, s42, v20, v[18:19]
	v_div_fixup_f64 v[12:13], v[16:17], v[14:15], v[12:13]
	v_lshlrev_b64 v[16:17], 3, v[4:5]
	v_ashrrev_i32_e32 v15, 31, v9
	v_add3_u32 v14, v22, v19, v21
	v_sub_co_u32 v16, vcc_lo, v18, v16
	v_sub_co_ci_u32_e64 v17, null, v14, v17, vcc_lo
	v_mov_b32_e32 v14, v9
	v_add_co_u32 v16, vcc_lo, s8, v16
	v_add_co_ci_u32_e64 v17, null, s9, v17, vcc_lo
.LBB0_38:                               ; =>This Inner Loop Header: Depth=1
	v_add_co_u32 v10, vcc_lo, v10, 1
	v_add_co_ci_u32_e64 v11, null, 0, v11, vcc_lo
	global_store_dwordx2 v[16:17], v[12:13], off
	v_add_co_u32 v16, s0, v16, s2
	v_cmp_ge_i64_e32 vcc_lo, v[10:11], v[14:15]
	v_add_co_ci_u32_e64 v17, null, s3, v17, s0
	s_or_b32 s4, vcc_lo, s4
	s_andn2_b32 exec_lo, exec_lo, s4
	s_cbranch_execnz .LBB0_38
.LBB0_39:
	s_or_b32 exec_lo, exec_lo, s1
.LBB0_40:
	s_branch .LBB0_54
.LBB0_41:
	v_mov_b32_e32 v14, 0
	s_waitcnt vmcnt(0)
	v_ashrrev_i32_e32 v11, 31, v8
	v_mov_b32_e32 v10, v8
	v_ashrrev_i32_e32 v13, 31, v9
	v_mov_b32_e32 v12, v9
	v_mov_b32_e32 v15, 0
	s_mov_b32 s4, exec_lo
	v_cmp_ge_i32_e32 vcc_lo, v8, v9
	v_cmpx_lt_i32_e64 v8, v9
	s_cbranch_execz .LBB0_49
; %bb.42:
	v_mad_u64_u32 v[8:9], null, v2, s44, v[10:11]
	v_mul_lo_u32 v14, v2, s45
	v_mul_lo_u32 v15, v3, s44
	v_mov_b32_e32 v19, v11
	v_mov_b32_e32 v18, v10
	s_lshl_b64 s[2:3], s[42:43], 3
	s_mov_b32 s5, 0
	v_mul_lo_u32 v16, s43, v8
	v_add3_u32 v14, v15, v9, v14
	v_mad_u64_u32 v[8:9], null, s42, v8, v[0:1]
	v_mul_lo_u32 v17, s42, v14
	v_lshlrev_b64 v[14:15], 3, v[6:7]
	v_add_co_u32 v6, s0, s12, v14
	v_add3_u32 v9, v16, v9, v17
	v_add_co_ci_u32_e64 v7, null, s13, v15, s0
	v_sub_co_u32 v16, s0, v8, v4
	v_sub_co_ci_u32_e64 v17, null, v9, v5, s0
	v_add_co_u32 v8, s0, s10, v14
	v_add_co_ci_u32_e64 v9, null, s11, v15, s0
	v_lshlrev_b64 v[16:17], 3, v[16:17]
	v_mov_b32_e32 v14, 0
	v_mov_b32_e32 v15, 0
	s_inst_prefetch 0x1
	s_branch .LBB0_44
	.p2align	6
.LBB0_43:                               ;   in Loop: Header=BB0_44 Depth=1
	s_or_b32 exec_lo, exec_lo, s1
	v_add_co_u32 v18, s0, v18, 1
	v_add_co_ci_u32_e64 v19, null, 0, v19, s0
	v_add_co_u32 v16, s1, v16, s2
	v_add_co_ci_u32_e64 v17, null, s3, v17, s1
	v_cmp_ge_i64_e64 s0, v[18:19], v[12:13]
	s_or_b32 s5, s0, s5
	s_andn2_b32 exec_lo, exec_lo, s5
	s_cbranch_execz .LBB0_48
.LBB0_44:                               ; =>This Inner Loop Header: Depth=1
	v_add_co_u32 v20, s0, s14, v16
	v_add_co_ci_u32_e64 v21, null, s15, v17, s0
	s_mov_b32 s1, exec_lo
	global_load_dwordx2 v[20:21], v[20:21], off
	s_waitcnt vmcnt(0)
	v_cmp_u_f64_e64 s6, v[20:21], v[20:21]
	v_cmpx_o_f64_e32 v[20:21], v[20:21]
	s_cbranch_execz .LBB0_46
; %bb.45:                               ;   in Loop: Header=BB0_44 Depth=1
	global_load_dwordx2 v[22:23], v[6:7], off
	s_andn2_b32 s6, s6, exec_lo
	s_waitcnt vmcnt(0)
	v_cmp_eq_f64_e64 s0, v[20:21], v[22:23]
	s_and_b32 s0, s0, exec_lo
	s_or_b32 s6, s6, s0
.LBB0_46:                               ;   in Loop: Header=BB0_44 Depth=1
	s_or_b32 exec_lo, exec_lo, s1
	s_and_saveexec_b32 s1, s6
	s_cbranch_execz .LBB0_43
; %bb.47:                               ;   in Loop: Header=BB0_44 Depth=1
	global_load_dwordx2 v[20:21], v[8:9], off
	v_add_co_u32 v22, s0, s8, v16
	v_add_co_ci_u32_e64 v23, null, s9, v17, s0
	v_add_co_u32 v14, s0, v14, 1
	v_add_co_ci_u32_e64 v15, null, 0, v15, s0
	s_waitcnt vmcnt(0)
	global_store_dwordx2 v[22:23], v[20:21], off
	s_branch .LBB0_43
.LBB0_48:
	s_inst_prefetch 0x2
	s_or_b32 exec_lo, exec_lo, s5
.LBB0_49:
	s_or_b32 exec_lo, exec_lo, s4
	v_cmp_lt_i64_e64 s0, 1, v[14:15]
	s_xor_b32 s1, vcc_lo, -1
	s_and_b32 s0, s0, s1
	s_and_b32 exec_lo, exec_lo, s0
	s_cbranch_execz .LBB0_54
; %bb.50:
	v_cvt_f64_u32_e32 v[6:7], v15
	v_mul_lo_u32 v8, v3, s44
	v_mul_lo_u32 v9, v2, s45
	v_mad_u64_u32 v[2:3], null, v2, s44, 0
	v_lshlrev_b64 v[0:1], 3, v[0:1]
	v_lshlrev_b64 v[4:5], 3, v[4:5]
	s_lshl_b64 s[2:3], s[42:43], 3
	s_mov_b32 s1, 0
	v_add3_u32 v3, v3, v9, v8
	v_cvt_f64_u32_e32 v[8:9], v14
	v_lshlrev_b64 v[14:15], 3, v[10:11]
	v_lshlrev_b64 v[2:3], 3, v[2:3]
	v_add_co_u32 v2, vcc_lo, v2, v14
	v_ldexp_f64 v[6:7], v[6:7], 32
	v_add_co_ci_u32_e64 v3, null, v3, v15, vcc_lo
	v_mul_lo_u32 v15, s43, v2
	v_mul_lo_u32 v14, s42, v3
	v_mad_u64_u32 v[2:3], null, s42, v2, v[0:1]
	v_add3_u32 v3, v15, v3, v14
	v_sub_co_u32 v2, vcc_lo, v2, v4
	v_sub_co_ci_u32_e64 v3, null, v3, v5, vcc_lo
	v_add_f64 v[0:1], v[6:7], v[8:9]
	v_add_co_u32 v2, vcc_lo, s8, v2
	v_add_co_ci_u32_e64 v3, null, s9, v3, vcc_lo
	s_inst_prefetch 0x1
	s_branch .LBB0_52
	.p2align	6
.LBB0_51:                               ;   in Loop: Header=BB0_52 Depth=1
	s_or_b32 exec_lo, exec_lo, s0
	v_add_co_u32 v10, vcc_lo, v10, 1
	v_add_co_ci_u32_e64 v11, null, 0, v11, vcc_lo
	v_add_co_u32 v2, s0, v2, s2
	v_add_co_ci_u32_e64 v3, null, s3, v3, s0
	v_cmp_ge_i64_e32 vcc_lo, v[10:11], v[12:13]
	s_or_b32 s1, vcc_lo, s1
	s_andn2_b32 exec_lo, exec_lo, s1
	s_cbranch_execz .LBB0_54
.LBB0_52:                               ; =>This Inner Loop Header: Depth=1
	global_load_dwordx2 v[4:5], v[2:3], off
	s_mov_b32 s0, exec_lo
	s_waitcnt vmcnt(0)
	v_cmpx_lt_f64_e32 0, v[4:5]
	s_cbranch_execz .LBB0_51
; %bb.53:                               ;   in Loop: Header=BB0_52 Depth=1
	v_div_scale_f64 v[6:7], null, v[0:1], v[0:1], v[4:5]
	v_rcp_f64_e32 v[8:9], v[6:7]
	v_fma_f64 v[14:15], -v[6:7], v[8:9], 1.0
	v_fma_f64 v[8:9], v[8:9], v[14:15], v[8:9]
	v_fma_f64 v[14:15], -v[6:7], v[8:9], 1.0
	v_fma_f64 v[8:9], v[8:9], v[14:15], v[8:9]
	v_div_scale_f64 v[14:15], vcc_lo, v[4:5], v[0:1], v[4:5]
	v_mul_f64 v[16:17], v[14:15], v[8:9]
	v_fma_f64 v[6:7], -v[6:7], v[16:17], v[14:15]
	v_div_fmas_f64 v[6:7], v[6:7], v[8:9], v[16:17]
	v_div_fixup_f64 v[4:5], v[6:7], v[0:1], v[4:5]
	global_store_dwordx2 v[2:3], v[4:5], off
	s_branch .LBB0_51
.LBB0_54:
	s_inst_prefetch 0x2
	s_endpgm
	.section	.rodata,"a",@progbits
	.p2align	6, 0x0
	.amdhsa_kernel _ZN2at6native12_GLOBAL__N_130segment_reduce_backward_kernelIdiEEvNS0_13ReductionTypeEPT_PKS4_S7_S7_PKT0_SA_llS4_lllllll
		.amdhsa_group_segment_fixed_size 0
		.amdhsa_private_segment_fixed_size 0
		.amdhsa_kernarg_size 392
		.amdhsa_user_sgpr_count 6
		.amdhsa_user_sgpr_private_segment_buffer 1
		.amdhsa_user_sgpr_dispatch_ptr 0
		.amdhsa_user_sgpr_queue_ptr 0
		.amdhsa_user_sgpr_kernarg_segment_ptr 1
		.amdhsa_user_sgpr_dispatch_id 0
		.amdhsa_user_sgpr_flat_scratch_init 0
		.amdhsa_user_sgpr_private_segment_size 0
		.amdhsa_wavefront_size32 1
		.amdhsa_uses_dynamic_stack 0
		.amdhsa_system_sgpr_private_segment_wavefront_offset 0
		.amdhsa_system_sgpr_workgroup_id_x 1
		.amdhsa_system_sgpr_workgroup_id_y 0
		.amdhsa_system_sgpr_workgroup_id_z 0
		.amdhsa_system_sgpr_workgroup_info 0
		.amdhsa_system_vgpr_workitem_id 0
		.amdhsa_next_free_vgpr 37
		.amdhsa_next_free_sgpr 52
		.amdhsa_reserve_vcc 1
		.amdhsa_reserve_flat_scratch 0
		.amdhsa_float_round_mode_32 0
		.amdhsa_float_round_mode_16_64 0
		.amdhsa_float_denorm_mode_32 3
		.amdhsa_float_denorm_mode_16_64 3
		.amdhsa_dx10_clamp 1
		.amdhsa_ieee_mode 1
		.amdhsa_fp16_overflow 0
		.amdhsa_workgroup_processor_mode 1
		.amdhsa_memory_ordered 1
		.amdhsa_forward_progress 1
		.amdhsa_shared_vgpr_count 0
		.amdhsa_exception_fp_ieee_invalid_op 0
		.amdhsa_exception_fp_denorm_src 0
		.amdhsa_exception_fp_ieee_div_zero 0
		.amdhsa_exception_fp_ieee_overflow 0
		.amdhsa_exception_fp_ieee_underflow 0
		.amdhsa_exception_fp_ieee_inexact 0
		.amdhsa_exception_int_div_zero 0
	.end_amdhsa_kernel
	.section	.text._ZN2at6native12_GLOBAL__N_130segment_reduce_backward_kernelIdiEEvNS0_13ReductionTypeEPT_PKS4_S7_S7_PKT0_SA_llS4_lllllll,"axG",@progbits,_ZN2at6native12_GLOBAL__N_130segment_reduce_backward_kernelIdiEEvNS0_13ReductionTypeEPT_PKS4_S7_S7_PKT0_SA_llS4_lllllll,comdat
.Lfunc_end0:
	.size	_ZN2at6native12_GLOBAL__N_130segment_reduce_backward_kernelIdiEEvNS0_13ReductionTypeEPT_PKS4_S7_S7_PKT0_SA_llS4_lllllll, .Lfunc_end0-_ZN2at6native12_GLOBAL__N_130segment_reduce_backward_kernelIdiEEvNS0_13ReductionTypeEPT_PKS4_S7_S7_PKT0_SA_llS4_lllllll
                                        ; -- End function
	.set _ZN2at6native12_GLOBAL__N_130segment_reduce_backward_kernelIdiEEvNS0_13ReductionTypeEPT_PKS4_S7_S7_PKT0_SA_llS4_lllllll.num_vgpr, 37
	.set _ZN2at6native12_GLOBAL__N_130segment_reduce_backward_kernelIdiEEvNS0_13ReductionTypeEPT_PKS4_S7_S7_PKT0_SA_llS4_lllllll.num_agpr, 0
	.set _ZN2at6native12_GLOBAL__N_130segment_reduce_backward_kernelIdiEEvNS0_13ReductionTypeEPT_PKS4_S7_S7_PKT0_SA_llS4_lllllll.numbered_sgpr, 52
	.set _ZN2at6native12_GLOBAL__N_130segment_reduce_backward_kernelIdiEEvNS0_13ReductionTypeEPT_PKS4_S7_S7_PKT0_SA_llS4_lllllll.num_named_barrier, 0
	.set _ZN2at6native12_GLOBAL__N_130segment_reduce_backward_kernelIdiEEvNS0_13ReductionTypeEPT_PKS4_S7_S7_PKT0_SA_llS4_lllllll.private_seg_size, 0
	.set _ZN2at6native12_GLOBAL__N_130segment_reduce_backward_kernelIdiEEvNS0_13ReductionTypeEPT_PKS4_S7_S7_PKT0_SA_llS4_lllllll.uses_vcc, 1
	.set _ZN2at6native12_GLOBAL__N_130segment_reduce_backward_kernelIdiEEvNS0_13ReductionTypeEPT_PKS4_S7_S7_PKT0_SA_llS4_lllllll.uses_flat_scratch, 0
	.set _ZN2at6native12_GLOBAL__N_130segment_reduce_backward_kernelIdiEEvNS0_13ReductionTypeEPT_PKS4_S7_S7_PKT0_SA_llS4_lllllll.has_dyn_sized_stack, 0
	.set _ZN2at6native12_GLOBAL__N_130segment_reduce_backward_kernelIdiEEvNS0_13ReductionTypeEPT_PKS4_S7_S7_PKT0_SA_llS4_lllllll.has_recursion, 0
	.set _ZN2at6native12_GLOBAL__N_130segment_reduce_backward_kernelIdiEEvNS0_13ReductionTypeEPT_PKS4_S7_S7_PKT0_SA_llS4_lllllll.has_indirect_call, 0
	.section	.AMDGPU.csdata,"",@progbits
; Kernel info:
; codeLenInByte = 4340
; TotalNumSgprs: 54
; NumVgprs: 37
; ScratchSize: 0
; MemoryBound: 1
; FloatMode: 240
; IeeeMode: 1
; LDSByteSize: 0 bytes/workgroup (compile time only)
; SGPRBlocks: 0
; VGPRBlocks: 4
; NumSGPRsForWavesPerEU: 54
; NumVGPRsForWavesPerEU: 37
; Occupancy: 16
; WaveLimiterHint : 0
; COMPUTE_PGM_RSRC2:SCRATCH_EN: 0
; COMPUTE_PGM_RSRC2:USER_SGPR: 6
; COMPUTE_PGM_RSRC2:TRAP_HANDLER: 0
; COMPUTE_PGM_RSRC2:TGID_X_EN: 1
; COMPUTE_PGM_RSRC2:TGID_Y_EN: 0
; COMPUTE_PGM_RSRC2:TGID_Z_EN: 0
; COMPUTE_PGM_RSRC2:TIDIG_COMP_CNT: 0
	.section	.text._ZN2at6native12_GLOBAL__N_130segment_reduce_backward_kernelIfiEEvNS0_13ReductionTypeEPT_PKS4_S7_S7_PKT0_SA_llS4_lllllll,"axG",@progbits,_ZN2at6native12_GLOBAL__N_130segment_reduce_backward_kernelIfiEEvNS0_13ReductionTypeEPT_PKS4_S7_S7_PKT0_SA_llS4_lllllll,comdat
	.globl	_ZN2at6native12_GLOBAL__N_130segment_reduce_backward_kernelIfiEEvNS0_13ReductionTypeEPT_PKS4_S7_S7_PKT0_SA_llS4_lllllll ; -- Begin function _ZN2at6native12_GLOBAL__N_130segment_reduce_backward_kernelIfiEEvNS0_13ReductionTypeEPT_PKS4_S7_S7_PKT0_SA_llS4_lllllll
	.p2align	8
	.type	_ZN2at6native12_GLOBAL__N_130segment_reduce_backward_kernelIfiEEvNS0_13ReductionTypeEPT_PKS4_S7_S7_PKT0_SA_llS4_lllllll,@function
_ZN2at6native12_GLOBAL__N_130segment_reduce_backward_kernelIfiEEvNS0_13ReductionTypeEPT_PKS4_S7_S7_PKT0_SA_llS4_lllllll: ; @_ZN2at6native12_GLOBAL__N_130segment_reduce_backward_kernelIfiEEvNS0_13ReductionTypeEPT_PKS4_S7_S7_PKT0_SA_llS4_lllllll
; %bb.0:
	s_clause 0x2
	s_load_dwordx16 s[8:23], s[4:5], 0x8
	s_load_dword s0, s[4:5], 0x94
	s_load_dwordx8 s[24:31], s[4:5], 0x50
	v_mov_b32_e32 v2, 0
	v_mov_b32_e32 v1, v2
	s_waitcnt lgkmcnt(0)
	s_and_b32 s0, s0, 0xffff
	s_mul_i32 s1, s24, s21
	s_mul_hi_u32 s2, s24, s20
	s_mul_i32 s3, s25, s20
	s_mul_i32 s7, s24, s20
	v_mad_u64_u32 v[0:1], null, s0, s6, v[0:1]
	s_add_i32 s0, s2, s1
	s_mul_i32 s1, s7, s27
	s_mul_hi_u32 s2, s7, s26
	s_add_i32 s0, s0, s3
	s_add_i32 s1, s2, s1
	s_mul_i32 s0, s0, s26
	s_add_i32 s1, s1, s0
	s_mul_i32 s0, s7, s26
	v_cmp_gt_i64_e32 vcc_lo, s[0:1], v[0:1]
	s_and_saveexec_b32 s0, vcc_lo
	s_cbranch_execz .LBB1_54
; %bb.1:
	v_or_b32_e32 v3, s27, v1
                                        ; implicit-def: $vgpr4_vgpr5
	s_mov_b32 s0, exec_lo
	v_cmpx_ne_u64_e32 0, v[2:3]
	s_xor_b32 s1, exec_lo, s0
	s_cbranch_execz .LBB1_3
; %bb.2:
	s_ashr_i32 s2, s27, 31
	v_ashrrev_i32_e32 v8, 31, v1
	s_add_u32 s6, s26, s2
	s_mov_b32 s3, s2
	s_addc_u32 s7, s27, s2
	s_xor_b64 s[6:7], s[6:7], s[2:3]
	v_add_co_u32 v4, vcc_lo, v0, v8
	v_cvt_f32_u32_e32 v2, s6
	v_cvt_f32_u32_e32 v3, s7
	s_sub_u32 s24, 0, s6
	s_subb_u32 s25, 0, s7
	v_add_co_ci_u32_e64 v5, null, v1, v8, vcc_lo
	v_fmamk_f32 v2, v3, 0x4f800000, v2
	v_xor_b32_e32 v9, v4, v8
	v_xor_b32_e32 v10, v5, v8
	v_rcp_f32_e32 v2, v2
	v_mul_f32_e32 v2, 0x5f7ffffc, v2
	v_mul_f32_e32 v3, 0x2f800000, v2
	v_trunc_f32_e32 v3, v3
	v_fmamk_f32 v2, v3, 0xcf800000, v2
	v_cvt_u32_f32_e32 v3, v3
	v_cvt_u32_f32_e32 v2, v2
	v_readfirstlane_b32 s0, v3
	v_readfirstlane_b32 s3, v2
	s_mul_i32 s33, s24, s0
	s_mul_hi_u32 s35, s24, s3
	s_mul_i32 s34, s25, s3
	s_add_i32 s33, s35, s33
	s_mul_i32 s36, s24, s3
	s_add_i32 s33, s33, s34
	s_mul_hi_u32 s35, s3, s36
	s_mul_i32 s38, s3, s33
	s_mul_hi_u32 s37, s0, s36
	s_mul_i32 s34, s0, s36
	s_mul_hi_u32 s36, s3, s33
	s_add_u32 s35, s35, s38
	s_addc_u32 s36, 0, s36
	s_mul_hi_u32 s39, s0, s33
	s_add_u32 s34, s35, s34
	s_mul_i32 s33, s0, s33
	s_addc_u32 s34, s36, s37
	s_addc_u32 s35, s39, 0
	s_add_u32 s33, s34, s33
	s_addc_u32 s34, 0, s35
	s_add_u32 s3, s3, s33
	s_cselect_b32 s33, -1, 0
	s_mul_hi_u32 s35, s24, s3
	s_cmp_lg_u32 s33, 0
	s_mul_i32 s33, s24, s3
	s_addc_u32 s0, s0, s34
	s_mul_i32 s25, s25, s3
	s_mul_i32 s24, s24, s0
	s_mul_hi_u32 s34, s3, s33
	s_add_i32 s24, s35, s24
	s_mul_hi_u32 s35, s0, s33
	s_add_i32 s24, s24, s25
	s_mul_i32 s25, s0, s33
	s_mul_i32 s37, s3, s24
	s_mul_hi_u32 s36, s3, s24
	s_add_u32 s34, s34, s37
	s_addc_u32 s36, 0, s36
	s_mul_hi_u32 s33, s0, s24
	s_add_u32 s25, s34, s25
	s_mul_i32 s24, s0, s24
	s_addc_u32 s25, s36, s35
	s_addc_u32 s33, s33, 0
	s_add_u32 s24, s25, s24
	s_addc_u32 s25, 0, s33
	s_add_u32 s3, s3, s24
	s_cselect_b32 s24, -1, 0
	v_mul_hi_u32 v11, v9, s3
	s_cmp_lg_u32 s24, 0
	v_mad_u64_u32 v[4:5], null, v10, s3, 0
	s_addc_u32 s0, s0, s25
	v_mad_u64_u32 v[2:3], null, v9, s0, 0
	v_mad_u64_u32 v[6:7], null, v10, s0, 0
	v_add_co_u32 v2, vcc_lo, v11, v2
	v_add_co_ci_u32_e64 v3, null, 0, v3, vcc_lo
	v_add_co_u32 v2, vcc_lo, v2, v4
	v_add_co_ci_u32_e32 v2, vcc_lo, v3, v5, vcc_lo
	v_add_co_ci_u32_e32 v3, vcc_lo, 0, v7, vcc_lo
	v_add_co_u32 v4, vcc_lo, v2, v6
	v_add_co_ci_u32_e64 v5, null, 0, v3, vcc_lo
	v_mul_lo_u32 v6, s7, v4
	v_mad_u64_u32 v[2:3], null, s6, v4, 0
	v_mul_lo_u32 v7, s6, v5
	v_sub_co_u32 v2, vcc_lo, v9, v2
	v_add3_u32 v3, v3, v7, v6
	v_add_co_u32 v7, s0, v4, 2
	v_add_co_ci_u32_e64 v9, null, 0, v5, s0
	v_sub_nc_u32_e32 v6, v10, v3
	v_sub_co_u32 v11, s0, v2, s6
	v_sub_co_ci_u32_e64 v3, null, v10, v3, vcc_lo
	v_subrev_co_ci_u32_e64 v6, null, s7, v6, vcc_lo
	v_cmp_le_u32_e32 vcc_lo, s6, v11
	v_subrev_co_ci_u32_e64 v6, null, 0, v6, s0
	v_cndmask_b32_e64 v10, 0, -1, vcc_lo
	v_cmp_le_u32_e32 vcc_lo, s7, v6
	v_cndmask_b32_e64 v11, 0, -1, vcc_lo
	v_cmp_le_u32_e32 vcc_lo, s6, v2
	;; [unrolled: 2-line block ×3, first 2 shown]
	v_cndmask_b32_e64 v12, 0, -1, vcc_lo
	v_cmp_eq_u32_e32 vcc_lo, s7, v6
	v_cndmask_b32_e32 v6, v11, v10, vcc_lo
	v_add_co_u32 v10, vcc_lo, v4, 1
	v_add_co_ci_u32_e64 v11, null, 0, v5, vcc_lo
	v_cmp_eq_u32_e32 vcc_lo, s7, v3
	v_cndmask_b32_e32 v2, v12, v2, vcc_lo
	v_cmp_ne_u32_e32 vcc_lo, 0, v6
	v_xor_b32_e32 v6, s2, v8
	v_cmp_ne_u32_e64 s0, 0, v2
	v_cndmask_b32_e32 v2, v10, v7, vcc_lo
	v_cndmask_b32_e32 v3, v11, v9, vcc_lo
	v_cndmask_b32_e64 v2, v4, v2, s0
	v_cndmask_b32_e64 v3, v5, v3, s0
	v_xor_b32_e32 v2, v2, v6
	v_xor_b32_e32 v3, v3, v6
	v_sub_co_u32 v4, vcc_lo, v2, v6
	v_sub_co_ci_u32_e64 v5, null, v3, v6, vcc_lo
.LBB1_3:
	s_andn2_saveexec_b32 s0, s1
	s_cbranch_execz .LBB1_5
; %bb.4:
	v_cvt_f32_u32_e32 v2, s26
	s_sub_i32 s1, 0, s26
	v_rcp_iflag_f32_e32 v2, v2
	v_mul_f32_e32 v2, 0x4f7ffffe, v2
	v_cvt_u32_f32_e32 v2, v2
	v_mul_lo_u32 v3, s1, v2
	v_mul_hi_u32 v3, v2, v3
	v_add_nc_u32_e32 v2, v2, v3
	v_mul_hi_u32 v2, v0, v2
	v_mul_lo_u32 v3, v2, s26
	v_add_nc_u32_e32 v4, 1, v2
	v_sub_nc_u32_e32 v3, v0, v3
	v_subrev_nc_u32_e32 v5, s26, v3
	v_cmp_le_u32_e32 vcc_lo, s26, v3
	v_cndmask_b32_e32 v3, v3, v5, vcc_lo
	v_cndmask_b32_e32 v2, v2, v4, vcc_lo
	v_mov_b32_e32 v5, 0
	v_cmp_le_u32_e32 vcc_lo, s26, v3
	v_add_nc_u32_e32 v4, 1, v2
	v_cndmask_b32_e32 v4, v2, v4, vcc_lo
.LBB1_5:
	s_or_b32 exec_lo, exec_lo, s0
	v_or_b32_e32 v3, s21, v5
	v_mov_b32_e32 v2, 0
	v_cmp_ne_u64_e32 vcc_lo, 0, v[2:3]
                                        ; implicit-def: $vgpr2_vgpr3
	s_and_saveexec_b32 s0, vcc_lo
	s_xor_b32 s1, exec_lo, s0
	s_cbranch_execz .LBB1_7
; %bb.6:
	s_ashr_i32 s2, s21, 31
	v_ashrrev_i32_e32 v10, 31, v5
	s_add_u32 s6, s20, s2
	s_mov_b32 s3, s2
	s_addc_u32 s7, s21, s2
	s_xor_b64 s[6:7], s[6:7], s[2:3]
	v_add_co_u32 v6, vcc_lo, v4, v10
	v_cvt_f32_u32_e32 v2, s6
	v_cvt_f32_u32_e32 v3, s7
	s_sub_u32 s24, 0, s6
	s_subb_u32 s25, 0, s7
	v_add_co_ci_u32_e64 v7, null, v5, v10, vcc_lo
	v_fmamk_f32 v2, v3, 0x4f800000, v2
	v_xor_b32_e32 v11, v6, v10
	v_xor_b32_e32 v12, v7, v10
	v_rcp_f32_e32 v2, v2
	v_mul_f32_e32 v2, 0x5f7ffffc, v2
	v_mul_f32_e32 v3, 0x2f800000, v2
	v_trunc_f32_e32 v3, v3
	v_fmamk_f32 v2, v3, 0xcf800000, v2
	v_cvt_u32_f32_e32 v3, v3
	v_cvt_u32_f32_e32 v2, v2
	v_readfirstlane_b32 s0, v3
	v_readfirstlane_b32 s3, v2
	s_mul_i32 s33, s24, s0
	s_mul_hi_u32 s35, s24, s3
	s_mul_i32 s34, s25, s3
	s_add_i32 s33, s35, s33
	s_mul_i32 s36, s24, s3
	s_add_i32 s33, s33, s34
	s_mul_hi_u32 s35, s3, s36
	s_mul_i32 s38, s3, s33
	s_mul_hi_u32 s37, s0, s36
	s_mul_i32 s34, s0, s36
	s_mul_hi_u32 s36, s3, s33
	s_add_u32 s35, s35, s38
	s_addc_u32 s36, 0, s36
	s_mul_hi_u32 s39, s0, s33
	s_add_u32 s34, s35, s34
	s_mul_i32 s33, s0, s33
	s_addc_u32 s34, s36, s37
	s_addc_u32 s35, s39, 0
	s_add_u32 s33, s34, s33
	s_addc_u32 s34, 0, s35
	s_add_u32 s3, s3, s33
	s_cselect_b32 s33, -1, 0
	s_mul_hi_u32 s35, s24, s3
	s_cmp_lg_u32 s33, 0
	s_mul_i32 s33, s24, s3
	s_addc_u32 s0, s0, s34
	s_mul_i32 s25, s25, s3
	s_mul_i32 s24, s24, s0
	s_mul_hi_u32 s34, s3, s33
	s_add_i32 s24, s35, s24
	s_mul_hi_u32 s35, s0, s33
	s_add_i32 s24, s24, s25
	s_mul_i32 s25, s0, s33
	s_mul_i32 s37, s3, s24
	s_mul_hi_u32 s36, s3, s24
	s_add_u32 s34, s34, s37
	s_addc_u32 s36, 0, s36
	s_mul_hi_u32 s33, s0, s24
	s_add_u32 s25, s34, s25
	s_mul_i32 s24, s0, s24
	s_addc_u32 s25, s36, s35
	s_addc_u32 s33, s33, 0
	s_add_u32 s24, s25, s24
	s_addc_u32 s25, 0, s33
	s_add_u32 s3, s3, s24
	s_cselect_b32 s24, -1, 0
	v_mul_hi_u32 v13, v11, s3
	s_cmp_lg_u32 s24, 0
	v_mad_u64_u32 v[6:7], null, v12, s3, 0
	s_addc_u32 s0, s0, s25
	v_mad_u64_u32 v[2:3], null, v11, s0, 0
	v_mad_u64_u32 v[8:9], null, v12, s0, 0
	v_add_co_u32 v2, vcc_lo, v13, v2
	v_add_co_ci_u32_e64 v3, null, 0, v3, vcc_lo
	v_add_co_u32 v2, vcc_lo, v2, v6
	v_add_co_ci_u32_e32 v2, vcc_lo, v3, v7, vcc_lo
	v_add_co_ci_u32_e32 v3, vcc_lo, 0, v9, vcc_lo
	v_add_co_u32 v6, vcc_lo, v2, v8
	v_add_co_ci_u32_e64 v7, null, 0, v3, vcc_lo
	v_mul_lo_u32 v8, s7, v6
	v_mad_u64_u32 v[2:3], null, s6, v6, 0
	v_mul_lo_u32 v9, s6, v7
	v_sub_co_u32 v2, vcc_lo, v11, v2
	v_add3_u32 v3, v3, v9, v8
	v_add_co_u32 v9, s0, v6, 2
	v_add_co_ci_u32_e64 v11, null, 0, v7, s0
	v_sub_nc_u32_e32 v8, v12, v3
	v_sub_co_u32 v13, s0, v2, s6
	v_sub_co_ci_u32_e64 v3, null, v12, v3, vcc_lo
	v_subrev_co_ci_u32_e64 v8, null, s7, v8, vcc_lo
	v_cmp_le_u32_e32 vcc_lo, s6, v13
	v_subrev_co_ci_u32_e64 v8, null, 0, v8, s0
	v_cndmask_b32_e64 v12, 0, -1, vcc_lo
	v_cmp_le_u32_e32 vcc_lo, s7, v8
	v_cndmask_b32_e64 v13, 0, -1, vcc_lo
	v_cmp_le_u32_e32 vcc_lo, s6, v2
	;; [unrolled: 2-line block ×3, first 2 shown]
	v_cndmask_b32_e64 v14, 0, -1, vcc_lo
	v_cmp_eq_u32_e32 vcc_lo, s7, v8
	v_cndmask_b32_e32 v8, v13, v12, vcc_lo
	v_add_co_u32 v12, vcc_lo, v6, 1
	v_add_co_ci_u32_e64 v13, null, 0, v7, vcc_lo
	v_cmp_eq_u32_e32 vcc_lo, s7, v3
	v_cndmask_b32_e32 v2, v14, v2, vcc_lo
	v_cmp_ne_u32_e32 vcc_lo, 0, v8
	v_xor_b32_e32 v8, s2, v10
	v_cmp_ne_u32_e64 s0, 0, v2
	v_cndmask_b32_e32 v2, v12, v9, vcc_lo
	v_cndmask_b32_e32 v3, v13, v11, vcc_lo
	v_cndmask_b32_e64 v2, v6, v2, s0
	v_cndmask_b32_e64 v3, v7, v3, s0
	v_xor_b32_e32 v2, v2, v8
	v_xor_b32_e32 v3, v3, v8
	v_sub_co_u32 v2, vcc_lo, v2, v8
	v_sub_co_ci_u32_e64 v3, null, v3, v8, vcc_lo
.LBB1_7:
	s_andn2_saveexec_b32 s0, s1
	s_cbranch_execz .LBB1_9
; %bb.8:
	v_cvt_f32_u32_e32 v2, s20
	s_sub_i32 s1, 0, s20
	v_rcp_iflag_f32_e32 v2, v2
	v_mul_f32_e32 v2, 0x4f7ffffe, v2
	v_cvt_u32_f32_e32 v2, v2
	v_mul_lo_u32 v3, s1, v2
	v_mul_hi_u32 v3, v2, v3
	v_add_nc_u32_e32 v2, v2, v3
	v_mul_hi_u32 v2, v4, v2
	v_mul_lo_u32 v3, v2, s20
	v_add_nc_u32_e32 v6, 1, v2
	v_sub_nc_u32_e32 v3, v4, v3
	v_subrev_nc_u32_e32 v7, s20, v3
	v_cmp_le_u32_e32 vcc_lo, s20, v3
	v_cndmask_b32_e32 v3, v3, v7, vcc_lo
	v_cndmask_b32_e32 v2, v2, v6, vcc_lo
	v_cmp_le_u32_e32 vcc_lo, s20, v3
	v_add_nc_u32_e32 v6, 1, v2
	v_mov_b32_e32 v3, 0
	v_cndmask_b32_e32 v2, v2, v6, vcc_lo
.LBB1_9:
	s_or_b32 exec_lo, exec_lo, s0
	v_mul_lo_u32 v8, v3, s20
	v_mul_lo_u32 v9, v2, s21
	v_mad_u64_u32 v[6:7], null, v2, s20, 0
	v_add3_u32 v7, v7, v9, v8
	v_mul_lo_u32 v10, v6, s23
	v_mad_u64_u32 v[8:9], null, v6, s22, 0
	v_sub_co_u32 v6, vcc_lo, v4, v6
	v_mul_lo_u32 v11, v7, s22
	v_sub_co_ci_u32_e64 v7, null, v5, v7, vcc_lo
	v_add3_u32 v9, v9, v10, v11
	v_lshlrev_b64 v[10:11], 2, v[8:9]
	v_lshlrev_b64 v[8:9], 2, v[6:7]
	v_add_co_u32 v10, vcc_lo, s16, v10
	v_add_co_ci_u32_e64 v11, null, s17, v11, vcc_lo
	v_add_co_u32 v10, vcc_lo, v10, v8
	v_add_co_ci_u32_e64 v11, null, v11, v9, vcc_lo
	global_load_dword v28, v[10:11], off
	s_waitcnt vmcnt(0)
	v_cmp_ne_u32_e32 vcc_lo, 0, v28
	s_and_b32 exec_lo, exec_lo, vcc_lo
	s_cbranch_execz .LBB1_54
; %bb.10:
	s_load_dwordx8 s[36:43], s[4:5], 0x70
	s_add_u32 s0, s20, 1
	s_addc_u32 s1, s21, 0
	s_waitcnt lgkmcnt(0)
	s_mul_i32 s1, s40, s1
	s_mul_hi_u32 s2, s40, s0
	s_mul_i32 s3, s41, s0
	s_add_i32 s1, s2, s1
	s_mul_i32 s0, s40, s0
	s_add_i32 s1, s1, s3
	v_mul_lo_u32 v12, s0, v3
	v_mad_u64_u32 v[10:11], null, s0, v2, 0
	v_mul_lo_u32 v13, s1, v2
	s_load_dword s1, s[4:5], 0x0
	v_add3_u32 v11, v11, v12, v13
	v_mul_lo_u32 v12, v5, s26
	v_mul_lo_u32 v13, v4, s27
	v_mad_u64_u32 v[4:5], null, v4, s26, 0
	v_lshlrev_b64 v[10:11], 2, v[10:11]
	v_add3_u32 v5, v5, v13, v12
	v_add_co_u32 v10, vcc_lo, s18, v10
	v_add_co_ci_u32_e64 v11, null, s19, v11, vcc_lo
	s_waitcnt lgkmcnt(0)
	s_and_b32 s0, s1, -3
	v_add_co_u32 v8, vcc_lo, v10, v8
	v_add_co_ci_u32_e64 v9, null, v11, v9, vcc_lo
	v_mad_u64_u32 v[10:11], null, v2, s38, v[6:7]
	v_mul_lo_u32 v6, v2, s39
	global_load_dwordx2 v[8:9], v[8:9], off
	v_mul_lo_u32 v7, v3, s38
	v_sub_co_u32 v14, vcc_lo, v0, v4
	v_sub_co_ci_u32_e64 v15, null, v1, v5, vcc_lo
	s_cmp_lg_u32 s0, 0
	v_add3_u32 v11, v7, v11, v6
	v_mad_u64_u32 v[6:7], null, v10, s36, v[14:15]
	v_mul_lo_u32 v10, v10, s37
	v_mul_lo_u32 v11, v11, s36
	v_add3_u32 v7, v11, v7, v10
	s_cbranch_scc0 .LBB1_25
; %bb.11:
	s_cmp_lt_i32 s1, 3
	s_mov_b32 s0, -1
	s_cbranch_scc1 .LBB1_34
; %bb.12:
	s_cmp_lt_i32 s1, 4
	s_cbranch_scc1 .LBB1_28
; %bb.13:
	s_cmp_eq_u32 s1, 4
	s_cbranch_scc0 .LBB1_27
; %bb.14:
	s_mov_b32 s16, exec_lo
	s_waitcnt vmcnt(0)
	v_cmpx_lt_i32_e64 v8, v9
	s_cbranch_execz .LBB1_26
; %bb.15:
	v_lshlrev_b64 v[12:13], 2, v[6:7]
	v_mul_lo_u32 v18, s31, v2
	v_mul_lo_u32 v19, s30, v3
	v_mad_u64_u32 v[16:17], null, s30, v2, 0
	s_load_dword s17, s[4:5], 0x48
	v_add_co_u32 v10, vcc_lo, s10, v12
	v_add_co_ci_u32_e64 v11, null, s11, v13, vcc_lo
	v_add_co_u32 v12, vcc_lo, s12, v12
	v_add_co_ci_u32_e64 v13, null, s13, v13, vcc_lo
	global_load_dword v22, v[10:11], off
	global_load_dword v23, v[12:13], off
	v_ashrrev_i32_e32 v13, 31, v8
	v_mov_b32_e32 v12, v8
	v_add3_u32 v17, v17, v19, v18
	v_mul_lo_u32 v26, v16, s29
	v_mad_u64_u32 v[14:15], null, v16, s28, v[14:15]
	v_lshlrev_b64 v[18:19], 2, v[12:13]
	v_lshlrev_b64 v[20:21], 2, v[16:17]
	v_mul_lo_u32 v27, v17, s28
	v_ashrrev_i32_e32 v17, 31, v9
	v_mov_b32_e32 v16, v9
	s_lshl_b64 s[2:3], s[28:29], 2
	s_mov_b64 s[4:5], 0
	v_add_co_u32 v20, vcc_lo, v20, v18
	v_add_co_ci_u32_e64 v21, null, v21, v19, vcc_lo
	v_lshlrev_b64 v[18:19], 2, v[0:1]
	v_mul_lo_u32 v25, s29, v20
	v_add3_u32 v15, v27, v15, v26
	v_mul_lo_u32 v24, s28, v21
	s_mov_b32 s18, 0
	v_mad_u64_u32 v[18:19], null, s28, v20, v[18:19]
	v_lshlrev_b64 v[20:21], 2, v[4:5]
	v_add3_u32 v19, v25, v19, v24
	v_sub_co_u32 v18, vcc_lo, v18, v20
	v_sub_co_ci_u32_e64 v19, null, v19, v21, vcc_lo
	v_add_co_u32 v18, vcc_lo, s14, v18
	v_mov_b32_e32 v21, v13
	v_add_co_ci_u32_e64 v19, null, s15, v19, vcc_lo
	v_mov_b32_e32 v20, v12
	s_waitcnt vmcnt(0)
	v_mul_f32_e32 v29, v22, v23
	s_branch .LBB1_18
.LBB1_16:                               ;   in Loop: Header=BB1_18 Depth=1
	s_or_b32 exec_lo, exec_lo, s20
	global_load_dword v24, v[10:11], off
	s_waitcnt vmcnt(0)
	v_mul_f32_e32 v24, v30, v24
.LBB1_17:                               ;   in Loop: Header=BB1_18 Depth=1
	s_or_b32 exec_lo, exec_lo, s19
	v_add_co_u32 v20, vcc_lo, v20, 1
	v_add_co_ci_u32_e64 v21, null, 0, v21, vcc_lo
	v_add_co_u32 v22, s0, s8, v22
	v_add_co_ci_u32_e64 v23, null, s9, v23, s0
	v_cmp_ge_i64_e32 vcc_lo, v[20:21], v[16:17]
	s_add_u32 s4, s4, 1
	s_addc_u32 s5, s5, 0
	global_store_dword v[22:23], v24, off
	s_or_b32 s18, vcc_lo, s18
	s_andn2_b32 exec_lo, exec_lo, s18
	s_cbranch_execz .LBB1_26
.LBB1_18:                               ; =>This Loop Header: Depth=1
                                        ;     Child Loop BB1_23 Depth 2
	v_mad_u64_u32 v[22:23], null, v20, s28, v[14:15]
	v_mul_lo_u32 v24, v20, s29
	v_mul_lo_u32 v25, v21, s28
	s_mov_b32 s0, exec_lo
	v_add3_u32 v23, v25, v23, v24
	v_lshlrev_b64 v[22:23], 2, v[22:23]
	v_add_co_u32 v24, vcc_lo, s14, v22
	v_add_co_ci_u32_e64 v25, null, s15, v23, vcc_lo
	global_load_dword v25, v[24:25], off
                                        ; implicit-def: $vgpr24
	s_waitcnt vmcnt(0)
	v_cmpx_lg_f32_e32 0, v25
	s_xor_b32 s0, exec_lo, s0
	s_cbranch_execz .LBB1_20
; %bb.19:                               ;   in Loop: Header=BB1_18 Depth=1
	v_div_scale_f32 v24, null, v25, v25, v29
	v_rcp_f32_e32 v26, v24
	v_fma_f32 v27, -v24, v26, 1.0
	v_fmac_f32_e32 v26, v27, v26
	v_div_scale_f32 v27, vcc_lo, v29, v25, v29
	v_mul_f32_e32 v30, v27, v26
	v_fma_f32 v31, -v24, v30, v27
	v_fmac_f32_e32 v30, v31, v26
	v_fma_f32 v24, -v24, v30, v27
	v_div_fmas_f32 v24, v24, v26, v30
	v_div_fixup_f32 v24, v24, v25, v29
.LBB1_20:                               ;   in Loop: Header=BB1_18 Depth=1
	s_andn2_saveexec_b32 s19, s0
	s_cbranch_execz .LBB1_17
; %bb.21:                               ;   in Loop: Header=BB1_18 Depth=1
	v_mov_b32_e32 v25, v19
	v_mov_b32_e32 v27, v13
	s_waitcnt lgkmcnt(0)
	v_mov_b32_e32 v30, s17
	v_mov_b32_e32 v24, v18
	;; [unrolled: 1-line block ×3, first 2 shown]
	s_mov_b32 s20, 0
	s_mov_b64 s[6:7], s[4:5]
	s_branch .LBB1_23
	.p2align	6
.LBB1_22:                               ;   in Loop: Header=BB1_23 Depth=2
	v_add_co_u32 v26, vcc_lo, v26, 1
	v_add_co_ci_u32_e64 v27, null, 0, v27, vcc_lo
	v_add_co_u32 v24, s0, v24, s2
	v_add_co_ci_u32_e64 v25, null, s3, v25, s0
	v_cmp_ge_i64_e32 vcc_lo, v[26:27], v[16:17]
	s_add_u32 s6, s6, -1
	s_addc_u32 s7, s7, -1
	s_or_b32 s20, vcc_lo, s20
	s_andn2_b32 exec_lo, exec_lo, s20
	s_cbranch_execz .LBB1_16
.LBB1_23:                               ;   Parent Loop BB1_18 Depth=1
                                        ; =>  This Inner Loop Header: Depth=2
	s_cmp_eq_u64 s[6:7], 0
	s_cbranch_scc1 .LBB1_22
; %bb.24:                               ;   in Loop: Header=BB1_23 Depth=2
	global_load_dword v31, v[24:25], off
	s_waitcnt vmcnt(0)
	v_mul_f32_e32 v30, v30, v31
	s_branch .LBB1_22
.LBB1_25:
	s_cbranch_execnz .LBB1_41
	s_branch .LBB1_54
.LBB1_26:
	s_or_b32 exec_lo, exec_lo, s16
.LBB1_27:
	s_mov_b32 s0, 0
.LBB1_28:
	s_andn2_b32 vcc_lo, exec_lo, s0
	s_cbranch_vccnz .LBB1_33
; %bb.29:
	s_mov_b32 s4, exec_lo
	s_waitcnt vmcnt(0)
	v_cmpx_lt_i32_e64 v8, v9
	s_cbranch_execz .LBB1_32
; %bb.30:
	v_lshlrev_b64 v[10:11], 2, v[6:7]
	v_mul_lo_u32 v14, v2, s31
	v_mad_u64_u32 v[12:13], null, v2, s30, 0
	s_lshl_b64 s[2:3], s[28:29], 2
	s_mov_b32 s5, 0
	v_add_co_u32 v10, vcc_lo, s10, v10
	v_add_co_ci_u32_e64 v11, null, s11, v11, vcc_lo
	global_load_dword v16, v[10:11], off
	v_mul_lo_u32 v10, v3, s30
	v_ashrrev_i32_e32 v11, 31, v8
	v_add3_u32 v13, v13, v14, v10
	v_mov_b32_e32 v10, v8
	v_lshlrev_b64 v[12:13], 2, v[12:13]
	v_lshlrev_b64 v[14:15], 2, v[10:11]
	v_add_co_u32 v14, vcc_lo, v12, v14
	v_add_co_ci_u32_e64 v15, null, v13, v15, vcc_lo
	v_lshlrev_b64 v[12:13], 2, v[0:1]
	v_mul_lo_u32 v18, s29, v14
	v_mul_lo_u32 v17, s28, v15
	v_mad_u64_u32 v[12:13], null, s28, v14, v[12:13]
	v_lshlrev_b64 v[14:15], 2, v[4:5]
	v_add3_u32 v17, v18, v13, v17
	v_sub_co_u32 v14, vcc_lo, v12, v14
	v_ashrrev_i32_e32 v13, 31, v9
	v_mov_b32_e32 v12, v9
	v_sub_co_ci_u32_e64 v15, null, v17, v15, vcc_lo
	v_add_co_u32 v14, vcc_lo, s8, v14
	v_add_co_ci_u32_e64 v15, null, s9, v15, vcc_lo
.LBB1_31:                               ; =>This Inner Loop Header: Depth=1
	v_add_co_u32 v10, vcc_lo, v10, 1
	v_add_co_ci_u32_e64 v11, null, 0, v11, vcc_lo
	s_waitcnt vmcnt(0)
	global_store_dword v[14:15], v16, off
	v_add_co_u32 v14, s0, v14, s2
	v_cmp_ge_i64_e32 vcc_lo, v[10:11], v[12:13]
	v_add_co_ci_u32_e64 v15, null, s3, v15, s0
	s_or_b32 s5, vcc_lo, s5
	s_andn2_b32 exec_lo, exec_lo, s5
	s_cbranch_execnz .LBB1_31
.LBB1_32:
	s_or_b32 exec_lo, exec_lo, s4
.LBB1_33:
	s_mov_b32 s0, 0
.LBB1_34:
	s_andn2_b32 vcc_lo, exec_lo, s0
	s_cbranch_vccnz .LBB1_40
; %bb.35:
	s_cmp_lg_u32 s1, 1
	s_cbranch_scc1 .LBB1_40
; %bb.36:
	s_mov_b32 s1, exec_lo
	s_waitcnt vmcnt(0)
	v_cmpx_lt_i32_e64 v8, v9
	s_cbranch_execz .LBB1_39
; %bb.37:
	v_lshlrev_b64 v[10:11], 2, v[6:7]
	v_cvt_f32_i32_e32 v19, v28
	v_mul_lo_u32 v14, v3, s30
	v_mul_lo_u32 v15, v2, s31
	v_mad_u64_u32 v[12:13], null, v2, s30, 0
	v_add_co_u32 v10, vcc_lo, s10, v10
	v_add_co_ci_u32_e64 v11, null, s11, v11, vcc_lo
	s_lshl_b64 s[2:3], s[28:29], 2
	s_mov_b32 s4, 0
	v_add3_u32 v13, v13, v15, v14
	global_load_dword v18, v[10:11], off
	v_ashrrev_i32_e32 v11, 31, v8
	v_mov_b32_e32 v10, v8
	v_lshlrev_b64 v[12:13], 2, v[12:13]
	v_lshlrev_b64 v[14:15], 2, v[10:11]
	v_add_co_u32 v14, s0, v12, v14
	v_add_co_ci_u32_e64 v15, null, v13, v15, s0
	v_lshlrev_b64 v[12:13], 2, v[0:1]
	v_mul_lo_u32 v24, s29, v14
	v_mul_lo_u32 v23, s28, v15
	v_mad_u64_u32 v[14:15], null, s28, v14, v[12:13]
	v_ashrrev_i32_e32 v13, 31, v9
	v_mov_b32_e32 v12, v9
	v_add3_u32 v15, v24, v15, v23
	s_waitcnt vmcnt(0)
	v_div_scale_f32 v16, null, v19, v19, v18
	v_div_scale_f32 v21, vcc_lo, v18, v19, v18
	v_rcp_f32_e32 v20, v16
	v_fma_f32 v17, -v16, v20, 1.0
	v_fmac_f32_e32 v20, v17, v20
	v_mul_f32_e32 v22, v21, v20
	v_fma_f32 v17, -v16, v22, v21
	v_fmac_f32_e32 v22, v17, v20
	v_fma_f32 v21, -v16, v22, v21
	v_lshlrev_b64 v[16:17], 2, v[4:5]
	v_div_fmas_f32 v20, v21, v20, v22
	v_sub_co_u32 v14, vcc_lo, v14, v16
	v_sub_co_ci_u32_e64 v15, null, v15, v17, vcc_lo
	v_div_fixup_f32 v16, v20, v19, v18
	v_add_co_u32 v14, vcc_lo, s8, v14
	v_add_co_ci_u32_e64 v15, null, s9, v15, vcc_lo
.LBB1_38:                               ; =>This Inner Loop Header: Depth=1
	v_add_co_u32 v10, vcc_lo, v10, 1
	v_add_co_ci_u32_e64 v11, null, 0, v11, vcc_lo
	global_store_dword v[14:15], v16, off
	v_add_co_u32 v14, s0, v14, s2
	v_cmp_ge_i64_e32 vcc_lo, v[10:11], v[12:13]
	v_add_co_ci_u32_e64 v15, null, s3, v15, s0
	s_or_b32 s4, vcc_lo, s4
	s_andn2_b32 exec_lo, exec_lo, s4
	s_cbranch_execnz .LBB1_38
.LBB1_39:
	s_or_b32 exec_lo, exec_lo, s1
.LBB1_40:
	s_branch .LBB1_54
.LBB1_41:
	v_mov_b32_e32 v14, 0
	s_waitcnt vmcnt(0)
	v_ashrrev_i32_e32 v11, 31, v8
	v_mov_b32_e32 v10, v8
	v_ashrrev_i32_e32 v13, 31, v9
	v_mov_b32_e32 v12, v9
	v_mov_b32_e32 v15, 0
	s_mov_b32 s4, exec_lo
	v_cmp_ge_i32_e32 vcc_lo, v8, v9
	v_cmpx_lt_i32_e64 v8, v9
	s_cbranch_execz .LBB1_49
; %bb.42:
	v_mad_u64_u32 v[8:9], null, v2, s30, v[10:11]
	v_mul_lo_u32 v14, v2, s31
	v_mul_lo_u32 v15, v3, s30
	v_mov_b32_e32 v19, v11
	v_mov_b32_e32 v18, v10
	s_lshl_b64 s[2:3], s[28:29], 2
	s_mov_b32 s5, 0
	v_mul_lo_u32 v16, s29, v8
	v_add3_u32 v14, v15, v9, v14
	v_mad_u64_u32 v[8:9], null, s28, v8, v[0:1]
	v_mul_lo_u32 v17, s28, v14
	v_lshlrev_b64 v[14:15], 2, v[6:7]
	v_add_co_u32 v6, s0, s12, v14
	v_add3_u32 v9, v16, v9, v17
	v_add_co_ci_u32_e64 v7, null, s13, v15, s0
	v_sub_co_u32 v16, s0, v8, v4
	v_sub_co_ci_u32_e64 v17, null, v9, v5, s0
	v_add_co_u32 v8, s0, s10, v14
	v_add_co_ci_u32_e64 v9, null, s11, v15, s0
	v_lshlrev_b64 v[16:17], 2, v[16:17]
	v_mov_b32_e32 v14, 0
	v_mov_b32_e32 v15, 0
	s_inst_prefetch 0x1
	s_branch .LBB1_44
	.p2align	6
.LBB1_43:                               ;   in Loop: Header=BB1_44 Depth=1
	s_or_b32 exec_lo, exec_lo, s1
	v_add_co_u32 v18, s0, v18, 1
	v_add_co_ci_u32_e64 v19, null, 0, v19, s0
	v_add_co_u32 v16, s1, v16, s2
	v_add_co_ci_u32_e64 v17, null, s3, v17, s1
	v_cmp_ge_i64_e64 s0, v[18:19], v[12:13]
	s_or_b32 s5, s0, s5
	s_andn2_b32 exec_lo, exec_lo, s5
	s_cbranch_execz .LBB1_48
.LBB1_44:                               ; =>This Inner Loop Header: Depth=1
	v_add_co_u32 v20, s0, s14, v16
	v_add_co_ci_u32_e64 v21, null, s15, v17, s0
	s_mov_b32 s1, exec_lo
	global_load_dword v20, v[20:21], off
	s_waitcnt vmcnt(0)
	v_cmp_u_f32_e64 s6, v20, v20
	v_cmpx_o_f32_e32 v20, v20
	s_cbranch_execz .LBB1_46
; %bb.45:                               ;   in Loop: Header=BB1_44 Depth=1
	global_load_dword v21, v[6:7], off
	s_andn2_b32 s6, s6, exec_lo
	s_waitcnt vmcnt(0)
	v_cmp_eq_f32_e64 s0, v20, v21
	s_and_b32 s0, s0, exec_lo
	s_or_b32 s6, s6, s0
.LBB1_46:                               ;   in Loop: Header=BB1_44 Depth=1
	s_or_b32 exec_lo, exec_lo, s1
	s_and_saveexec_b32 s1, s6
	s_cbranch_execz .LBB1_43
; %bb.47:                               ;   in Loop: Header=BB1_44 Depth=1
	global_load_dword v22, v[8:9], off
	v_add_co_u32 v20, s0, s8, v16
	v_add_co_ci_u32_e64 v21, null, s9, v17, s0
	v_add_co_u32 v14, s0, v14, 1
	v_add_co_ci_u32_e64 v15, null, 0, v15, s0
	s_waitcnt vmcnt(0)
	global_store_dword v[20:21], v22, off
	s_branch .LBB1_43
.LBB1_48:
	s_inst_prefetch 0x2
	s_or_b32 exec_lo, exec_lo, s5
.LBB1_49:
	s_or_b32 exec_lo, exec_lo, s4
	v_cmp_lt_i64_e64 s0, 1, v[14:15]
	s_xor_b32 s1, vcc_lo, -1
	s_and_b32 s0, s0, s1
	s_and_b32 exec_lo, exec_lo, s0
	s_cbranch_execz .LBB1_54
; %bb.50:
	v_mul_lo_u32 v6, v3, s30
	v_mul_lo_u32 v7, v2, s31
	v_mad_u64_u32 v[2:3], null, v2, s30, 0
	v_ffbh_u32_e32 v8, v15
	v_lshlrev_b64 v[0:1], 2, v[0:1]
	s_lshl_b64 s[2:3], s[28:29], 2
	s_mov_b32 s1, 0
	v_min_u32_e32 v16, 32, v8
	v_add3_u32 v3, v3, v7, v6
	v_lshlrev_b64 v[6:7], 2, v[10:11]
	v_lshlrev_b64 v[8:9], v16, v[14:15]
	;; [unrolled: 1-line block ×3, first 2 shown]
	v_add_co_u32 v2, vcc_lo, v2, v6
	v_add_co_ci_u32_e64 v3, null, v3, v7, vcc_lo
	v_min_u32_e32 v6, 1, v8
	v_mul_lo_u32 v8, s29, v2
	v_mad_u64_u32 v[0:1], null, s28, v2, v[0:1]
	v_mul_lo_u32 v7, s28, v3
	v_lshlrev_b64 v[2:3], 2, v[4:5]
	v_or_b32_e32 v6, v9, v6
	v_sub_nc_u32_e32 v5, 32, v16
	v_sub_co_u32 v0, vcc_lo, v0, v2
	v_add3_u32 v1, v8, v1, v7
	v_cvt_f32_u32_e32 v4, v6
	v_sub_co_ci_u32_e64 v1, null, v1, v3, vcc_lo
	v_add_co_u32 v0, vcc_lo, s8, v0
	v_ldexp_f32 v2, v4, v5
	v_add_co_ci_u32_e64 v1, null, s9, v1, vcc_lo
	s_inst_prefetch 0x1
	s_branch .LBB1_52
	.p2align	6
.LBB1_51:                               ;   in Loop: Header=BB1_52 Depth=1
	s_or_b32 exec_lo, exec_lo, s0
	v_add_co_u32 v10, vcc_lo, v10, 1
	v_add_co_ci_u32_e64 v11, null, 0, v11, vcc_lo
	v_add_co_u32 v0, s0, v0, s2
	v_add_co_ci_u32_e64 v1, null, s3, v1, s0
	v_cmp_ge_i64_e32 vcc_lo, v[10:11], v[12:13]
	s_or_b32 s1, vcc_lo, s1
	s_andn2_b32 exec_lo, exec_lo, s1
	s_cbranch_execz .LBB1_54
.LBB1_52:                               ; =>This Inner Loop Header: Depth=1
	global_load_dword v3, v[0:1], off
	s_mov_b32 s0, exec_lo
	s_waitcnt vmcnt(0)
	v_cmpx_lt_f32_e32 0, v3
	s_cbranch_execz .LBB1_51
; %bb.53:                               ;   in Loop: Header=BB1_52 Depth=1
	v_div_scale_f32 v4, null, v2, v2, v3
	v_rcp_f32_e32 v5, v4
	v_fma_f32 v6, -v4, v5, 1.0
	v_fmac_f32_e32 v5, v6, v5
	v_div_scale_f32 v6, vcc_lo, v3, v2, v3
	v_mul_f32_e32 v7, v6, v5
	v_fma_f32 v8, -v4, v7, v6
	v_fmac_f32_e32 v7, v8, v5
	v_fma_f32 v4, -v4, v7, v6
	v_div_fmas_f32 v4, v4, v5, v7
	v_div_fixup_f32 v3, v4, v2, v3
	global_store_dword v[0:1], v3, off
	s_branch .LBB1_51
.LBB1_54:
	s_inst_prefetch 0x2
	s_endpgm
	.section	.rodata,"a",@progbits
	.p2align	6, 0x0
	.amdhsa_kernel _ZN2at6native12_GLOBAL__N_130segment_reduce_backward_kernelIfiEEvNS0_13ReductionTypeEPT_PKS4_S7_S7_PKT0_SA_llS4_lllllll
		.amdhsa_group_segment_fixed_size 0
		.amdhsa_private_segment_fixed_size 0
		.amdhsa_kernarg_size 392
		.amdhsa_user_sgpr_count 6
		.amdhsa_user_sgpr_private_segment_buffer 1
		.amdhsa_user_sgpr_dispatch_ptr 0
		.amdhsa_user_sgpr_queue_ptr 0
		.amdhsa_user_sgpr_kernarg_segment_ptr 1
		.amdhsa_user_sgpr_dispatch_id 0
		.amdhsa_user_sgpr_flat_scratch_init 0
		.amdhsa_user_sgpr_private_segment_size 0
		.amdhsa_wavefront_size32 1
		.amdhsa_uses_dynamic_stack 0
		.amdhsa_system_sgpr_private_segment_wavefront_offset 0
		.amdhsa_system_sgpr_workgroup_id_x 1
		.amdhsa_system_sgpr_workgroup_id_y 0
		.amdhsa_system_sgpr_workgroup_id_z 0
		.amdhsa_system_sgpr_workgroup_info 0
		.amdhsa_system_vgpr_workitem_id 0
		.amdhsa_next_free_vgpr 32
		.amdhsa_next_free_sgpr 44
		.amdhsa_reserve_vcc 1
		.amdhsa_reserve_flat_scratch 0
		.amdhsa_float_round_mode_32 0
		.amdhsa_float_round_mode_16_64 0
		.amdhsa_float_denorm_mode_32 3
		.amdhsa_float_denorm_mode_16_64 3
		.amdhsa_dx10_clamp 1
		.amdhsa_ieee_mode 1
		.amdhsa_fp16_overflow 0
		.amdhsa_workgroup_processor_mode 1
		.amdhsa_memory_ordered 1
		.amdhsa_forward_progress 1
		.amdhsa_shared_vgpr_count 0
		.amdhsa_exception_fp_ieee_invalid_op 0
		.amdhsa_exception_fp_denorm_src 0
		.amdhsa_exception_fp_ieee_div_zero 0
		.amdhsa_exception_fp_ieee_overflow 0
		.amdhsa_exception_fp_ieee_underflow 0
		.amdhsa_exception_fp_ieee_inexact 0
		.amdhsa_exception_int_div_zero 0
	.end_amdhsa_kernel
	.section	.text._ZN2at6native12_GLOBAL__N_130segment_reduce_backward_kernelIfiEEvNS0_13ReductionTypeEPT_PKS4_S7_S7_PKT0_SA_llS4_lllllll,"axG",@progbits,_ZN2at6native12_GLOBAL__N_130segment_reduce_backward_kernelIfiEEvNS0_13ReductionTypeEPT_PKS4_S7_S7_PKT0_SA_llS4_lllllll,comdat
.Lfunc_end1:
	.size	_ZN2at6native12_GLOBAL__N_130segment_reduce_backward_kernelIfiEEvNS0_13ReductionTypeEPT_PKS4_S7_S7_PKT0_SA_llS4_lllllll, .Lfunc_end1-_ZN2at6native12_GLOBAL__N_130segment_reduce_backward_kernelIfiEEvNS0_13ReductionTypeEPT_PKS4_S7_S7_PKT0_SA_llS4_lllllll
                                        ; -- End function
	.set _ZN2at6native12_GLOBAL__N_130segment_reduce_backward_kernelIfiEEvNS0_13ReductionTypeEPT_PKS4_S7_S7_PKT0_SA_llS4_lllllll.num_vgpr, 32
	.set _ZN2at6native12_GLOBAL__N_130segment_reduce_backward_kernelIfiEEvNS0_13ReductionTypeEPT_PKS4_S7_S7_PKT0_SA_llS4_lllllll.num_agpr, 0
	.set _ZN2at6native12_GLOBAL__N_130segment_reduce_backward_kernelIfiEEvNS0_13ReductionTypeEPT_PKS4_S7_S7_PKT0_SA_llS4_lllllll.numbered_sgpr, 44
	.set _ZN2at6native12_GLOBAL__N_130segment_reduce_backward_kernelIfiEEvNS0_13ReductionTypeEPT_PKS4_S7_S7_PKT0_SA_llS4_lllllll.num_named_barrier, 0
	.set _ZN2at6native12_GLOBAL__N_130segment_reduce_backward_kernelIfiEEvNS0_13ReductionTypeEPT_PKS4_S7_S7_PKT0_SA_llS4_lllllll.private_seg_size, 0
	.set _ZN2at6native12_GLOBAL__N_130segment_reduce_backward_kernelIfiEEvNS0_13ReductionTypeEPT_PKS4_S7_S7_PKT0_SA_llS4_lllllll.uses_vcc, 1
	.set _ZN2at6native12_GLOBAL__N_130segment_reduce_backward_kernelIfiEEvNS0_13ReductionTypeEPT_PKS4_S7_S7_PKT0_SA_llS4_lllllll.uses_flat_scratch, 0
	.set _ZN2at6native12_GLOBAL__N_130segment_reduce_backward_kernelIfiEEvNS0_13ReductionTypeEPT_PKS4_S7_S7_PKT0_SA_llS4_lllllll.has_dyn_sized_stack, 0
	.set _ZN2at6native12_GLOBAL__N_130segment_reduce_backward_kernelIfiEEvNS0_13ReductionTypeEPT_PKS4_S7_S7_PKT0_SA_llS4_lllllll.has_recursion, 0
	.set _ZN2at6native12_GLOBAL__N_130segment_reduce_backward_kernelIfiEEvNS0_13ReductionTypeEPT_PKS4_S7_S7_PKT0_SA_llS4_lllllll.has_indirect_call, 0
	.section	.AMDGPU.csdata,"",@progbits
; Kernel info:
; codeLenInByte = 4328
; TotalNumSgprs: 46
; NumVgprs: 32
; ScratchSize: 0
; MemoryBound: 0
; FloatMode: 240
; IeeeMode: 1
; LDSByteSize: 0 bytes/workgroup (compile time only)
; SGPRBlocks: 0
; VGPRBlocks: 3
; NumSGPRsForWavesPerEU: 46
; NumVGPRsForWavesPerEU: 32
; Occupancy: 16
; WaveLimiterHint : 1
; COMPUTE_PGM_RSRC2:SCRATCH_EN: 0
; COMPUTE_PGM_RSRC2:USER_SGPR: 6
; COMPUTE_PGM_RSRC2:TRAP_HANDLER: 0
; COMPUTE_PGM_RSRC2:TGID_X_EN: 1
; COMPUTE_PGM_RSRC2:TGID_Y_EN: 0
; COMPUTE_PGM_RSRC2:TGID_Z_EN: 0
; COMPUTE_PGM_RSRC2:TIDIG_COMP_CNT: 0
	.section	.text._ZN2at6native12_GLOBAL__N_130segment_reduce_backward_kernelIN3c108BFloat16EiEEvNS0_13ReductionTypeEPT_PKS6_S9_S9_PKT0_SC_llS6_lllllll,"axG",@progbits,_ZN2at6native12_GLOBAL__N_130segment_reduce_backward_kernelIN3c108BFloat16EiEEvNS0_13ReductionTypeEPT_PKS6_S9_S9_PKT0_SC_llS6_lllllll,comdat
	.globl	_ZN2at6native12_GLOBAL__N_130segment_reduce_backward_kernelIN3c108BFloat16EiEEvNS0_13ReductionTypeEPT_PKS6_S9_S9_PKT0_SC_llS6_lllllll ; -- Begin function _ZN2at6native12_GLOBAL__N_130segment_reduce_backward_kernelIN3c108BFloat16EiEEvNS0_13ReductionTypeEPT_PKS6_S9_S9_PKT0_SC_llS6_lllllll
	.p2align	8
	.type	_ZN2at6native12_GLOBAL__N_130segment_reduce_backward_kernelIN3c108BFloat16EiEEvNS0_13ReductionTypeEPT_PKS6_S9_S9_PKT0_SC_llS6_lllllll,@function
_ZN2at6native12_GLOBAL__N_130segment_reduce_backward_kernelIN3c108BFloat16EiEEvNS0_13ReductionTypeEPT_PKS6_S9_S9_PKT0_SC_llS6_lllllll: ; @_ZN2at6native12_GLOBAL__N_130segment_reduce_backward_kernelIN3c108BFloat16EiEEvNS0_13ReductionTypeEPT_PKS6_S9_S9_PKT0_SC_llS6_lllllll
; %bb.0:
	s_clause 0x2
	s_load_dwordx16 s[8:23], s[4:5], 0x8
	s_load_dword s0, s[4:5], 0x94
	s_load_dwordx8 s[24:31], s[4:5], 0x50
	v_mov_b32_e32 v2, 0
	v_mov_b32_e32 v1, v2
	s_waitcnt lgkmcnt(0)
	s_and_b32 s0, s0, 0xffff
	s_mul_i32 s1, s24, s21
	s_mul_hi_u32 s2, s24, s20
	s_mul_i32 s3, s25, s20
	s_mul_i32 s7, s24, s20
	v_mad_u64_u32 v[0:1], null, s0, s6, v[0:1]
	s_add_i32 s0, s2, s1
	s_mul_i32 s1, s7, s27
	s_mul_hi_u32 s2, s7, s26
	s_add_i32 s0, s0, s3
	s_add_i32 s1, s2, s1
	s_mul_i32 s0, s0, s26
	s_add_i32 s1, s1, s0
	s_mul_i32 s0, s7, s26
	v_cmp_gt_i64_e32 vcc_lo, s[0:1], v[0:1]
	s_and_saveexec_b32 s0, vcc_lo
	s_cbranch_execz .LBB2_75
; %bb.1:
	v_or_b32_e32 v3, s27, v1
	v_cmp_ne_u64_e32 vcc_lo, 0, v[2:3]
                                        ; implicit-def: $vgpr2_vgpr3
	s_and_saveexec_b32 s0, vcc_lo
	s_xor_b32 s1, exec_lo, s0
	s_cbranch_execz .LBB2_3
; %bb.2:
	s_ashr_i32 s2, s27, 31
	v_ashrrev_i32_e32 v8, 31, v1
	s_add_u32 s6, s26, s2
	s_mov_b32 s3, s2
	s_addc_u32 s7, s27, s2
	s_xor_b64 s[6:7], s[6:7], s[2:3]
	v_add_co_u32 v4, vcc_lo, v0, v8
	v_cvt_f32_u32_e32 v2, s6
	v_cvt_f32_u32_e32 v3, s7
	s_sub_u32 s24, 0, s6
	s_subb_u32 s25, 0, s7
	v_add_co_ci_u32_e64 v5, null, v1, v8, vcc_lo
	v_fmamk_f32 v2, v3, 0x4f800000, v2
	v_xor_b32_e32 v9, v4, v8
	v_xor_b32_e32 v10, v5, v8
	v_rcp_f32_e32 v2, v2
	v_mul_f32_e32 v2, 0x5f7ffffc, v2
	v_mul_f32_e32 v3, 0x2f800000, v2
	v_trunc_f32_e32 v3, v3
	v_fmamk_f32 v2, v3, 0xcf800000, v2
	v_cvt_u32_f32_e32 v3, v3
	v_cvt_u32_f32_e32 v2, v2
	v_readfirstlane_b32 s0, v3
	v_readfirstlane_b32 s3, v2
	s_mul_i32 s33, s24, s0
	s_mul_hi_u32 s35, s24, s3
	s_mul_i32 s34, s25, s3
	s_add_i32 s33, s35, s33
	s_mul_i32 s36, s24, s3
	s_add_i32 s33, s33, s34
	s_mul_hi_u32 s35, s3, s36
	s_mul_i32 s38, s3, s33
	s_mul_hi_u32 s37, s0, s36
	s_mul_i32 s34, s0, s36
	s_mul_hi_u32 s36, s3, s33
	s_add_u32 s35, s35, s38
	s_addc_u32 s36, 0, s36
	s_mul_hi_u32 s39, s0, s33
	s_add_u32 s34, s35, s34
	s_mul_i32 s33, s0, s33
	s_addc_u32 s34, s36, s37
	s_addc_u32 s35, s39, 0
	s_add_u32 s33, s34, s33
	s_addc_u32 s34, 0, s35
	s_add_u32 s3, s3, s33
	s_cselect_b32 s33, -1, 0
	s_mul_hi_u32 s35, s24, s3
	s_cmp_lg_u32 s33, 0
	s_mul_i32 s33, s24, s3
	s_addc_u32 s0, s0, s34
	s_mul_i32 s25, s25, s3
	s_mul_i32 s24, s24, s0
	s_mul_hi_u32 s34, s3, s33
	s_add_i32 s24, s35, s24
	s_mul_hi_u32 s35, s0, s33
	s_add_i32 s24, s24, s25
	s_mul_i32 s25, s0, s33
	s_mul_i32 s37, s3, s24
	s_mul_hi_u32 s36, s3, s24
	s_add_u32 s34, s34, s37
	s_addc_u32 s36, 0, s36
	s_mul_hi_u32 s33, s0, s24
	s_add_u32 s25, s34, s25
	s_mul_i32 s24, s0, s24
	s_addc_u32 s25, s36, s35
	s_addc_u32 s33, s33, 0
	s_add_u32 s24, s25, s24
	s_addc_u32 s25, 0, s33
	s_add_u32 s3, s3, s24
	s_cselect_b32 s24, -1, 0
	v_mul_hi_u32 v11, v9, s3
	s_cmp_lg_u32 s24, 0
	v_mad_u64_u32 v[4:5], null, v10, s3, 0
	s_addc_u32 s0, s0, s25
	v_mad_u64_u32 v[2:3], null, v9, s0, 0
	v_mad_u64_u32 v[6:7], null, v10, s0, 0
	v_add_co_u32 v2, vcc_lo, v11, v2
	v_add_co_ci_u32_e64 v3, null, 0, v3, vcc_lo
	v_add_co_u32 v2, vcc_lo, v2, v4
	v_add_co_ci_u32_e32 v2, vcc_lo, v3, v5, vcc_lo
	v_add_co_ci_u32_e32 v3, vcc_lo, 0, v7, vcc_lo
	v_add_co_u32 v4, vcc_lo, v2, v6
	v_add_co_ci_u32_e64 v5, null, 0, v3, vcc_lo
	v_mul_lo_u32 v6, s7, v4
	v_mad_u64_u32 v[2:3], null, s6, v4, 0
	v_mul_lo_u32 v7, s6, v5
	v_sub_co_u32 v2, vcc_lo, v9, v2
	v_add3_u32 v3, v3, v7, v6
	v_add_co_u32 v7, s0, v4, 2
	v_add_co_ci_u32_e64 v9, null, 0, v5, s0
	v_sub_nc_u32_e32 v6, v10, v3
	v_sub_co_u32 v11, s0, v2, s6
	v_sub_co_ci_u32_e64 v3, null, v10, v3, vcc_lo
	v_subrev_co_ci_u32_e64 v6, null, s7, v6, vcc_lo
	v_cmp_le_u32_e32 vcc_lo, s6, v11
	v_subrev_co_ci_u32_e64 v6, null, 0, v6, s0
	v_cndmask_b32_e64 v10, 0, -1, vcc_lo
	v_cmp_le_u32_e32 vcc_lo, s7, v6
	v_cndmask_b32_e64 v11, 0, -1, vcc_lo
	v_cmp_le_u32_e32 vcc_lo, s6, v2
	;; [unrolled: 2-line block ×3, first 2 shown]
	v_cndmask_b32_e64 v12, 0, -1, vcc_lo
	v_cmp_eq_u32_e32 vcc_lo, s7, v6
	v_cndmask_b32_e32 v6, v11, v10, vcc_lo
	v_add_co_u32 v10, vcc_lo, v4, 1
	v_add_co_ci_u32_e64 v11, null, 0, v5, vcc_lo
	v_cmp_eq_u32_e32 vcc_lo, s7, v3
	v_cndmask_b32_e32 v2, v12, v2, vcc_lo
	v_cmp_ne_u32_e32 vcc_lo, 0, v6
	v_xor_b32_e32 v6, s2, v8
	v_cmp_ne_u32_e64 s0, 0, v2
	v_cndmask_b32_e32 v2, v10, v7, vcc_lo
	v_cndmask_b32_e32 v3, v11, v9, vcc_lo
	v_cndmask_b32_e64 v2, v4, v2, s0
	v_cndmask_b32_e64 v3, v5, v3, s0
	v_xor_b32_e32 v2, v2, v6
	v_xor_b32_e32 v3, v3, v6
	v_sub_co_u32 v2, vcc_lo, v2, v6
	v_sub_co_ci_u32_e64 v3, null, v3, v6, vcc_lo
.LBB2_3:
	s_andn2_saveexec_b32 s0, s1
	s_cbranch_execz .LBB2_5
; %bb.4:
	v_cvt_f32_u32_e32 v2, s26
	s_sub_i32 s1, 0, s26
	v_rcp_iflag_f32_e32 v2, v2
	v_mul_f32_e32 v2, 0x4f7ffffe, v2
	v_cvt_u32_f32_e32 v2, v2
	v_mul_lo_u32 v3, s1, v2
	v_mul_hi_u32 v3, v2, v3
	v_add_nc_u32_e32 v2, v2, v3
	v_mul_hi_u32 v2, v0, v2
	v_mul_lo_u32 v3, v2, s26
	v_add_nc_u32_e32 v4, 1, v2
	v_sub_nc_u32_e32 v3, v0, v3
	v_subrev_nc_u32_e32 v5, s26, v3
	v_cmp_le_u32_e32 vcc_lo, s26, v3
	v_cndmask_b32_e32 v3, v3, v5, vcc_lo
	v_cndmask_b32_e32 v2, v2, v4, vcc_lo
	v_cmp_le_u32_e32 vcc_lo, s26, v3
	v_add_nc_u32_e32 v4, 1, v2
	v_mov_b32_e32 v3, 0
	v_cndmask_b32_e32 v2, v2, v4, vcc_lo
.LBB2_5:
	s_or_b32 exec_lo, exec_lo, s0
	v_or_b32_e32 v5, s21, v3
	v_mov_b32_e32 v4, 0
	v_cmp_ne_u64_e32 vcc_lo, 0, v[4:5]
                                        ; implicit-def: $vgpr4_vgpr5
	s_and_saveexec_b32 s0, vcc_lo
	s_xor_b32 s1, exec_lo, s0
	s_cbranch_execz .LBB2_7
; %bb.6:
	s_ashr_i32 s2, s21, 31
	v_ashrrev_i32_e32 v10, 31, v3
	s_add_u32 s6, s20, s2
	s_mov_b32 s3, s2
	s_addc_u32 s7, s21, s2
	s_xor_b64 s[6:7], s[6:7], s[2:3]
	v_add_co_u32 v6, vcc_lo, v2, v10
	v_cvt_f32_u32_e32 v4, s6
	v_cvt_f32_u32_e32 v5, s7
	s_sub_u32 s24, 0, s6
	s_subb_u32 s25, 0, s7
	v_add_co_ci_u32_e64 v7, null, v3, v10, vcc_lo
	v_fmamk_f32 v4, v5, 0x4f800000, v4
	v_xor_b32_e32 v11, v6, v10
	v_xor_b32_e32 v12, v7, v10
	v_rcp_f32_e32 v4, v4
	v_mul_f32_e32 v4, 0x5f7ffffc, v4
	v_mul_f32_e32 v5, 0x2f800000, v4
	v_trunc_f32_e32 v5, v5
	v_fmamk_f32 v4, v5, 0xcf800000, v4
	v_cvt_u32_f32_e32 v5, v5
	v_cvt_u32_f32_e32 v4, v4
	v_readfirstlane_b32 s0, v5
	v_readfirstlane_b32 s3, v4
	s_mul_i32 s33, s24, s0
	s_mul_hi_u32 s35, s24, s3
	s_mul_i32 s34, s25, s3
	s_add_i32 s33, s35, s33
	s_mul_i32 s36, s24, s3
	s_add_i32 s33, s33, s34
	s_mul_hi_u32 s35, s3, s36
	s_mul_i32 s38, s3, s33
	s_mul_hi_u32 s37, s0, s36
	s_mul_i32 s34, s0, s36
	s_mul_hi_u32 s36, s3, s33
	s_add_u32 s35, s35, s38
	s_addc_u32 s36, 0, s36
	s_mul_hi_u32 s39, s0, s33
	s_add_u32 s34, s35, s34
	s_mul_i32 s33, s0, s33
	s_addc_u32 s34, s36, s37
	s_addc_u32 s35, s39, 0
	s_add_u32 s33, s34, s33
	s_addc_u32 s34, 0, s35
	s_add_u32 s3, s3, s33
	s_cselect_b32 s33, -1, 0
	s_mul_hi_u32 s35, s24, s3
	s_cmp_lg_u32 s33, 0
	s_mul_i32 s33, s24, s3
	s_addc_u32 s0, s0, s34
	s_mul_i32 s25, s25, s3
	s_mul_i32 s24, s24, s0
	s_mul_hi_u32 s34, s3, s33
	s_add_i32 s24, s35, s24
	s_mul_hi_u32 s35, s0, s33
	s_add_i32 s24, s24, s25
	s_mul_i32 s25, s0, s33
	s_mul_i32 s37, s3, s24
	s_mul_hi_u32 s36, s3, s24
	s_add_u32 s34, s34, s37
	s_addc_u32 s36, 0, s36
	s_mul_hi_u32 s33, s0, s24
	s_add_u32 s25, s34, s25
	s_mul_i32 s24, s0, s24
	s_addc_u32 s25, s36, s35
	s_addc_u32 s33, s33, 0
	s_add_u32 s24, s25, s24
	s_addc_u32 s25, 0, s33
	s_add_u32 s3, s3, s24
	s_cselect_b32 s24, -1, 0
	v_mul_hi_u32 v13, v11, s3
	s_cmp_lg_u32 s24, 0
	v_mad_u64_u32 v[6:7], null, v12, s3, 0
	s_addc_u32 s0, s0, s25
	v_mad_u64_u32 v[4:5], null, v11, s0, 0
	v_mad_u64_u32 v[8:9], null, v12, s0, 0
	v_add_co_u32 v4, vcc_lo, v13, v4
	v_add_co_ci_u32_e64 v5, null, 0, v5, vcc_lo
	v_add_co_u32 v4, vcc_lo, v4, v6
	v_add_co_ci_u32_e32 v4, vcc_lo, v5, v7, vcc_lo
	v_add_co_ci_u32_e32 v5, vcc_lo, 0, v9, vcc_lo
	v_add_co_u32 v6, vcc_lo, v4, v8
	v_add_co_ci_u32_e64 v7, null, 0, v5, vcc_lo
	v_mul_lo_u32 v8, s7, v6
	v_mad_u64_u32 v[4:5], null, s6, v6, 0
	v_mul_lo_u32 v9, s6, v7
	v_sub_co_u32 v4, vcc_lo, v11, v4
	v_add3_u32 v5, v5, v9, v8
	v_add_co_u32 v9, s0, v6, 2
	v_add_co_ci_u32_e64 v11, null, 0, v7, s0
	v_sub_nc_u32_e32 v8, v12, v5
	v_sub_co_u32 v13, s0, v4, s6
	v_sub_co_ci_u32_e64 v5, null, v12, v5, vcc_lo
	v_subrev_co_ci_u32_e64 v8, null, s7, v8, vcc_lo
	v_cmp_le_u32_e32 vcc_lo, s6, v13
	v_subrev_co_ci_u32_e64 v8, null, 0, v8, s0
	v_cndmask_b32_e64 v12, 0, -1, vcc_lo
	v_cmp_le_u32_e32 vcc_lo, s7, v8
	v_cndmask_b32_e64 v13, 0, -1, vcc_lo
	v_cmp_le_u32_e32 vcc_lo, s6, v4
	;; [unrolled: 2-line block ×3, first 2 shown]
	v_cndmask_b32_e64 v14, 0, -1, vcc_lo
	v_cmp_eq_u32_e32 vcc_lo, s7, v8
	v_cndmask_b32_e32 v8, v13, v12, vcc_lo
	v_add_co_u32 v12, vcc_lo, v6, 1
	v_add_co_ci_u32_e64 v13, null, 0, v7, vcc_lo
	v_cmp_eq_u32_e32 vcc_lo, s7, v5
	v_cndmask_b32_e32 v4, v14, v4, vcc_lo
	v_cmp_ne_u32_e32 vcc_lo, 0, v8
	v_xor_b32_e32 v8, s2, v10
	v_cmp_ne_u32_e64 s0, 0, v4
	v_cndmask_b32_e32 v4, v12, v9, vcc_lo
	v_cndmask_b32_e32 v5, v13, v11, vcc_lo
	v_cndmask_b32_e64 v4, v6, v4, s0
	v_cndmask_b32_e64 v5, v7, v5, s0
	v_xor_b32_e32 v4, v4, v8
	v_xor_b32_e32 v5, v5, v8
	v_sub_co_u32 v4, vcc_lo, v4, v8
	v_sub_co_ci_u32_e64 v5, null, v5, v8, vcc_lo
.LBB2_7:
	s_andn2_saveexec_b32 s0, s1
	s_cbranch_execz .LBB2_9
; %bb.8:
	v_cvt_f32_u32_e32 v4, s20
	s_sub_i32 s1, 0, s20
	v_rcp_iflag_f32_e32 v4, v4
	v_mul_f32_e32 v4, 0x4f7ffffe, v4
	v_cvt_u32_f32_e32 v4, v4
	v_mul_lo_u32 v5, s1, v4
	v_mul_hi_u32 v5, v4, v5
	v_add_nc_u32_e32 v4, v4, v5
	v_mul_hi_u32 v4, v2, v4
	v_mul_lo_u32 v5, v4, s20
	v_add_nc_u32_e32 v6, 1, v4
	v_sub_nc_u32_e32 v5, v2, v5
	v_subrev_nc_u32_e32 v7, s20, v5
	v_cmp_le_u32_e32 vcc_lo, s20, v5
	v_cndmask_b32_e32 v5, v5, v7, vcc_lo
	v_cndmask_b32_e32 v4, v4, v6, vcc_lo
	v_cmp_le_u32_e32 vcc_lo, s20, v5
	v_add_nc_u32_e32 v6, 1, v4
	v_mov_b32_e32 v5, 0
	v_cndmask_b32_e32 v4, v4, v6, vcc_lo
.LBB2_9:
	s_or_b32 exec_lo, exec_lo, s0
	v_mul_lo_u32 v8, v5, s20
	v_mul_lo_u32 v9, v4, s21
	v_mad_u64_u32 v[6:7], null, v4, s20, 0
	v_add3_u32 v7, v7, v9, v8
	v_mul_lo_u32 v10, v6, s23
	v_mad_u64_u32 v[8:9], null, v6, s22, 0
	v_sub_co_u32 v6, vcc_lo, v2, v6
	v_mul_lo_u32 v11, v7, s22
	v_sub_co_ci_u32_e64 v7, null, v3, v7, vcc_lo
	v_add3_u32 v9, v9, v10, v11
	v_lshlrev_b64 v[10:11], 2, v[8:9]
	v_lshlrev_b64 v[8:9], 2, v[6:7]
	v_add_co_u32 v10, vcc_lo, s16, v10
	v_add_co_ci_u32_e64 v11, null, s17, v11, vcc_lo
	v_add_co_u32 v10, vcc_lo, v10, v8
	v_add_co_ci_u32_e64 v11, null, v11, v9, vcc_lo
	global_load_dword v30, v[10:11], off
	s_waitcnt vmcnt(0)
	v_cmp_ne_u32_e32 vcc_lo, 0, v30
	s_and_b32 exec_lo, exec_lo, vcc_lo
	s_cbranch_execz .LBB2_75
; %bb.10:
	s_load_dwordx8 s[36:43], s[4:5], 0x70
	s_add_u32 s0, s20, 1
	s_addc_u32 s1, s21, 0
	s_waitcnt lgkmcnt(0)
	s_mul_i32 s1, s40, s1
	s_mul_hi_u32 s2, s40, s0
	s_mul_i32 s3, s41, s0
	s_add_i32 s1, s2, s1
	s_mul_i32 s0, s40, s0
	s_add_i32 s1, s1, s3
	v_mul_lo_u32 v12, s0, v5
	v_mad_u64_u32 v[10:11], null, s0, v4, 0
	v_mul_lo_u32 v13, s1, v4
	v_mul_lo_u32 v14, v4, s39
	;; [unrolled: 1-line block ×3, first 2 shown]
	s_load_dword s1, s[4:5], 0x0
	v_add3_u32 v11, v11, v12, v13
	v_mad_u64_u32 v[12:13], null, v4, s38, v[6:7]
	v_lshlrev_b64 v[10:11], 2, v[10:11]
	v_add3_u32 v13, v15, v13, v14
	v_add_co_u32 v10, vcc_lo, s18, v10
	v_add_co_ci_u32_e64 v11, null, s19, v11, vcc_lo
	v_mul_lo_u32 v13, v13, s36
	v_add_co_u32 v8, vcc_lo, v10, v8
	v_add_co_ci_u32_e64 v9, null, v11, v9, vcc_lo
	s_waitcnt lgkmcnt(0)
	s_and_b32 s0, s1, -3
	s_cmp_lg_u32 s0, 0
	global_load_dwordx2 v[10:11], v[8:9], off
	v_mul_lo_u32 v8, v3, s26
	v_mul_lo_u32 v9, v2, s27
	v_mad_u64_u32 v[2:3], null, v2, s26, 0
	v_add3_u32 v3, v3, v9, v8
	v_sub_co_u32 v6, vcc_lo, v0, v2
	v_sub_co_ci_u32_e64 v7, null, v1, v3, vcc_lo
	v_mad_u64_u32 v[8:9], null, v12, s36, v[6:7]
	v_mul_lo_u32 v12, v12, s37
	v_add3_u32 v9, v13, v9, v12
	s_cbranch_scc0 .LBB2_25
; %bb.11:
	s_cmp_lt_i32 s1, 3
	s_mov_b32 s0, -1
	s_cbranch_scc1 .LBB2_39
; %bb.12:
	s_cmp_lt_i32 s1, 4
	s_cbranch_scc1 .LBB2_28
; %bb.13:
	s_cmp_eq_u32 s1, 4
	s_cbranch_scc0 .LBB2_27
; %bb.14:
	s_mov_b32 s16, exec_lo
	s_waitcnt vmcnt(0)
	v_cmpx_lt_i32_e64 v10, v11
	s_cbranch_execz .LBB2_26
; %bb.15:
	v_lshlrev_b64 v[12:13], 1, v[8:9]
	v_mul_lo_u32 v19, s31, v4
	v_mul_lo_u32 v20, s30, v5
	v_mad_u64_u32 v[17:18], null, s30, v4, 0
	v_lshlrev_b64 v[23:24], 1, v[0:1]
	v_add_co_u32 v14, vcc_lo, s12, v12
	v_add_co_ci_u32_e64 v15, null, s13, v13, vcc_lo
	v_add_co_u32 v12, vcc_lo, s10, v12
	v_add_co_ci_u32_e64 v13, null, s11, v13, vcc_lo
	global_load_ushort v16, v[14:15], off
	global_load_ushort v25, v[12:13], off
	v_ashrrev_i32_e32 v15, 31, v10
	v_mov_b32_e32 v14, v10
	v_add3_u32 v18, v18, v20, v19
	s_load_dword s17, s[4:5], 0x48
	v_mul_lo_u32 v26, v17, s29
	v_mov_b32_e32 v31, 0x7fc0
	v_lshlrev_b64 v[19:20], 1, v[14:15]
	v_lshlrev_b64 v[21:22], 1, v[17:18]
	s_lshl_b64 s[2:3], s[28:29], 1
	s_mov_b64 s[4:5], 0
	s_mov_b32 s18, 0
	v_add_co_u32 v19, vcc_lo, v21, v19
	v_add_co_ci_u32_e64 v20, null, v22, v20, vcc_lo
	v_mul_lo_u32 v28, s29, v19
	v_mul_lo_u32 v27, s28, v20
	s_waitcnt vmcnt(1)
	v_lshlrev_b32_e32 v21, 16, v16
	s_waitcnt vmcnt(0)
	v_lshlrev_b32_e32 v22, 16, v25
	v_mad_u64_u32 v[16:17], null, v17, s28, v[6:7]
	v_mul_lo_u32 v25, v18, s28
	v_mov_b32_e32 v18, v11
	v_mul_f32_e32 v29, v22, v21
	v_mad_u64_u32 v[20:21], null, s28, v19, v[23:24]
	v_lshlrev_b64 v[22:23], 1, v[2:3]
	v_ashrrev_i32_e32 v19, 31, v11
	v_bfe_u32 v24, v29, 16, 1
	v_add3_u32 v17, v25, v17, v26
	v_add3_u32 v21, v28, v21, v27
	v_sub_co_u32 v20, vcc_lo, v20, v22
	v_add3_u32 v24, v29, v24, 0x7fff
	v_sub_co_ci_u32_e64 v21, null, v21, v23, vcc_lo
	v_add_co_u32 v20, vcc_lo, s14, v20
	v_and_b32_e32 v22, 0xffff0000, v24
	v_add_co_ci_u32_e64 v21, null, s15, v21, vcc_lo
	v_cmp_o_f32_e32 vcc_lo, v29, v29
	v_cndmask_b32_e32 v32, 0x7fc00000, v22, vcc_lo
	v_mov_b32_e32 v23, v15
	v_mov_b32_e32 v22, v14
	s_branch .LBB2_18
.LBB2_16:                               ;   in Loop: Header=BB2_18 Depth=1
	s_inst_prefetch 0x2
	s_or_b32 exec_lo, exec_lo, s20
	global_load_ushort v26, v[12:13], off
	v_lshlrev_b32_e32 v27, 16, v33
	s_waitcnt vmcnt(0)
	v_lshlrev_b32_e32 v26, 16, v26
	v_mul_f32_e32 v26, v27, v26
.LBB2_17:                               ;   in Loop: Header=BB2_18 Depth=1
	s_or_b32 exec_lo, exec_lo, s19
	v_bfe_u32 v27, v26, 16, 1
	v_add_co_u32 v22, vcc_lo, v22, 1
	v_add_co_ci_u32_e64 v23, null, 0, v23, vcc_lo
	v_cmp_o_f32_e32 vcc_lo, v26, v26
	v_add3_u32 v26, v26, v27, 0x7fff
	s_add_u32 s4, s4, 1
	v_cmp_ge_i64_e64 s0, v[22:23], v[18:19]
	s_addc_u32 s5, s5, 0
	v_cndmask_b32_sdwa v26, v31, v26, vcc_lo dst_sel:DWORD dst_unused:UNUSED_PAD src0_sel:DWORD src1_sel:WORD_1
	v_add_co_u32 v24, vcc_lo, s8, v24
	v_add_co_ci_u32_e64 v25, null, s9, v25, vcc_lo
	s_or_b32 s18, s0, s18
	global_store_short v[24:25], v26, off
	s_andn2_b32 exec_lo, exec_lo, s18
	s_cbranch_execz .LBB2_26
.LBB2_18:                               ; =>This Loop Header: Depth=1
                                        ;     Child Loop BB2_23 Depth 2
	v_mad_u64_u32 v[24:25], null, v22, s28, v[16:17]
	v_mul_lo_u32 v26, v22, s29
	v_mul_lo_u32 v27, v23, s28
	s_mov_b32 s0, exec_lo
	v_add3_u32 v25, v27, v25, v26
	v_lshlrev_b64 v[24:25], 1, v[24:25]
	v_add_co_u32 v26, vcc_lo, s14, v24
	v_add_co_ci_u32_e64 v27, null, s15, v25, vcc_lo
	global_load_ushort v26, v[26:27], off
	s_waitcnt vmcnt(0)
	v_lshlrev_b32_e32 v27, 16, v26
                                        ; implicit-def: $vgpr26
	v_cmpx_lg_f32_e32 0, v27
	s_xor_b32 s0, exec_lo, s0
	s_cbranch_execz .LBB2_20
; %bb.19:                               ;   in Loop: Header=BB2_18 Depth=1
	v_div_scale_f32 v26, null, v27, v27, v32
	v_rcp_f32_e32 v28, v26
	v_fma_f32 v29, -v26, v28, 1.0
	v_fmac_f32_e32 v28, v29, v28
	v_div_scale_f32 v29, vcc_lo, v32, v27, v32
	v_mul_f32_e32 v33, v29, v28
	v_fma_f32 v34, -v26, v33, v29
	v_fmac_f32_e32 v33, v34, v28
	v_fma_f32 v26, -v26, v33, v29
	v_div_fmas_f32 v26, v26, v28, v33
	v_div_fixup_f32 v26, v26, v27, v32
.LBB2_20:                               ;   in Loop: Header=BB2_18 Depth=1
	s_andn2_saveexec_b32 s19, s0
	s_cbranch_execz .LBB2_17
; %bb.21:                               ;   in Loop: Header=BB2_18 Depth=1
	v_mov_b32_e32 v27, v21
	v_mov_b32_e32 v29, v15
	s_waitcnt lgkmcnt(0)
	v_mov_b32_e32 v33, s17
	v_mov_b32_e32 v26, v20
	;; [unrolled: 1-line block ×3, first 2 shown]
	s_mov_b32 s20, 0
	s_mov_b64 s[6:7], s[4:5]
	s_inst_prefetch 0x1
	s_branch .LBB2_23
	.p2align	6
.LBB2_22:                               ;   in Loop: Header=BB2_23 Depth=2
	v_add_co_u32 v28, vcc_lo, v28, 1
	v_add_co_ci_u32_e64 v29, null, 0, v29, vcc_lo
	v_add_co_u32 v26, s0, v26, s2
	v_add_co_ci_u32_e64 v27, null, s3, v27, s0
	v_cmp_ge_i64_e32 vcc_lo, v[28:29], v[18:19]
	s_add_u32 s6, s6, -1
	s_addc_u32 s7, s7, -1
	s_or_b32 s20, vcc_lo, s20
	s_andn2_b32 exec_lo, exec_lo, s20
	s_cbranch_execz .LBB2_16
.LBB2_23:                               ;   Parent Loop BB2_18 Depth=1
                                        ; =>  This Inner Loop Header: Depth=2
	s_cmp_eq_u64 s[6:7], 0
	s_cbranch_scc1 .LBB2_22
; %bb.24:                               ;   in Loop: Header=BB2_23 Depth=2
	global_load_ushort v34, v[26:27], off
	v_lshlrev_b32_e32 v33, 16, v33
	s_waitcnt vmcnt(0)
	v_lshlrev_b32_e32 v34, 16, v34
	v_mul_f32_e32 v33, v33, v34
	v_bfe_u32 v34, v33, 16, 1
	v_cmp_o_f32_e32 vcc_lo, v33, v33
	v_add3_u32 v33, v33, v34, 0x7fff
	v_cndmask_b32_sdwa v33, v31, v33, vcc_lo dst_sel:DWORD dst_unused:UNUSED_PAD src0_sel:DWORD src1_sel:WORD_1
	s_branch .LBB2_22
.LBB2_25:
	s_cbranch_execnz .LBB2_51
	s_branch .LBB2_75
.LBB2_26:
	s_or_b32 exec_lo, exec_lo, s16
.LBB2_27:
	s_mov_b32 s0, 0
.LBB2_28:
	s_andn2_b32 vcc_lo, exec_lo, s0
	s_cbranch_vccnz .LBB2_38
; %bb.29:
	s_mov_b32 s4, exec_lo
	s_waitcnt vmcnt(0)
	v_cmpx_lt_i32_e64 v10, v11
	s_cbranch_execz .LBB2_37
; %bb.30:
	v_lshlrev_b64 v[12:13], 1, v[8:9]
	v_ashrrev_i32_e32 v15, 31, v10
	v_mul_lo_u32 v20, s31, v4
	v_mul_lo_u32 v21, s30, v5
	v_mad_u64_u32 v[16:17], null, s30, v4, 0
	v_add_co_u32 v12, vcc_lo, s10, v12
	v_add_co_ci_u32_e64 v13, null, s11, v13, vcc_lo
	v_sub_co_u32 v18, vcc_lo, v11, v10
	s_cmp_eq_u64 s[28:29], 1
	global_load_ushort v26, v[12:13], off
	v_ashrrev_i32_e32 v13, 31, v11
	v_mov_b32_e32 v12, v11
	v_mov_b32_e32 v14, v10
	v_add3_u32 v17, v17, v21, v20
	s_cselect_b32 s0, -1, 0
	v_sub_co_ci_u32_e64 v19, null, v13, v15, vcc_lo
	v_cmp_lt_u64_e32 vcc_lo, 1, v[18:19]
	s_and_b32 s3, vcc_lo, s0
	s_mov_b32 s0, -1
	s_and_saveexec_b32 s2, s3
	s_cbranch_execz .LBB2_34
; %bb.31:
	v_mul_lo_u32 v22, v17, s28
	v_mul_lo_u32 v23, v16, s29
	v_mad_u64_u32 v[20:21], null, v16, s28, 0
	v_lshlrev_b64 v[24:25], 1, v[6:7]
	s_mov_b32 s3, 0
	v_add3_u32 v21, v21, v23, v22
	v_lshlrev_b64 v[22:23], 1, v[20:21]
	v_mov_b32_e32 v21, v19
	v_and_b32_e32 v20, -2, v18
	v_add_co_u32 v27, vcc_lo, s8, v22
	v_add_co_ci_u32_e64 v28, null, s9, v23, vcc_lo
	v_lshlrev_b64 v[22:23], 1, v[14:15]
	v_add_co_u32 v24, vcc_lo, v27, v24
	v_add_co_ci_u32_e64 v25, null, v28, v25, vcc_lo
	s_waitcnt vmcnt(0)
	v_perm_b32 v27, v26, v26, 0x5040100
	v_add_co_u32 v22, vcc_lo, v24, v22
	v_add_co_ci_u32_e64 v23, null, v25, v23, vcc_lo
	v_mov_b32_e32 v25, v21
	v_mov_b32_e32 v24, v20
.LBB2_32:                               ; =>This Inner Loop Header: Depth=1
	v_add_co_u32 v24, vcc_lo, v24, -2
	v_add_co_ci_u32_e64 v25, null, -1, v25, vcc_lo
	global_store_dword v[22:23], v27, off
	v_add_co_u32 v22, s0, v22, 4
	v_cmp_eq_u64_e32 vcc_lo, 0, v[24:25]
	v_add_co_ci_u32_e64 v23, null, 0, v23, s0
	s_or_b32 s3, vcc_lo, s3
	s_andn2_b32 exec_lo, exec_lo, s3
	s_cbranch_execnz .LBB2_32
; %bb.33:
	s_or_b32 exec_lo, exec_lo, s3
	v_cmp_ne_u64_e32 vcc_lo, v[18:19], v[20:21]
	v_add_co_u32 v14, s0, v20, v14
	v_add_co_ci_u32_e64 v15, null, v21, v15, s0
	s_orn2_b32 s0, vcc_lo, exec_lo
.LBB2_34:
	s_or_b32 exec_lo, exec_lo, s2
	s_and_b32 exec_lo, exec_lo, s0
	s_cbranch_execz .LBB2_37
; %bb.35:
	v_lshlrev_b64 v[16:17], 1, v[16:17]
	v_lshlrev_b64 v[18:19], 1, v[14:15]
	s_lshl_b64 s[2:3], s[28:29], 1
	s_mov_b32 s5, 0
	v_add_co_u32 v18, vcc_lo, v16, v18
	v_add_co_ci_u32_e64 v19, null, v17, v19, vcc_lo
	v_lshlrev_b64 v[16:17], 1, v[0:1]
	v_mul_lo_u32 v21, s29, v18
	v_mul_lo_u32 v20, s28, v19
	v_mad_u64_u32 v[16:17], null, s28, v18, v[16:17]
	v_lshlrev_b64 v[18:19], 1, v[2:3]
	v_add3_u32 v17, v21, v17, v20
	v_sub_co_u32 v16, vcc_lo, v16, v18
	v_sub_co_ci_u32_e64 v17, null, v17, v19, vcc_lo
	v_add_co_u32 v16, vcc_lo, s8, v16
	v_add_co_ci_u32_e64 v17, null, s9, v17, vcc_lo
.LBB2_36:                               ; =>This Inner Loop Header: Depth=1
	v_add_co_u32 v14, vcc_lo, v14, 1
	v_add_co_ci_u32_e64 v15, null, 0, v15, vcc_lo
	s_waitcnt vmcnt(0)
	global_store_short v[16:17], v26, off
	v_add_co_u32 v16, s0, v16, s2
	v_cmp_ge_i64_e32 vcc_lo, v[14:15], v[12:13]
	v_add_co_ci_u32_e64 v17, null, s3, v17, s0
	s_or_b32 s5, vcc_lo, s5
	s_andn2_b32 exec_lo, exec_lo, s5
	s_cbranch_execnz .LBB2_36
.LBB2_37:
	s_or_b32 exec_lo, exec_lo, s4
.LBB2_38:
	s_mov_b32 s0, 0
.LBB2_39:
	s_andn2_b32 vcc_lo, exec_lo, s0
	s_cbranch_vccnz .LBB2_50
; %bb.40:
	s_cmp_lg_u32 s1, 1
	s_cbranch_scc1 .LBB2_50
; %bb.41:
	s_mov_b32 s1, exec_lo
	s_waitcnt vmcnt(0)
	v_cmpx_lt_i32_e64 v10, v11
	s_cbranch_execz .LBB2_49
; %bb.42:
	v_lshlrev_b64 v[12:13], 1, v[8:9]
	v_mul_lo_u32 v21, s31, v4
	v_mul_lo_u32 v22, s30, v5
	s_cmp_eq_u64 s[28:29], 1
	v_add_co_u32 v12, vcc_lo, s10, v12
	v_add_co_ci_u32_e64 v13, null, s11, v13, vcc_lo
	global_load_ushort v12, v[12:13], off
	v_cvt_f32_i32_e32 v13, v30
	v_bfe_u32 v14, v13, 16, 1
	v_add3_u32 v13, v13, v14, 0x7fff
	v_and_b32_e32 v13, 0xffff0000, v13
	s_waitcnt vmcnt(0)
	v_lshlrev_b32_e32 v12, 16, v12
	v_div_scale_f32 v14, null, v13, v13, v12
	v_div_scale_f32 v17, vcc_lo, v12, v13, v12
	v_rcp_f32_e32 v15, v14
	v_fma_f32 v16, -v14, v15, 1.0
	v_fmac_f32_e32 v15, v16, v15
	v_mul_f32_e32 v16, v17, v15
	v_fma_f32 v18, -v14, v16, v17
	v_fmac_f32_e32 v16, v18, v15
	v_fma_f32 v14, -v14, v16, v17
	v_div_fmas_f32 v14, v14, v15, v16
	v_ashrrev_i32_e32 v15, 31, v10
	v_sub_co_u32 v18, vcc_lo, v11, v10
	v_mad_u64_u32 v[16:17], null, s30, v4, 0
	v_div_fixup_f32 v20, v14, v13, v12
	v_ashrrev_i32_e32 v13, 31, v11
	v_mov_b32_e32 v14, v10
	v_bfe_u32 v12, v20, 16, 1
	v_sub_co_ci_u32_e64 v19, null, v13, v15, vcc_lo
	v_cmp_o_f32_e64 s0, v20, v20
	v_add3_u32 v17, v17, v22, v21
	v_add3_u32 v23, v20, v12, 0x7fff
	v_cmp_lt_u64_e32 vcc_lo, 1, v[18:19]
	v_mov_b32_e32 v12, v11
	v_lshrrev_b32_e32 v23, 16, v23
	v_cndmask_b32_e64 v26, 0x7fc0, v23, s0
	s_cselect_b32 s0, -1, 0
	s_and_b32 s3, vcc_lo, s0
	s_mov_b32 s0, -1
	s_and_saveexec_b32 s2, s3
	s_cbranch_execz .LBB2_46
; %bb.43:
	v_mul_lo_u32 v22, v17, s28
	v_mul_lo_u32 v23, v16, s29
	v_mad_u64_u32 v[20:21], null, v16, s28, 0
	v_lshlrev_b64 v[24:25], 1, v[6:7]
	s_mov_b32 s3, 0
	v_add3_u32 v21, v21, v23, v22
	v_lshlrev_b64 v[22:23], 1, v[20:21]
	v_mov_b32_e32 v21, v19
	v_and_b32_e32 v20, -2, v18
	v_add_co_u32 v27, vcc_lo, s8, v22
	v_add_co_ci_u32_e64 v28, null, s9, v23, vcc_lo
	v_lshlrev_b64 v[22:23], 1, v[14:15]
	v_add_co_u32 v24, vcc_lo, v27, v24
	v_add_co_ci_u32_e64 v25, null, v28, v25, vcc_lo
	v_perm_b32 v27, v26, v26, 0x5040100
	v_add_co_u32 v22, vcc_lo, v24, v22
	v_add_co_ci_u32_e64 v23, null, v25, v23, vcc_lo
	v_mov_b32_e32 v25, v21
	v_mov_b32_e32 v24, v20
.LBB2_44:                               ; =>This Inner Loop Header: Depth=1
	v_add_co_u32 v24, vcc_lo, v24, -2
	v_add_co_ci_u32_e64 v25, null, -1, v25, vcc_lo
	global_store_dword v[22:23], v27, off
	v_add_co_u32 v22, s0, v22, 4
	v_cmp_eq_u64_e32 vcc_lo, 0, v[24:25]
	v_add_co_ci_u32_e64 v23, null, 0, v23, s0
	s_or_b32 s3, vcc_lo, s3
	s_andn2_b32 exec_lo, exec_lo, s3
	s_cbranch_execnz .LBB2_44
; %bb.45:
	s_or_b32 exec_lo, exec_lo, s3
	v_cmp_ne_u64_e32 vcc_lo, v[18:19], v[20:21]
	v_add_co_u32 v14, s0, v20, v14
	v_add_co_ci_u32_e64 v15, null, v21, v15, s0
	s_orn2_b32 s0, vcc_lo, exec_lo
.LBB2_46:
	s_or_b32 exec_lo, exec_lo, s2
	s_and_b32 exec_lo, exec_lo, s0
	s_cbranch_execz .LBB2_49
; %bb.47:
	v_lshlrev_b64 v[16:17], 1, v[16:17]
	v_lshlrev_b64 v[18:19], 1, v[14:15]
	s_lshl_b64 s[2:3], s[28:29], 1
	s_mov_b32 s4, 0
	v_add_co_u32 v18, vcc_lo, v16, v18
	v_add_co_ci_u32_e64 v19, null, v17, v19, vcc_lo
	v_lshlrev_b64 v[16:17], 1, v[0:1]
	v_mul_lo_u32 v21, s29, v18
	v_mul_lo_u32 v20, s28, v19
	v_mad_u64_u32 v[16:17], null, s28, v18, v[16:17]
	v_lshlrev_b64 v[18:19], 1, v[2:3]
	v_add3_u32 v17, v21, v17, v20
	v_sub_co_u32 v16, vcc_lo, v16, v18
	v_sub_co_ci_u32_e64 v17, null, v17, v19, vcc_lo
	v_add_co_u32 v16, vcc_lo, s8, v16
	v_add_co_ci_u32_e64 v17, null, s9, v17, vcc_lo
.LBB2_48:                               ; =>This Inner Loop Header: Depth=1
	v_add_co_u32 v14, vcc_lo, v14, 1
	v_add_co_ci_u32_e64 v15, null, 0, v15, vcc_lo
	global_store_short v[16:17], v26, off
	v_add_co_u32 v16, s0, v16, s2
	v_cmp_ge_i64_e32 vcc_lo, v[14:15], v[12:13]
	v_add_co_ci_u32_e64 v17, null, s3, v17, s0
	s_or_b32 s4, vcc_lo, s4
	s_andn2_b32 exec_lo, exec_lo, s4
	s_cbranch_execnz .LBB2_48
.LBB2_49:
	s_or_b32 exec_lo, exec_lo, s1
.LBB2_50:
	s_branch .LBB2_75
.LBB2_51:
	v_mov_b32_e32 v16, 0
	s_waitcnt vmcnt(0)
	v_ashrrev_i32_e32 v13, 31, v10
	v_mov_b32_e32 v12, v10
	v_ashrrev_i32_e32 v15, 31, v11
	v_mov_b32_e32 v14, v11
	v_mov_b32_e32 v17, 0
	s_mov_b32 s4, exec_lo
	v_cmp_ge_i32_e32 vcc_lo, v10, v11
	v_cmpx_lt_i32_e64 v10, v11
	s_cbranch_execz .LBB2_59
; %bb.52:
	v_mad_u64_u32 v[10:11], null, v4, s30, v[12:13]
	v_mul_lo_u32 v16, v4, s31
	v_mul_lo_u32 v17, v5, s30
	v_mov_b32_e32 v21, v13
	v_mov_b32_e32 v20, v12
	s_lshl_b64 s[2:3], s[28:29], 1
	s_mov_b32 s5, 0
	v_mul_lo_u32 v18, s29, v10
	v_add3_u32 v16, v17, v11, v16
	v_mad_u64_u32 v[10:11], null, s28, v10, v[0:1]
	v_mul_lo_u32 v19, s28, v16
	v_lshlrev_b64 v[16:17], 1, v[8:9]
	v_add_co_u32 v8, s0, s12, v16
	v_add3_u32 v11, v18, v11, v19
	v_add_co_ci_u32_e64 v9, null, s13, v17, s0
	v_sub_co_u32 v18, s0, v10, v2
	v_sub_co_ci_u32_e64 v19, null, v11, v3, s0
	v_add_co_u32 v10, s0, s10, v16
	v_add_co_ci_u32_e64 v11, null, s11, v17, s0
	v_lshlrev_b64 v[18:19], 1, v[18:19]
	v_mov_b32_e32 v16, 0
	v_mov_b32_e32 v17, 0
	s_branch .LBB2_54
.LBB2_53:                               ;   in Loop: Header=BB2_54 Depth=1
	s_or_b32 exec_lo, exec_lo, s1
	v_add_co_u32 v20, s0, v20, 1
	v_add_co_ci_u32_e64 v21, null, 0, v21, s0
	v_add_co_u32 v18, s1, v18, s2
	v_add_co_ci_u32_e64 v19, null, s3, v19, s1
	v_cmp_ge_i64_e64 s0, v[20:21], v[14:15]
	s_or_b32 s5, s0, s5
	s_andn2_b32 exec_lo, exec_lo, s5
	s_cbranch_execz .LBB2_58
.LBB2_54:                               ; =>This Inner Loop Header: Depth=1
	v_add_co_u32 v22, s0, s14, v18
	v_add_co_ci_u32_e64 v23, null, s15, v19, s0
	s_mov_b32 s1, exec_lo
	global_load_ushort v22, v[22:23], off
	s_waitcnt vmcnt(0)
	v_lshlrev_b32_e32 v22, 16, v22
	v_cmp_u_f32_e64 s6, v22, v22
	v_cmpx_o_f32_e32 v22, v22
	s_cbranch_execz .LBB2_56
; %bb.55:                               ;   in Loop: Header=BB2_54 Depth=1
	global_load_ushort v23, v[8:9], off
	s_andn2_b32 s6, s6, exec_lo
	s_waitcnt vmcnt(0)
	v_lshlrev_b32_e32 v23, 16, v23
	v_cmp_eq_f32_e64 s0, v22, v23
	s_and_b32 s0, s0, exec_lo
	s_or_b32 s6, s6, s0
.LBB2_56:                               ;   in Loop: Header=BB2_54 Depth=1
	s_or_b32 exec_lo, exec_lo, s1
	s_and_saveexec_b32 s1, s6
	s_cbranch_execz .LBB2_53
; %bb.57:                               ;   in Loop: Header=BB2_54 Depth=1
	global_load_ushort v24, v[10:11], off
	v_add_co_u32 v22, s0, s8, v18
	v_add_co_ci_u32_e64 v23, null, s9, v19, s0
	v_add_co_u32 v16, s0, v16, 1
	v_add_co_ci_u32_e64 v17, null, 0, v17, s0
	s_waitcnt vmcnt(0)
	global_store_short v[22:23], v24, off
	s_branch .LBB2_53
.LBB2_58:
	s_or_b32 exec_lo, exec_lo, s5
.LBB2_59:
	s_or_b32 exec_lo, exec_lo, s4
	v_cmp_lt_i64_e64 s0, 1, v[16:17]
	s_xor_b32 s1, vcc_lo, -1
	s_and_b32 s0, s0, s1
	s_and_b32 exec_lo, exec_lo, s0
	s_cbranch_execz .LBB2_75
; %bb.60:
	v_ffbh_u32_e32 v8, v17
	v_mul_lo_u32 v11, s31, v4
	s_mov_b32 s2, exec_lo
	v_min_u32_e32 v10, 32, v8
	v_lshlrev_b64 v[8:9], v10, v[16:17]
	v_mul_lo_u32 v16, s30, v5
	v_mad_u64_u32 v[4:5], null, s30, v4, 0
	v_min_u32_e32 v8, 1, v8
	v_add3_u32 v5, v5, v16, v11
	v_or_b32_e32 v8, v9, v8
	v_sub_nc_u32_e32 v9, 32, v10
	v_cvt_f32_u32_e32 v8, v8
	v_ldexp_f32 v10, v8, v9
	v_sub_co_u32 v8, vcc_lo, v14, v12
	v_sub_co_ci_u32_e64 v9, null, v15, v13, vcc_lo
	v_bfe_u32 v17, v10, 16, 1
	v_cmp_gt_u64_e64 s1, 32, v[8:9]
	v_add3_u32 v10, v10, v17, 0x7fff
	v_and_b32_e32 v18, 0xffff0000, v10
	v_cmpx_lt_u64_e32 31, v[8:9]
	s_cbranch_execz .LBB2_70
; %bb.61:
	v_add_co_u32 v6, vcc_lo, v4, v6
	v_add_co_ci_u32_e64 v7, null, v5, v7, vcc_lo
	v_not_b32_e32 v10, v12
	v_add_co_u32 v6, vcc_lo, v6, v12
	v_not_b32_e32 v11, v13
	v_add_co_ci_u32_e64 v7, null, v7, v13, vcc_lo
	v_add_co_u32 v10, vcc_lo, v10, v14
	v_add_co_ci_u32_e64 v11, null, v11, v15, vcc_lo
	v_lshlrev_b64 v[6:7], 1, v[6:7]
	s_cmp_eq_u64 s[28:29], 1
	v_lshlrev_b64 v[16:17], 1, v[10:11]
	s_cselect_b32 s3, -1, 0
	v_add_co_u32 v6, vcc_lo, s8, v6
	v_add_co_ci_u32_e64 v7, null, s9, v7, vcc_lo
	v_add_co_u32 v16, vcc_lo, v6, v16
	v_add_co_ci_u32_e64 v17, null, v7, v17, vcc_lo
	v_cmp_lt_i64_e32 vcc_lo, -1, v[10:11]
	v_cmp_ge_u64_e64 s0, v[16:17], v[6:7]
	s_and_b32 s0, s0, vcc_lo
	s_and_b32 s4, s3, s0
	s_mov_b32 s0, -1
	s_and_saveexec_b32 s3, s4
	s_cbranch_execz .LBB2_69
; %bb.62:
	v_lshlrev_b64 v[6:7], 1, v[4:5]
	v_lshlrev_b64 v[10:11], 1, v[0:1]
	v_lshlrev_b64 v[16:17], 1, v[12:13]
	v_mov_b32_e32 v19, v18
	v_mov_b32_e32 v20, 0x7fc0
	s_mov_b32 s4, 0
	v_add_co_u32 v6, vcc_lo, v6, v10
	v_add_co_ci_u32_e64 v7, null, v7, v11, vcc_lo
	v_lshlrev_b64 v[10:11], 1, v[2:3]
	v_add_co_u32 v16, vcc_lo, v6, v16
	v_add_co_ci_u32_e64 v7, null, v7, v17, vcc_lo
	v_and_b32_e32 v6, -2, v8
	v_sub_co_u32 v10, vcc_lo, v16, v10
	v_sub_co_ci_u32_e64 v11, null, v7, v11, vcc_lo
	v_mov_b32_e32 v7, v9
	v_add_co_u32 v10, vcc_lo, s8, v10
	v_add_co_ci_u32_e64 v11, null, s9, v11, vcc_lo
	v_mov_b32_e32 v17, v7
	v_add_co_u32 v10, vcc_lo, v10, 2
	v_add_co_ci_u32_e64 v11, null, 0, v11, vcc_lo
	v_mov_b32_e32 v16, v6
	s_branch .LBB2_64
.LBB2_63:                               ;   in Loop: Header=BB2_64 Depth=1
	s_or_b32 exec_lo, exec_lo, s5
	v_add_co_u32 v16, vcc_lo, v16, -2
	v_add_co_ci_u32_e64 v17, null, -1, v17, vcc_lo
	v_add_co_u32 v10, s0, v10, 4
	v_add_co_ci_u32_e64 v11, null, 0, v11, s0
	v_cmp_eq_u64_e32 vcc_lo, 0, v[16:17]
	s_or_b32 s4, vcc_lo, s4
	s_andn2_b32 exec_lo, exec_lo, s4
	s_cbranch_execz .LBB2_68
.LBB2_64:                               ; =>This Inner Loop Header: Depth=1
	global_load_dword v21, v[10:11], off offset:-2
	s_mov_b32 s5, exec_lo
	s_waitcnt vmcnt(0)
	v_and_b32_e32 v22, 0xffff0000, v21
	v_lshlrev_b32_e32 v23, 16, v21
	v_div_scale_f32 v21, null, v19, v19, v22
	v_div_scale_f32 v24, null, v18, v18, v23
	v_div_scale_f32 v29, vcc_lo, v22, v19, v22
	v_rcp_f32_e32 v25, v21
	v_rcp_f32_e32 v26, v24
	v_fma_f32 v27, -v21, v25, 1.0
	v_fma_f32 v28, -v24, v26, 1.0
	v_fmac_f32_e32 v25, v27, v25
	v_div_scale_f32 v27, s0, v23, v18, v23
	v_fmac_f32_e32 v26, v28, v26
	v_mul_f32_e32 v28, v29, v25
	v_mul_f32_e32 v30, v27, v26
	v_fma_f32 v31, -v21, v28, v29
	v_fma_f32 v32, -v24, v30, v27
	v_fmac_f32_e32 v28, v31, v25
	v_fmac_f32_e32 v30, v32, v26
	v_fma_f32 v21, -v21, v28, v29
	v_fma_f32 v24, -v24, v30, v27
	v_div_fmas_f32 v21, v21, v25, v28
	s_mov_b32 vcc_lo, s0
	v_cmp_lt_f32_e64 s0, 0, v22
	v_div_fmas_f32 v24, v24, v26, v30
	v_div_fixup_f32 v21, v21, v19, v22
	v_div_fixup_f32 v22, v24, v18, v23
	v_cmpx_lt_f32_e32 0, v23
	s_cbranch_execz .LBB2_66
; %bb.65:                               ;   in Loop: Header=BB2_64 Depth=1
	v_bfe_u32 v23, v22, 16, 1
	v_cmp_o_f32_e32 vcc_lo, v22, v22
	v_add3_u32 v22, v22, v23, 0x7fff
	v_cndmask_b32_sdwa v22, v20, v22, vcc_lo dst_sel:DWORD dst_unused:UNUSED_PAD src0_sel:DWORD src1_sel:WORD_1
	global_store_short v[10:11], v22, off offset:-2
.LBB2_66:                               ;   in Loop: Header=BB2_64 Depth=1
	s_or_b32 exec_lo, exec_lo, s5
	s_and_saveexec_b32 s5, s0
	s_cbranch_execz .LBB2_63
; %bb.67:                               ;   in Loop: Header=BB2_64 Depth=1
	v_bfe_u32 v22, v21, 16, 1
	v_cmp_o_f32_e32 vcc_lo, v21, v21
	v_add3_u32 v21, v21, v22, 0x7fff
	v_cndmask_b32_sdwa v21, v20, v21, vcc_lo dst_sel:DWORD dst_unused:UNUSED_PAD src0_sel:DWORD src1_sel:WORD_1
	global_store_short v[10:11], v21, off
	s_branch .LBB2_63
.LBB2_68:
	s_or_b32 exec_lo, exec_lo, s4
	v_cmp_ne_u64_e32 vcc_lo, v[8:9], v[6:7]
	v_add_co_u32 v12, s0, v6, v12
	v_add_co_ci_u32_e64 v13, null, v7, v13, s0
	s_orn2_b32 s0, vcc_lo, exec_lo
.LBB2_69:
	s_or_b32 exec_lo, exec_lo, s3
	s_andn2_b32 s1, s1, exec_lo
	s_and_b32 s0, s0, exec_lo
	s_or_b32 s1, s1, s0
.LBB2_70:
	s_or_b32 exec_lo, exec_lo, s2
	s_and_b32 exec_lo, exec_lo, s1
	s_cbranch_execz .LBB2_75
; %bb.71:
	v_lshlrev_b64 v[4:5], 1, v[4:5]
	v_lshlrev_b64 v[6:7], 1, v[12:13]
	;; [unrolled: 1-line block ×4, first 2 shown]
	s_lshl_b64 s[2:3], s[28:29], 1
	s_mov_b32 s1, 0
	v_add_co_u32 v4, vcc_lo, v4, v6
	v_add_co_ci_u32_e64 v5, null, v5, v7, vcc_lo
	v_mul_lo_u32 v6, s29, v4
	v_mad_u64_u32 v[0:1], null, s28, v4, v[0:1]
	v_mul_lo_u32 v5, s28, v5
	v_sub_co_u32 v0, vcc_lo, v0, v2
	v_add3_u32 v1, v6, v1, v5
	v_mov_b32_e32 v2, 0x7fc0
	v_sub_co_ci_u32_e64 v1, null, v1, v3, vcc_lo
	v_add_co_u32 v0, vcc_lo, s8, v0
	v_add_co_ci_u32_e64 v1, null, s9, v1, vcc_lo
	s_inst_prefetch 0x1
	s_branch .LBB2_73
	.p2align	6
.LBB2_72:                               ;   in Loop: Header=BB2_73 Depth=1
	s_or_b32 exec_lo, exec_lo, s0
	v_add_co_u32 v12, vcc_lo, v12, 1
	v_add_co_ci_u32_e64 v13, null, 0, v13, vcc_lo
	v_add_co_u32 v0, s0, v0, s2
	v_add_co_ci_u32_e64 v1, null, s3, v1, s0
	v_cmp_ge_i64_e32 vcc_lo, v[12:13], v[14:15]
	s_or_b32 s1, vcc_lo, s1
	s_andn2_b32 exec_lo, exec_lo, s1
	s_cbranch_execz .LBB2_75
.LBB2_73:                               ; =>This Inner Loop Header: Depth=1
	global_load_ushort v3, v[0:1], off
	s_mov_b32 s0, exec_lo
	s_waitcnt vmcnt(0)
	v_lshlrev_b32_e32 v3, 16, v3
	v_cmpx_lt_f32_e32 0, v3
	s_cbranch_execz .LBB2_72
; %bb.74:                               ;   in Loop: Header=BB2_73 Depth=1
	v_div_scale_f32 v4, null, v18, v18, v3
	v_rcp_f32_e32 v5, v4
	v_fma_f32 v6, -v4, v5, 1.0
	v_fmac_f32_e32 v5, v6, v5
	v_div_scale_f32 v6, vcc_lo, v3, v18, v3
	v_mul_f32_e32 v7, v6, v5
	v_fma_f32 v8, -v4, v7, v6
	v_fmac_f32_e32 v7, v8, v5
	v_fma_f32 v4, -v4, v7, v6
	v_div_fmas_f32 v4, v4, v5, v7
	v_div_fixup_f32 v3, v4, v18, v3
	v_bfe_u32 v4, v3, 16, 1
	v_cmp_o_f32_e32 vcc_lo, v3, v3
	v_add3_u32 v3, v3, v4, 0x7fff
	v_cndmask_b32_sdwa v3, v2, v3, vcc_lo dst_sel:DWORD dst_unused:UNUSED_PAD src0_sel:DWORD src1_sel:WORD_1
	global_store_short v[0:1], v3, off
	s_branch .LBB2_72
.LBB2_75:
	s_inst_prefetch 0x2
	s_endpgm
	.section	.rodata,"a",@progbits
	.p2align	6, 0x0
	.amdhsa_kernel _ZN2at6native12_GLOBAL__N_130segment_reduce_backward_kernelIN3c108BFloat16EiEEvNS0_13ReductionTypeEPT_PKS6_S9_S9_PKT0_SC_llS6_lllllll
		.amdhsa_group_segment_fixed_size 0
		.amdhsa_private_segment_fixed_size 0
		.amdhsa_kernarg_size 392
		.amdhsa_user_sgpr_count 6
		.amdhsa_user_sgpr_private_segment_buffer 1
		.amdhsa_user_sgpr_dispatch_ptr 0
		.amdhsa_user_sgpr_queue_ptr 0
		.amdhsa_user_sgpr_kernarg_segment_ptr 1
		.amdhsa_user_sgpr_dispatch_id 0
		.amdhsa_user_sgpr_flat_scratch_init 0
		.amdhsa_user_sgpr_private_segment_size 0
		.amdhsa_wavefront_size32 1
		.amdhsa_uses_dynamic_stack 0
		.amdhsa_system_sgpr_private_segment_wavefront_offset 0
		.amdhsa_system_sgpr_workgroup_id_x 1
		.amdhsa_system_sgpr_workgroup_id_y 0
		.amdhsa_system_sgpr_workgroup_id_z 0
		.amdhsa_system_sgpr_workgroup_info 0
		.amdhsa_system_vgpr_workitem_id 0
		.amdhsa_next_free_vgpr 35
		.amdhsa_next_free_sgpr 44
		.amdhsa_reserve_vcc 1
		.amdhsa_reserve_flat_scratch 0
		.amdhsa_float_round_mode_32 0
		.amdhsa_float_round_mode_16_64 0
		.amdhsa_float_denorm_mode_32 3
		.amdhsa_float_denorm_mode_16_64 3
		.amdhsa_dx10_clamp 1
		.amdhsa_ieee_mode 1
		.amdhsa_fp16_overflow 0
		.amdhsa_workgroup_processor_mode 1
		.amdhsa_memory_ordered 1
		.amdhsa_forward_progress 1
		.amdhsa_shared_vgpr_count 0
		.amdhsa_exception_fp_ieee_invalid_op 0
		.amdhsa_exception_fp_denorm_src 0
		.amdhsa_exception_fp_ieee_div_zero 0
		.amdhsa_exception_fp_ieee_overflow 0
		.amdhsa_exception_fp_ieee_underflow 0
		.amdhsa_exception_fp_ieee_inexact 0
		.amdhsa_exception_int_div_zero 0
	.end_amdhsa_kernel
	.section	.text._ZN2at6native12_GLOBAL__N_130segment_reduce_backward_kernelIN3c108BFloat16EiEEvNS0_13ReductionTypeEPT_PKS6_S9_S9_PKT0_SC_llS6_lllllll,"axG",@progbits,_ZN2at6native12_GLOBAL__N_130segment_reduce_backward_kernelIN3c108BFloat16EiEEvNS0_13ReductionTypeEPT_PKS6_S9_S9_PKT0_SC_llS6_lllllll,comdat
.Lfunc_end2:
	.size	_ZN2at6native12_GLOBAL__N_130segment_reduce_backward_kernelIN3c108BFloat16EiEEvNS0_13ReductionTypeEPT_PKS6_S9_S9_PKT0_SC_llS6_lllllll, .Lfunc_end2-_ZN2at6native12_GLOBAL__N_130segment_reduce_backward_kernelIN3c108BFloat16EiEEvNS0_13ReductionTypeEPT_PKS6_S9_S9_PKT0_SC_llS6_lllllll
                                        ; -- End function
	.set _ZN2at6native12_GLOBAL__N_130segment_reduce_backward_kernelIN3c108BFloat16EiEEvNS0_13ReductionTypeEPT_PKS6_S9_S9_PKT0_SC_llS6_lllllll.num_vgpr, 35
	.set _ZN2at6native12_GLOBAL__N_130segment_reduce_backward_kernelIN3c108BFloat16EiEEvNS0_13ReductionTypeEPT_PKS6_S9_S9_PKT0_SC_llS6_lllllll.num_agpr, 0
	.set _ZN2at6native12_GLOBAL__N_130segment_reduce_backward_kernelIN3c108BFloat16EiEEvNS0_13ReductionTypeEPT_PKS6_S9_S9_PKT0_SC_llS6_lllllll.numbered_sgpr, 44
	.set _ZN2at6native12_GLOBAL__N_130segment_reduce_backward_kernelIN3c108BFloat16EiEEvNS0_13ReductionTypeEPT_PKS6_S9_S9_PKT0_SC_llS6_lllllll.num_named_barrier, 0
	.set _ZN2at6native12_GLOBAL__N_130segment_reduce_backward_kernelIN3c108BFloat16EiEEvNS0_13ReductionTypeEPT_PKS6_S9_S9_PKT0_SC_llS6_lllllll.private_seg_size, 0
	.set _ZN2at6native12_GLOBAL__N_130segment_reduce_backward_kernelIN3c108BFloat16EiEEvNS0_13ReductionTypeEPT_PKS6_S9_S9_PKT0_SC_llS6_lllllll.uses_vcc, 1
	.set _ZN2at6native12_GLOBAL__N_130segment_reduce_backward_kernelIN3c108BFloat16EiEEvNS0_13ReductionTypeEPT_PKS6_S9_S9_PKT0_SC_llS6_lllllll.uses_flat_scratch, 0
	.set _ZN2at6native12_GLOBAL__N_130segment_reduce_backward_kernelIN3c108BFloat16EiEEvNS0_13ReductionTypeEPT_PKS6_S9_S9_PKT0_SC_llS6_lllllll.has_dyn_sized_stack, 0
	.set _ZN2at6native12_GLOBAL__N_130segment_reduce_backward_kernelIN3c108BFloat16EiEEvNS0_13ReductionTypeEPT_PKS6_S9_S9_PKT0_SC_llS6_lllllll.has_recursion, 0
	.set _ZN2at6native12_GLOBAL__N_130segment_reduce_backward_kernelIN3c108BFloat16EiEEvNS0_13ReductionTypeEPT_PKS6_S9_S9_PKT0_SC_llS6_lllllll.has_indirect_call, 0
	.section	.AMDGPU.csdata,"",@progbits
; Kernel info:
; codeLenInByte = 5900
; TotalNumSgprs: 46
; NumVgprs: 35
; ScratchSize: 0
; MemoryBound: 0
; FloatMode: 240
; IeeeMode: 1
; LDSByteSize: 0 bytes/workgroup (compile time only)
; SGPRBlocks: 0
; VGPRBlocks: 4
; NumSGPRsForWavesPerEU: 46
; NumVGPRsForWavesPerEU: 35
; Occupancy: 16
; WaveLimiterHint : 1
; COMPUTE_PGM_RSRC2:SCRATCH_EN: 0
; COMPUTE_PGM_RSRC2:USER_SGPR: 6
; COMPUTE_PGM_RSRC2:TRAP_HANDLER: 0
; COMPUTE_PGM_RSRC2:TGID_X_EN: 1
; COMPUTE_PGM_RSRC2:TGID_Y_EN: 0
; COMPUTE_PGM_RSRC2:TGID_Z_EN: 0
; COMPUTE_PGM_RSRC2:TIDIG_COMP_CNT: 0
	.section	.text._ZN2at6native12_GLOBAL__N_130segment_reduce_backward_kernelIN3c104HalfEiEEvNS0_13ReductionTypeEPT_PKS6_S9_S9_PKT0_SC_llS6_lllllll,"axG",@progbits,_ZN2at6native12_GLOBAL__N_130segment_reduce_backward_kernelIN3c104HalfEiEEvNS0_13ReductionTypeEPT_PKS6_S9_S9_PKT0_SC_llS6_lllllll,comdat
	.globl	_ZN2at6native12_GLOBAL__N_130segment_reduce_backward_kernelIN3c104HalfEiEEvNS0_13ReductionTypeEPT_PKS6_S9_S9_PKT0_SC_llS6_lllllll ; -- Begin function _ZN2at6native12_GLOBAL__N_130segment_reduce_backward_kernelIN3c104HalfEiEEvNS0_13ReductionTypeEPT_PKS6_S9_S9_PKT0_SC_llS6_lllllll
	.p2align	8
	.type	_ZN2at6native12_GLOBAL__N_130segment_reduce_backward_kernelIN3c104HalfEiEEvNS0_13ReductionTypeEPT_PKS6_S9_S9_PKT0_SC_llS6_lllllll,@function
_ZN2at6native12_GLOBAL__N_130segment_reduce_backward_kernelIN3c104HalfEiEEvNS0_13ReductionTypeEPT_PKS6_S9_S9_PKT0_SC_llS6_lllllll: ; @_ZN2at6native12_GLOBAL__N_130segment_reduce_backward_kernelIN3c104HalfEiEEvNS0_13ReductionTypeEPT_PKS6_S9_S9_PKT0_SC_llS6_lllllll
; %bb.0:
	s_clause 0x2
	s_load_dwordx16 s[8:23], s[4:5], 0x8
	s_load_dword s0, s[4:5], 0x94
	s_load_dwordx8 s[24:31], s[4:5], 0x50
	v_mov_b32_e32 v2, 0
	v_mov_b32_e32 v1, v2
	s_waitcnt lgkmcnt(0)
	s_and_b32 s0, s0, 0xffff
	s_mul_i32 s1, s24, s21
	s_mul_hi_u32 s2, s24, s20
	s_mul_i32 s3, s25, s20
	s_mul_i32 s7, s24, s20
	v_mad_u64_u32 v[0:1], null, s0, s6, v[0:1]
	s_add_i32 s0, s2, s1
	s_mul_i32 s1, s7, s27
	s_mul_hi_u32 s2, s7, s26
	s_add_i32 s0, s0, s3
	s_add_i32 s1, s2, s1
	s_mul_i32 s0, s0, s26
	s_add_i32 s1, s1, s0
	s_mul_i32 s0, s7, s26
	v_cmp_gt_i64_e32 vcc_lo, s[0:1], v[0:1]
	s_and_saveexec_b32 s0, vcc_lo
	s_cbranch_execz .LBB3_75
; %bb.1:
	v_or_b32_e32 v3, s27, v1
	v_cmp_ne_u64_e32 vcc_lo, 0, v[2:3]
                                        ; implicit-def: $vgpr2_vgpr3
	s_and_saveexec_b32 s0, vcc_lo
	s_xor_b32 s1, exec_lo, s0
	s_cbranch_execz .LBB3_3
; %bb.2:
	s_ashr_i32 s2, s27, 31
	v_ashrrev_i32_e32 v8, 31, v1
	s_add_u32 s6, s26, s2
	s_mov_b32 s3, s2
	s_addc_u32 s7, s27, s2
	s_xor_b64 s[6:7], s[6:7], s[2:3]
	v_add_co_u32 v4, vcc_lo, v0, v8
	v_cvt_f32_u32_e32 v2, s6
	v_cvt_f32_u32_e32 v3, s7
	s_sub_u32 s24, 0, s6
	s_subb_u32 s25, 0, s7
	v_add_co_ci_u32_e64 v5, null, v1, v8, vcc_lo
	v_fmamk_f32 v2, v3, 0x4f800000, v2
	v_xor_b32_e32 v9, v4, v8
	v_xor_b32_e32 v10, v5, v8
	v_rcp_f32_e32 v2, v2
	v_mul_f32_e32 v2, 0x5f7ffffc, v2
	v_mul_f32_e32 v3, 0x2f800000, v2
	v_trunc_f32_e32 v3, v3
	v_fmamk_f32 v2, v3, 0xcf800000, v2
	v_cvt_u32_f32_e32 v3, v3
	v_cvt_u32_f32_e32 v2, v2
	v_readfirstlane_b32 s0, v3
	v_readfirstlane_b32 s3, v2
	s_mul_i32 s33, s24, s0
	s_mul_hi_u32 s35, s24, s3
	s_mul_i32 s34, s25, s3
	s_add_i32 s33, s35, s33
	s_mul_i32 s36, s24, s3
	s_add_i32 s33, s33, s34
	s_mul_hi_u32 s35, s3, s36
	s_mul_i32 s38, s3, s33
	s_mul_hi_u32 s37, s0, s36
	s_mul_i32 s34, s0, s36
	s_mul_hi_u32 s36, s3, s33
	s_add_u32 s35, s35, s38
	s_addc_u32 s36, 0, s36
	s_mul_hi_u32 s39, s0, s33
	s_add_u32 s34, s35, s34
	s_mul_i32 s33, s0, s33
	s_addc_u32 s34, s36, s37
	s_addc_u32 s35, s39, 0
	s_add_u32 s33, s34, s33
	s_addc_u32 s34, 0, s35
	s_add_u32 s3, s3, s33
	s_cselect_b32 s33, -1, 0
	s_mul_hi_u32 s35, s24, s3
	s_cmp_lg_u32 s33, 0
	s_mul_i32 s33, s24, s3
	s_addc_u32 s0, s0, s34
	s_mul_i32 s25, s25, s3
	s_mul_i32 s24, s24, s0
	s_mul_hi_u32 s34, s3, s33
	s_add_i32 s24, s35, s24
	s_mul_hi_u32 s35, s0, s33
	s_add_i32 s24, s24, s25
	s_mul_i32 s25, s0, s33
	s_mul_i32 s37, s3, s24
	s_mul_hi_u32 s36, s3, s24
	s_add_u32 s34, s34, s37
	s_addc_u32 s36, 0, s36
	s_mul_hi_u32 s33, s0, s24
	s_add_u32 s25, s34, s25
	s_mul_i32 s24, s0, s24
	s_addc_u32 s25, s36, s35
	s_addc_u32 s33, s33, 0
	s_add_u32 s24, s25, s24
	s_addc_u32 s25, 0, s33
	s_add_u32 s3, s3, s24
	s_cselect_b32 s24, -1, 0
	v_mul_hi_u32 v11, v9, s3
	s_cmp_lg_u32 s24, 0
	v_mad_u64_u32 v[4:5], null, v10, s3, 0
	s_addc_u32 s0, s0, s25
	v_mad_u64_u32 v[2:3], null, v9, s0, 0
	v_mad_u64_u32 v[6:7], null, v10, s0, 0
	v_add_co_u32 v2, vcc_lo, v11, v2
	v_add_co_ci_u32_e64 v3, null, 0, v3, vcc_lo
	v_add_co_u32 v2, vcc_lo, v2, v4
	v_add_co_ci_u32_e32 v2, vcc_lo, v3, v5, vcc_lo
	v_add_co_ci_u32_e32 v3, vcc_lo, 0, v7, vcc_lo
	v_add_co_u32 v4, vcc_lo, v2, v6
	v_add_co_ci_u32_e64 v5, null, 0, v3, vcc_lo
	v_mul_lo_u32 v6, s7, v4
	v_mad_u64_u32 v[2:3], null, s6, v4, 0
	v_mul_lo_u32 v7, s6, v5
	v_sub_co_u32 v2, vcc_lo, v9, v2
	v_add3_u32 v3, v3, v7, v6
	v_add_co_u32 v7, s0, v4, 2
	v_add_co_ci_u32_e64 v9, null, 0, v5, s0
	v_sub_nc_u32_e32 v6, v10, v3
	v_sub_co_u32 v11, s0, v2, s6
	v_sub_co_ci_u32_e64 v3, null, v10, v3, vcc_lo
	v_subrev_co_ci_u32_e64 v6, null, s7, v6, vcc_lo
	v_cmp_le_u32_e32 vcc_lo, s6, v11
	v_subrev_co_ci_u32_e64 v6, null, 0, v6, s0
	v_cndmask_b32_e64 v10, 0, -1, vcc_lo
	v_cmp_le_u32_e32 vcc_lo, s7, v6
	v_cndmask_b32_e64 v11, 0, -1, vcc_lo
	v_cmp_le_u32_e32 vcc_lo, s6, v2
	;; [unrolled: 2-line block ×3, first 2 shown]
	v_cndmask_b32_e64 v12, 0, -1, vcc_lo
	v_cmp_eq_u32_e32 vcc_lo, s7, v6
	v_cndmask_b32_e32 v6, v11, v10, vcc_lo
	v_add_co_u32 v10, vcc_lo, v4, 1
	v_add_co_ci_u32_e64 v11, null, 0, v5, vcc_lo
	v_cmp_eq_u32_e32 vcc_lo, s7, v3
	v_cndmask_b32_e32 v2, v12, v2, vcc_lo
	v_cmp_ne_u32_e32 vcc_lo, 0, v6
	v_xor_b32_e32 v6, s2, v8
	v_cmp_ne_u32_e64 s0, 0, v2
	v_cndmask_b32_e32 v2, v10, v7, vcc_lo
	v_cndmask_b32_e32 v3, v11, v9, vcc_lo
	v_cndmask_b32_e64 v2, v4, v2, s0
	v_cndmask_b32_e64 v3, v5, v3, s0
	v_xor_b32_e32 v2, v2, v6
	v_xor_b32_e32 v3, v3, v6
	v_sub_co_u32 v2, vcc_lo, v2, v6
	v_sub_co_ci_u32_e64 v3, null, v3, v6, vcc_lo
.LBB3_3:
	s_andn2_saveexec_b32 s0, s1
	s_cbranch_execz .LBB3_5
; %bb.4:
	v_cvt_f32_u32_e32 v2, s26
	s_sub_i32 s1, 0, s26
	v_rcp_iflag_f32_e32 v2, v2
	v_mul_f32_e32 v2, 0x4f7ffffe, v2
	v_cvt_u32_f32_e32 v2, v2
	v_mul_lo_u32 v3, s1, v2
	v_mul_hi_u32 v3, v2, v3
	v_add_nc_u32_e32 v2, v2, v3
	v_mul_hi_u32 v2, v0, v2
	v_mul_lo_u32 v3, v2, s26
	v_add_nc_u32_e32 v4, 1, v2
	v_sub_nc_u32_e32 v3, v0, v3
	v_subrev_nc_u32_e32 v5, s26, v3
	v_cmp_le_u32_e32 vcc_lo, s26, v3
	v_cndmask_b32_e32 v3, v3, v5, vcc_lo
	v_cndmask_b32_e32 v2, v2, v4, vcc_lo
	v_cmp_le_u32_e32 vcc_lo, s26, v3
	v_add_nc_u32_e32 v4, 1, v2
	v_mov_b32_e32 v3, 0
	v_cndmask_b32_e32 v2, v2, v4, vcc_lo
.LBB3_5:
	s_or_b32 exec_lo, exec_lo, s0
	v_or_b32_e32 v5, s21, v3
	v_mov_b32_e32 v4, 0
	v_cmp_ne_u64_e32 vcc_lo, 0, v[4:5]
                                        ; implicit-def: $vgpr4_vgpr5
	s_and_saveexec_b32 s0, vcc_lo
	s_xor_b32 s1, exec_lo, s0
	s_cbranch_execz .LBB3_7
; %bb.6:
	s_ashr_i32 s2, s21, 31
	v_ashrrev_i32_e32 v10, 31, v3
	s_add_u32 s6, s20, s2
	s_mov_b32 s3, s2
	s_addc_u32 s7, s21, s2
	s_xor_b64 s[6:7], s[6:7], s[2:3]
	v_add_co_u32 v6, vcc_lo, v2, v10
	v_cvt_f32_u32_e32 v4, s6
	v_cvt_f32_u32_e32 v5, s7
	s_sub_u32 s24, 0, s6
	s_subb_u32 s25, 0, s7
	v_add_co_ci_u32_e64 v7, null, v3, v10, vcc_lo
	v_fmamk_f32 v4, v5, 0x4f800000, v4
	v_xor_b32_e32 v11, v6, v10
	v_xor_b32_e32 v12, v7, v10
	v_rcp_f32_e32 v4, v4
	v_mul_f32_e32 v4, 0x5f7ffffc, v4
	v_mul_f32_e32 v5, 0x2f800000, v4
	v_trunc_f32_e32 v5, v5
	v_fmamk_f32 v4, v5, 0xcf800000, v4
	v_cvt_u32_f32_e32 v5, v5
	v_cvt_u32_f32_e32 v4, v4
	v_readfirstlane_b32 s0, v5
	v_readfirstlane_b32 s3, v4
	s_mul_i32 s33, s24, s0
	s_mul_hi_u32 s35, s24, s3
	s_mul_i32 s34, s25, s3
	s_add_i32 s33, s35, s33
	s_mul_i32 s36, s24, s3
	s_add_i32 s33, s33, s34
	s_mul_hi_u32 s35, s3, s36
	s_mul_i32 s38, s3, s33
	s_mul_hi_u32 s37, s0, s36
	s_mul_i32 s34, s0, s36
	s_mul_hi_u32 s36, s3, s33
	s_add_u32 s35, s35, s38
	s_addc_u32 s36, 0, s36
	s_mul_hi_u32 s39, s0, s33
	s_add_u32 s34, s35, s34
	s_mul_i32 s33, s0, s33
	s_addc_u32 s34, s36, s37
	s_addc_u32 s35, s39, 0
	s_add_u32 s33, s34, s33
	s_addc_u32 s34, 0, s35
	s_add_u32 s3, s3, s33
	s_cselect_b32 s33, -1, 0
	s_mul_hi_u32 s35, s24, s3
	s_cmp_lg_u32 s33, 0
	s_mul_i32 s33, s24, s3
	s_addc_u32 s0, s0, s34
	s_mul_i32 s25, s25, s3
	s_mul_i32 s24, s24, s0
	s_mul_hi_u32 s34, s3, s33
	s_add_i32 s24, s35, s24
	s_mul_hi_u32 s35, s0, s33
	s_add_i32 s24, s24, s25
	s_mul_i32 s25, s0, s33
	s_mul_i32 s37, s3, s24
	s_mul_hi_u32 s36, s3, s24
	s_add_u32 s34, s34, s37
	s_addc_u32 s36, 0, s36
	s_mul_hi_u32 s33, s0, s24
	s_add_u32 s25, s34, s25
	s_mul_i32 s24, s0, s24
	s_addc_u32 s25, s36, s35
	s_addc_u32 s33, s33, 0
	s_add_u32 s24, s25, s24
	s_addc_u32 s25, 0, s33
	s_add_u32 s3, s3, s24
	s_cselect_b32 s24, -1, 0
	v_mul_hi_u32 v13, v11, s3
	s_cmp_lg_u32 s24, 0
	v_mad_u64_u32 v[6:7], null, v12, s3, 0
	s_addc_u32 s0, s0, s25
	v_mad_u64_u32 v[4:5], null, v11, s0, 0
	v_mad_u64_u32 v[8:9], null, v12, s0, 0
	v_add_co_u32 v4, vcc_lo, v13, v4
	v_add_co_ci_u32_e64 v5, null, 0, v5, vcc_lo
	v_add_co_u32 v4, vcc_lo, v4, v6
	v_add_co_ci_u32_e32 v4, vcc_lo, v5, v7, vcc_lo
	v_add_co_ci_u32_e32 v5, vcc_lo, 0, v9, vcc_lo
	v_add_co_u32 v6, vcc_lo, v4, v8
	v_add_co_ci_u32_e64 v7, null, 0, v5, vcc_lo
	v_mul_lo_u32 v8, s7, v6
	v_mad_u64_u32 v[4:5], null, s6, v6, 0
	v_mul_lo_u32 v9, s6, v7
	v_sub_co_u32 v4, vcc_lo, v11, v4
	v_add3_u32 v5, v5, v9, v8
	v_add_co_u32 v9, s0, v6, 2
	v_add_co_ci_u32_e64 v11, null, 0, v7, s0
	v_sub_nc_u32_e32 v8, v12, v5
	v_sub_co_u32 v13, s0, v4, s6
	v_sub_co_ci_u32_e64 v5, null, v12, v5, vcc_lo
	v_subrev_co_ci_u32_e64 v8, null, s7, v8, vcc_lo
	v_cmp_le_u32_e32 vcc_lo, s6, v13
	v_subrev_co_ci_u32_e64 v8, null, 0, v8, s0
	v_cndmask_b32_e64 v12, 0, -1, vcc_lo
	v_cmp_le_u32_e32 vcc_lo, s7, v8
	v_cndmask_b32_e64 v13, 0, -1, vcc_lo
	v_cmp_le_u32_e32 vcc_lo, s6, v4
	;; [unrolled: 2-line block ×3, first 2 shown]
	v_cndmask_b32_e64 v14, 0, -1, vcc_lo
	v_cmp_eq_u32_e32 vcc_lo, s7, v8
	v_cndmask_b32_e32 v8, v13, v12, vcc_lo
	v_add_co_u32 v12, vcc_lo, v6, 1
	v_add_co_ci_u32_e64 v13, null, 0, v7, vcc_lo
	v_cmp_eq_u32_e32 vcc_lo, s7, v5
	v_cndmask_b32_e32 v4, v14, v4, vcc_lo
	v_cmp_ne_u32_e32 vcc_lo, 0, v8
	v_xor_b32_e32 v8, s2, v10
	v_cmp_ne_u32_e64 s0, 0, v4
	v_cndmask_b32_e32 v4, v12, v9, vcc_lo
	v_cndmask_b32_e32 v5, v13, v11, vcc_lo
	v_cndmask_b32_e64 v4, v6, v4, s0
	v_cndmask_b32_e64 v5, v7, v5, s0
	v_xor_b32_e32 v4, v4, v8
	v_xor_b32_e32 v5, v5, v8
	v_sub_co_u32 v4, vcc_lo, v4, v8
	v_sub_co_ci_u32_e64 v5, null, v5, v8, vcc_lo
.LBB3_7:
	s_andn2_saveexec_b32 s0, s1
	s_cbranch_execz .LBB3_9
; %bb.8:
	v_cvt_f32_u32_e32 v4, s20
	s_sub_i32 s1, 0, s20
	v_rcp_iflag_f32_e32 v4, v4
	v_mul_f32_e32 v4, 0x4f7ffffe, v4
	v_cvt_u32_f32_e32 v4, v4
	v_mul_lo_u32 v5, s1, v4
	v_mul_hi_u32 v5, v4, v5
	v_add_nc_u32_e32 v4, v4, v5
	v_mul_hi_u32 v4, v2, v4
	v_mul_lo_u32 v5, v4, s20
	v_add_nc_u32_e32 v6, 1, v4
	v_sub_nc_u32_e32 v5, v2, v5
	v_subrev_nc_u32_e32 v7, s20, v5
	v_cmp_le_u32_e32 vcc_lo, s20, v5
	v_cndmask_b32_e32 v5, v5, v7, vcc_lo
	v_cndmask_b32_e32 v4, v4, v6, vcc_lo
	v_cmp_le_u32_e32 vcc_lo, s20, v5
	v_add_nc_u32_e32 v6, 1, v4
	v_mov_b32_e32 v5, 0
	v_cndmask_b32_e32 v4, v4, v6, vcc_lo
.LBB3_9:
	s_or_b32 exec_lo, exec_lo, s0
	v_mul_lo_u32 v8, v5, s20
	v_mul_lo_u32 v9, v4, s21
	v_mad_u64_u32 v[6:7], null, v4, s20, 0
	v_add3_u32 v7, v7, v9, v8
	v_mul_lo_u32 v10, v6, s23
	v_mad_u64_u32 v[8:9], null, v6, s22, 0
	v_sub_co_u32 v6, vcc_lo, v2, v6
	v_mul_lo_u32 v11, v7, s22
	v_sub_co_ci_u32_e64 v7, null, v3, v7, vcc_lo
	v_add3_u32 v9, v9, v10, v11
	v_lshlrev_b64 v[10:11], 2, v[8:9]
	v_lshlrev_b64 v[8:9], 2, v[6:7]
	v_add_co_u32 v10, vcc_lo, s16, v10
	v_add_co_ci_u32_e64 v11, null, s17, v11, vcc_lo
	v_add_co_u32 v10, vcc_lo, v10, v8
	v_add_co_ci_u32_e64 v11, null, v11, v9, vcc_lo
	global_load_dword v30, v[10:11], off
	s_waitcnt vmcnt(0)
	v_cmp_ne_u32_e32 vcc_lo, 0, v30
	s_and_b32 exec_lo, exec_lo, vcc_lo
	s_cbranch_execz .LBB3_75
; %bb.10:
	s_load_dwordx8 s[36:43], s[4:5], 0x70
	s_add_u32 s0, s20, 1
	s_addc_u32 s1, s21, 0
	s_waitcnt lgkmcnt(0)
	s_mul_i32 s1, s40, s1
	s_mul_hi_u32 s2, s40, s0
	s_mul_i32 s3, s41, s0
	s_add_i32 s1, s2, s1
	s_mul_i32 s0, s40, s0
	s_add_i32 s1, s1, s3
	v_mul_lo_u32 v12, s0, v5
	v_mad_u64_u32 v[10:11], null, s0, v4, 0
	v_mul_lo_u32 v13, s1, v4
	v_mul_lo_u32 v14, v4, s39
	;; [unrolled: 1-line block ×3, first 2 shown]
	s_load_dword s1, s[4:5], 0x0
	v_add3_u32 v11, v11, v12, v13
	v_mad_u64_u32 v[12:13], null, v4, s38, v[6:7]
	v_lshlrev_b64 v[10:11], 2, v[10:11]
	v_add3_u32 v13, v15, v13, v14
	v_add_co_u32 v10, vcc_lo, s18, v10
	v_add_co_ci_u32_e64 v11, null, s19, v11, vcc_lo
	v_mul_lo_u32 v13, v13, s36
	v_add_co_u32 v8, vcc_lo, v10, v8
	v_add_co_ci_u32_e64 v9, null, v11, v9, vcc_lo
	s_waitcnt lgkmcnt(0)
	s_and_b32 s0, s1, -3
	s_cmp_lg_u32 s0, 0
	global_load_dwordx2 v[10:11], v[8:9], off
	v_mul_lo_u32 v8, v3, s26
	v_mul_lo_u32 v9, v2, s27
	v_mad_u64_u32 v[2:3], null, v2, s26, 0
	v_add3_u32 v3, v3, v9, v8
	v_sub_co_u32 v6, vcc_lo, v0, v2
	v_sub_co_ci_u32_e64 v7, null, v1, v3, vcc_lo
	v_mad_u64_u32 v[8:9], null, v12, s36, v[6:7]
	v_mul_lo_u32 v12, v12, s37
	v_add3_u32 v9, v13, v9, v12
	s_cbranch_scc0 .LBB3_25
; %bb.11:
	s_cmp_lt_i32 s1, 3
	s_mov_b32 s0, -1
	s_cbranch_scc1 .LBB3_39
; %bb.12:
	s_cmp_lt_i32 s1, 4
	s_cbranch_scc1 .LBB3_28
; %bb.13:
	s_cmp_eq_u32 s1, 4
	s_cbranch_scc0 .LBB3_27
; %bb.14:
	s_mov_b32 s16, exec_lo
	s_waitcnt vmcnt(0)
	v_cmpx_lt_i32_e64 v10, v11
	s_cbranch_execz .LBB3_26
; %bb.15:
	v_lshlrev_b64 v[14:15], 1, v[8:9]
	v_mul_lo_u32 v16, s31, v4
	v_mul_lo_u32 v19, s30, v5
	v_mad_u64_u32 v[17:18], null, s30, v4, 0
	s_load_dword s17, s[4:5], 0x48
	v_add_co_u32 v12, vcc_lo, s10, v14
	v_add_co_ci_u32_e64 v13, null, s11, v15, vcc_lo
	v_add_co_u32 v14, vcc_lo, s12, v14
	v_add_co_ci_u32_e64 v15, null, s13, v15, vcc_lo
	global_load_ushort v24, v[12:13], off
	global_load_ushort v25, v[14:15], off
	v_ashrrev_i32_e32 v15, 31, v10
	v_mov_b32_e32 v14, v10
	v_add3_u32 v18, v18, v19, v16
	v_mul_lo_u32 v26, v17, s29
	s_lshl_b64 s[2:3], s[28:29], 1
	s_mov_b64 s[4:5], 0
	v_lshlrev_b64 v[19:20], 1, v[14:15]
	v_lshlrev_b64 v[21:22], 1, v[17:18]
	v_mad_u64_u32 v[16:17], null, v17, s28, v[6:7]
	v_mul_lo_u32 v29, v18, s28
	v_mov_b32_e32 v18, v11
	s_mov_b32 s18, 0
	v_add_co_u32 v21, vcc_lo, v21, v19
	v_add_co_ci_u32_e64 v22, null, v22, v20, vcc_lo
	v_lshlrev_b64 v[19:20], 1, v[0:1]
	v_mul_lo_u32 v28, s29, v21
	v_add3_u32 v17, v29, v17, v26
	v_mul_lo_u32 v27, s28, v22
	v_lshlrev_b64 v[22:23], 1, v[2:3]
	v_mad_u64_u32 v[20:21], null, s28, v21, v[19:20]
	v_ashrrev_i32_e32 v19, 31, v11
	v_add3_u32 v21, v28, v21, v27
	v_sub_co_u32 v20, vcc_lo, v20, v22
	v_sub_co_ci_u32_e64 v21, null, v21, v23, vcc_lo
	v_add_co_u32 v20, vcc_lo, s14, v20
	v_mov_b32_e32 v23, v15
	v_add_co_ci_u32_e64 v21, null, s15, v21, vcc_lo
	v_mov_b32_e32 v22, v14
	s_waitcnt vmcnt(0)
	v_mul_f16_e32 v31, v24, v25
	v_cvt_f32_f16_e32 v32, v31
	s_branch .LBB3_18
.LBB3_16:                               ;   in Loop: Header=BB3_18 Depth=1
	s_or_b32 exec_lo, exec_lo, s20
	global_load_ushort v26, v[12:13], off
	s_waitcnt vmcnt(0)
	v_mul_f16_e32 v26, v26, v33
.LBB3_17:                               ;   in Loop: Header=BB3_18 Depth=1
	s_or_b32 exec_lo, exec_lo, s19
	v_add_co_u32 v22, vcc_lo, v22, 1
	v_add_co_ci_u32_e64 v23, null, 0, v23, vcc_lo
	v_add_co_u32 v24, s0, s8, v24
	v_add_co_ci_u32_e64 v25, null, s9, v25, s0
	v_cmp_ge_i64_e32 vcc_lo, v[22:23], v[18:19]
	s_add_u32 s4, s4, 1
	s_addc_u32 s5, s5, 0
	global_store_short v[24:25], v26, off
	s_or_b32 s18, vcc_lo, s18
	s_andn2_b32 exec_lo, exec_lo, s18
	s_cbranch_execz .LBB3_26
.LBB3_18:                               ; =>This Loop Header: Depth=1
                                        ;     Child Loop BB3_23 Depth 2
	v_mad_u64_u32 v[24:25], null, v22, s28, v[16:17]
	v_mul_lo_u32 v26, v22, s29
	v_mul_lo_u32 v27, v23, s28
	s_mov_b32 s0, exec_lo
	v_add3_u32 v25, v27, v25, v26
	v_lshlrev_b64 v[24:25], 1, v[24:25]
	v_add_co_u32 v26, vcc_lo, s14, v24
	v_add_co_ci_u32_e64 v27, null, s15, v25, vcc_lo
	global_load_ushort v27, v[26:27], off
                                        ; implicit-def: $vgpr26
	s_waitcnt vmcnt(0)
	v_cmpx_lg_f16_e32 0, v27
	s_xor_b32 s0, exec_lo, s0
	s_cbranch_execz .LBB3_20
; %bb.19:                               ;   in Loop: Header=BB3_18 Depth=1
	v_cvt_f32_f16_e32 v26, v27
	v_rcp_f32_e32 v26, v26
	v_mul_f32_e32 v28, v32, v26
	v_fma_mix_f32 v29, -v27, v28, v31 op_sel_hi:[1,0,1]
	v_fmac_f32_e32 v28, v29, v26
	v_fma_mix_f32 v29, -v27, v28, v31 op_sel_hi:[1,0,1]
	v_mul_f32_e32 v26, v29, v26
	v_and_b32_e32 v26, 0xff800000, v26
	v_add_f32_e32 v26, v26, v28
	v_cvt_f16_f32_e32 v26, v26
	v_div_fixup_f16 v26, v26, v27, v31
.LBB3_20:                               ;   in Loop: Header=BB3_18 Depth=1
	s_andn2_saveexec_b32 s19, s0
	s_cbranch_execz .LBB3_17
; %bb.21:                               ;   in Loop: Header=BB3_18 Depth=1
	v_mov_b32_e32 v27, v21
	v_mov_b32_e32 v29, v15
	s_waitcnt lgkmcnt(0)
	v_mov_b32_e32 v33, s17
	v_mov_b32_e32 v26, v20
	;; [unrolled: 1-line block ×3, first 2 shown]
	s_mov_b32 s20, 0
	s_mov_b64 s[6:7], s[4:5]
	s_branch .LBB3_23
	.p2align	6
.LBB3_22:                               ;   in Loop: Header=BB3_23 Depth=2
	v_add_co_u32 v28, vcc_lo, v28, 1
	v_add_co_ci_u32_e64 v29, null, 0, v29, vcc_lo
	v_add_co_u32 v26, s0, v26, s2
	v_add_co_ci_u32_e64 v27, null, s3, v27, s0
	v_cmp_ge_i64_e32 vcc_lo, v[28:29], v[18:19]
	s_add_u32 s6, s6, -1
	s_addc_u32 s7, s7, -1
	s_or_b32 s20, vcc_lo, s20
	s_andn2_b32 exec_lo, exec_lo, s20
	s_cbranch_execz .LBB3_16
.LBB3_23:                               ;   Parent Loop BB3_18 Depth=1
                                        ; =>  This Inner Loop Header: Depth=2
	s_cmp_eq_u64 s[6:7], 0
	s_cbranch_scc1 .LBB3_22
; %bb.24:                               ;   in Loop: Header=BB3_23 Depth=2
	global_load_ushort v34, v[26:27], off
	s_waitcnt vmcnt(0)
	v_mul_f16_e32 v33, v34, v33
	s_branch .LBB3_22
.LBB3_25:
	s_cbranch_execnz .LBB3_51
	s_branch .LBB3_75
.LBB3_26:
	s_or_b32 exec_lo, exec_lo, s16
.LBB3_27:
	s_mov_b32 s0, 0
.LBB3_28:
	s_andn2_b32 vcc_lo, exec_lo, s0
	s_cbranch_vccnz .LBB3_38
; %bb.29:
	s_mov_b32 s4, exec_lo
	s_waitcnt vmcnt(0)
	v_cmpx_lt_i32_e64 v10, v11
	s_cbranch_execz .LBB3_37
; %bb.30:
	v_lshlrev_b64 v[12:13], 1, v[8:9]
	v_ashrrev_i32_e32 v15, 31, v10
	v_mul_lo_u32 v20, s31, v4
	v_mul_lo_u32 v21, s30, v5
	v_mad_u64_u32 v[16:17], null, s30, v4, 0
	v_add_co_u32 v12, vcc_lo, s10, v12
	v_add_co_ci_u32_e64 v13, null, s11, v13, vcc_lo
	v_sub_co_u32 v18, vcc_lo, v11, v10
	s_cmp_eq_u64 s[28:29], 1
	global_load_ushort v26, v[12:13], off
	v_ashrrev_i32_e32 v13, 31, v11
	v_mov_b32_e32 v12, v11
	v_mov_b32_e32 v14, v10
	v_add3_u32 v17, v17, v21, v20
	s_cselect_b32 s0, -1, 0
	v_sub_co_ci_u32_e64 v19, null, v13, v15, vcc_lo
	v_cmp_lt_u64_e32 vcc_lo, 1, v[18:19]
	s_and_b32 s3, vcc_lo, s0
	s_mov_b32 s0, -1
	s_and_saveexec_b32 s2, s3
	s_cbranch_execz .LBB3_34
; %bb.31:
	v_mul_lo_u32 v22, v17, s28
	v_mul_lo_u32 v23, v16, s29
	v_mad_u64_u32 v[20:21], null, v16, s28, 0
	v_lshlrev_b64 v[24:25], 1, v[6:7]
	s_mov_b32 s3, 0
	v_add3_u32 v21, v21, v23, v22
	v_lshlrev_b64 v[22:23], 1, v[20:21]
	v_mov_b32_e32 v21, v19
	v_and_b32_e32 v20, -2, v18
	v_add_co_u32 v27, vcc_lo, s8, v22
	v_add_co_ci_u32_e64 v28, null, s9, v23, vcc_lo
	v_lshlrev_b64 v[22:23], 1, v[14:15]
	v_add_co_u32 v24, vcc_lo, v27, v24
	v_add_co_ci_u32_e64 v25, null, v28, v25, vcc_lo
	s_waitcnt vmcnt(0)
	v_perm_b32 v27, v26, v26, 0x5040100
	v_add_co_u32 v22, vcc_lo, v24, v22
	v_add_co_ci_u32_e64 v23, null, v25, v23, vcc_lo
	v_mov_b32_e32 v25, v21
	v_mov_b32_e32 v24, v20
.LBB3_32:                               ; =>This Inner Loop Header: Depth=1
	v_add_co_u32 v24, vcc_lo, v24, -2
	v_add_co_ci_u32_e64 v25, null, -1, v25, vcc_lo
	global_store_dword v[22:23], v27, off
	v_add_co_u32 v22, s0, v22, 4
	v_cmp_eq_u64_e32 vcc_lo, 0, v[24:25]
	v_add_co_ci_u32_e64 v23, null, 0, v23, s0
	s_or_b32 s3, vcc_lo, s3
	s_andn2_b32 exec_lo, exec_lo, s3
	s_cbranch_execnz .LBB3_32
; %bb.33:
	s_or_b32 exec_lo, exec_lo, s3
	v_cmp_ne_u64_e32 vcc_lo, v[18:19], v[20:21]
	v_add_co_u32 v14, s0, v20, v14
	v_add_co_ci_u32_e64 v15, null, v21, v15, s0
	s_orn2_b32 s0, vcc_lo, exec_lo
.LBB3_34:
	s_or_b32 exec_lo, exec_lo, s2
	s_and_b32 exec_lo, exec_lo, s0
	s_cbranch_execz .LBB3_37
; %bb.35:
	v_lshlrev_b64 v[16:17], 1, v[16:17]
	v_lshlrev_b64 v[18:19], 1, v[14:15]
	s_lshl_b64 s[2:3], s[28:29], 1
	s_mov_b32 s5, 0
	v_add_co_u32 v18, vcc_lo, v16, v18
	v_add_co_ci_u32_e64 v19, null, v17, v19, vcc_lo
	v_lshlrev_b64 v[16:17], 1, v[0:1]
	v_mul_lo_u32 v21, s29, v18
	v_mul_lo_u32 v20, s28, v19
	v_mad_u64_u32 v[16:17], null, s28, v18, v[16:17]
	v_lshlrev_b64 v[18:19], 1, v[2:3]
	v_add3_u32 v17, v21, v17, v20
	v_sub_co_u32 v16, vcc_lo, v16, v18
	v_sub_co_ci_u32_e64 v17, null, v17, v19, vcc_lo
	v_add_co_u32 v16, vcc_lo, s8, v16
	v_add_co_ci_u32_e64 v17, null, s9, v17, vcc_lo
.LBB3_36:                               ; =>This Inner Loop Header: Depth=1
	v_add_co_u32 v14, vcc_lo, v14, 1
	v_add_co_ci_u32_e64 v15, null, 0, v15, vcc_lo
	s_waitcnt vmcnt(0)
	global_store_short v[16:17], v26, off
	v_add_co_u32 v16, s0, v16, s2
	v_cmp_ge_i64_e32 vcc_lo, v[14:15], v[12:13]
	v_add_co_ci_u32_e64 v17, null, s3, v17, s0
	s_or_b32 s5, vcc_lo, s5
	s_andn2_b32 exec_lo, exec_lo, s5
	s_cbranch_execnz .LBB3_36
.LBB3_37:
	s_or_b32 exec_lo, exec_lo, s4
.LBB3_38:
	s_mov_b32 s0, 0
.LBB3_39:
	s_andn2_b32 vcc_lo, exec_lo, s0
	s_cbranch_vccnz .LBB3_50
; %bb.40:
	s_cmp_lg_u32 s1, 1
	s_cbranch_scc1 .LBB3_50
; %bb.41:
	s_mov_b32 s1, exec_lo
	s_waitcnt vmcnt(0)
	v_cmpx_lt_i32_e64 v10, v11
	s_cbranch_execz .LBB3_49
; %bb.42:
	v_lshlrev_b64 v[12:13], 1, v[8:9]
	v_ashrrev_i32_e32 v15, 31, v10
	v_mul_lo_u32 v22, s31, v4
	v_mul_lo_u32 v23, s30, v5
	v_mad_u64_u32 v[16:17], null, s30, v4, 0
	v_add_co_u32 v12, vcc_lo, s10, v12
	v_add_co_ci_u32_e64 v13, null, s11, v13, vcc_lo
	v_sub_co_u32 v18, vcc_lo, v11, v10
	s_cmp_eq_u64 s[28:29], 1
	global_load_ushort v20, v[12:13], off
	v_cvt_f32_i32_e32 v12, v30
	v_add3_u32 v17, v17, v23, v22
	s_cselect_b32 s0, -1, 0
	v_cvt_f16_f32_e32 v21, v12
	v_cvt_f32_f16_e32 v12, v21
	v_rcp_f32_e32 v12, v12
	s_waitcnt vmcnt(0)
	v_cvt_f32_f16_e32 v13, v20
	v_mul_f32_e32 v14, v13, v12
	v_fma_mix_f32 v13, -v21, v14, v20 op_sel_hi:[1,0,1]
	v_fmac_f32_e32 v14, v13, v12
	v_fma_mix_f32 v13, -v21, v14, v20 op_sel_hi:[1,0,1]
	v_mul_f32_e32 v12, v13, v12
	v_ashrrev_i32_e32 v13, 31, v11
	v_and_b32_e32 v12, 0xff800000, v12
	v_sub_co_ci_u32_e64 v19, null, v13, v15, vcc_lo
	v_add_f32_e32 v14, v12, v14
	v_cmp_lt_u64_e32 vcc_lo, 1, v[18:19]
	v_mov_b32_e32 v12, v11
	v_cvt_f16_f32_e32 v24, v14
	v_mov_b32_e32 v14, v10
	s_and_b32 s3, vcc_lo, s0
	s_mov_b32 s0, -1
	v_div_fixup_f16 v26, v24, v21, v20
	s_and_saveexec_b32 s2, s3
	s_cbranch_execz .LBB3_46
; %bb.43:
	v_mul_lo_u32 v22, v17, s28
	v_mul_lo_u32 v23, v16, s29
	v_mad_u64_u32 v[20:21], null, v16, s28, 0
	v_lshlrev_b64 v[24:25], 1, v[6:7]
	s_mov_b32 s3, 0
	v_add3_u32 v21, v21, v23, v22
	v_lshlrev_b64 v[22:23], 1, v[20:21]
	v_mov_b32_e32 v21, v19
	v_and_b32_e32 v20, -2, v18
	v_add_co_u32 v27, vcc_lo, s8, v22
	v_add_co_ci_u32_e64 v28, null, s9, v23, vcc_lo
	v_lshlrev_b64 v[22:23], 1, v[14:15]
	v_add_co_u32 v24, vcc_lo, v27, v24
	v_add_co_ci_u32_e64 v25, null, v28, v25, vcc_lo
	v_perm_b32 v27, v26, v26, 0x5040100
	v_add_co_u32 v22, vcc_lo, v24, v22
	v_add_co_ci_u32_e64 v23, null, v25, v23, vcc_lo
	v_mov_b32_e32 v25, v21
	v_mov_b32_e32 v24, v20
.LBB3_44:                               ; =>This Inner Loop Header: Depth=1
	v_add_co_u32 v24, vcc_lo, v24, -2
	v_add_co_ci_u32_e64 v25, null, -1, v25, vcc_lo
	global_store_dword v[22:23], v27, off
	v_add_co_u32 v22, s0, v22, 4
	v_cmp_eq_u64_e32 vcc_lo, 0, v[24:25]
	v_add_co_ci_u32_e64 v23, null, 0, v23, s0
	s_or_b32 s3, vcc_lo, s3
	s_andn2_b32 exec_lo, exec_lo, s3
	s_cbranch_execnz .LBB3_44
; %bb.45:
	s_or_b32 exec_lo, exec_lo, s3
	v_cmp_ne_u64_e32 vcc_lo, v[18:19], v[20:21]
	v_add_co_u32 v14, s0, v20, v14
	v_add_co_ci_u32_e64 v15, null, v21, v15, s0
	s_orn2_b32 s0, vcc_lo, exec_lo
.LBB3_46:
	s_or_b32 exec_lo, exec_lo, s2
	s_and_b32 exec_lo, exec_lo, s0
	s_cbranch_execz .LBB3_49
; %bb.47:
	v_lshlrev_b64 v[16:17], 1, v[16:17]
	v_lshlrev_b64 v[18:19], 1, v[14:15]
	s_lshl_b64 s[2:3], s[28:29], 1
	s_mov_b32 s4, 0
	v_add_co_u32 v18, vcc_lo, v16, v18
	v_add_co_ci_u32_e64 v19, null, v17, v19, vcc_lo
	v_lshlrev_b64 v[16:17], 1, v[0:1]
	v_mul_lo_u32 v21, s29, v18
	v_mul_lo_u32 v20, s28, v19
	v_mad_u64_u32 v[16:17], null, s28, v18, v[16:17]
	v_lshlrev_b64 v[18:19], 1, v[2:3]
	v_add3_u32 v17, v21, v17, v20
	v_sub_co_u32 v16, vcc_lo, v16, v18
	v_sub_co_ci_u32_e64 v17, null, v17, v19, vcc_lo
	v_add_co_u32 v16, vcc_lo, s8, v16
	v_add_co_ci_u32_e64 v17, null, s9, v17, vcc_lo
.LBB3_48:                               ; =>This Inner Loop Header: Depth=1
	v_add_co_u32 v14, vcc_lo, v14, 1
	v_add_co_ci_u32_e64 v15, null, 0, v15, vcc_lo
	global_store_short v[16:17], v26, off
	v_add_co_u32 v16, s0, v16, s2
	v_cmp_ge_i64_e32 vcc_lo, v[14:15], v[12:13]
	v_add_co_ci_u32_e64 v17, null, s3, v17, s0
	s_or_b32 s4, vcc_lo, s4
	s_andn2_b32 exec_lo, exec_lo, s4
	s_cbranch_execnz .LBB3_48
.LBB3_49:
	s_or_b32 exec_lo, exec_lo, s1
.LBB3_50:
	s_branch .LBB3_75
.LBB3_51:
	v_mov_b32_e32 v16, 0
	s_waitcnt vmcnt(0)
	v_ashrrev_i32_e32 v13, 31, v10
	v_mov_b32_e32 v12, v10
	v_ashrrev_i32_e32 v15, 31, v11
	v_mov_b32_e32 v14, v11
	v_mov_b32_e32 v17, 0
	s_mov_b32 s4, exec_lo
	v_cmp_ge_i32_e32 vcc_lo, v10, v11
	v_cmpx_lt_i32_e64 v10, v11
	s_cbranch_execz .LBB3_59
; %bb.52:
	v_mad_u64_u32 v[10:11], null, v4, s30, v[12:13]
	v_mul_lo_u32 v16, v4, s31
	v_mul_lo_u32 v17, v5, s30
	v_mov_b32_e32 v21, v13
	v_mov_b32_e32 v20, v12
	s_lshl_b64 s[2:3], s[28:29], 1
	s_mov_b32 s5, 0
	v_mul_lo_u32 v18, s29, v10
	v_add3_u32 v16, v17, v11, v16
	v_mad_u64_u32 v[10:11], null, s28, v10, v[0:1]
	v_mul_lo_u32 v19, s28, v16
	v_lshlrev_b64 v[16:17], 1, v[8:9]
	v_add_co_u32 v8, s0, s12, v16
	v_add3_u32 v11, v18, v11, v19
	v_add_co_ci_u32_e64 v9, null, s13, v17, s0
	v_sub_co_u32 v18, s0, v10, v2
	v_sub_co_ci_u32_e64 v19, null, v11, v3, s0
	v_add_co_u32 v10, s0, s10, v16
	v_add_co_ci_u32_e64 v11, null, s11, v17, s0
	v_lshlrev_b64 v[18:19], 1, v[18:19]
	v_mov_b32_e32 v16, 0
	v_mov_b32_e32 v17, 0
	s_inst_prefetch 0x1
	s_branch .LBB3_54
	.p2align	6
.LBB3_53:                               ;   in Loop: Header=BB3_54 Depth=1
	s_or_b32 exec_lo, exec_lo, s1
	v_add_co_u32 v20, s0, v20, 1
	v_add_co_ci_u32_e64 v21, null, 0, v21, s0
	v_add_co_u32 v18, s1, v18, s2
	v_add_co_ci_u32_e64 v19, null, s3, v19, s1
	v_cmp_ge_i64_e64 s0, v[20:21], v[14:15]
	s_or_b32 s5, s0, s5
	s_andn2_b32 exec_lo, exec_lo, s5
	s_cbranch_execz .LBB3_58
.LBB3_54:                               ; =>This Inner Loop Header: Depth=1
	v_add_co_u32 v22, s0, s14, v18
	v_add_co_ci_u32_e64 v23, null, s15, v19, s0
	s_mov_b32 s1, exec_lo
	global_load_ushort v22, v[22:23], off
	s_waitcnt vmcnt(0)
	v_cmp_u_f16_e64 s6, v22, v22
	v_cmpx_o_f16_e32 v22, v22
	s_cbranch_execz .LBB3_56
; %bb.55:                               ;   in Loop: Header=BB3_54 Depth=1
	global_load_ushort v23, v[8:9], off
	s_andn2_b32 s6, s6, exec_lo
	s_waitcnt vmcnt(0)
	v_cmp_eq_f16_e64 s0, v22, v23
	s_and_b32 s0, s0, exec_lo
	s_or_b32 s6, s6, s0
.LBB3_56:                               ;   in Loop: Header=BB3_54 Depth=1
	s_or_b32 exec_lo, exec_lo, s1
	s_and_saveexec_b32 s1, s6
	s_cbranch_execz .LBB3_53
; %bb.57:                               ;   in Loop: Header=BB3_54 Depth=1
	global_load_ushort v24, v[10:11], off
	v_add_co_u32 v22, s0, s8, v18
	v_add_co_ci_u32_e64 v23, null, s9, v19, s0
	v_add_co_u32 v16, s0, v16, 1
	v_add_co_ci_u32_e64 v17, null, 0, v17, s0
	s_waitcnt vmcnt(0)
	global_store_short v[22:23], v24, off
	s_branch .LBB3_53
.LBB3_58:
	s_inst_prefetch 0x2
	s_or_b32 exec_lo, exec_lo, s5
.LBB3_59:
	s_or_b32 exec_lo, exec_lo, s4
	v_cmp_lt_i64_e64 s0, 1, v[16:17]
	s_xor_b32 s1, vcc_lo, -1
	s_and_b32 s0, s0, s1
	s_and_b32 exec_lo, exec_lo, s0
	s_cbranch_execz .LBB3_75
; %bb.60:
	v_ffbh_u32_e32 v8, v17
	v_mul_lo_u32 v11, s31, v4
	s_mov_b32 s2, exec_lo
	v_min_u32_e32 v10, 32, v8
	v_lshlrev_b64 v[8:9], v10, v[16:17]
	v_sub_nc_u32_e32 v10, 32, v10
	v_mul_lo_u32 v16, s30, v5
	v_mad_u64_u32 v[4:5], null, s30, v4, 0
	v_min_u32_e32 v8, 1, v8
	v_add3_u32 v5, v5, v16, v11
	v_or_b32_e32 v8, v9, v8
	v_cvt_f32_u32_e32 v17, v8
	v_sub_co_u32 v8, vcc_lo, v14, v12
	v_sub_co_ci_u32_e64 v9, null, v15, v13, vcc_lo
	v_ldexp_f32 v10, v17, v10
	v_cmp_gt_u64_e64 s1, 16, v[8:9]
	v_cvt_f16_f32_e32 v18, v10
	v_cmpx_lt_u64_e32 15, v[8:9]
	s_cbranch_execz .LBB3_70
; %bb.61:
	v_add_co_u32 v6, vcc_lo, v4, v6
	v_add_co_ci_u32_e64 v7, null, v5, v7, vcc_lo
	v_not_b32_e32 v10, v12
	v_add_co_u32 v6, vcc_lo, v6, v12
	v_not_b32_e32 v11, v13
	v_add_co_ci_u32_e64 v7, null, v7, v13, vcc_lo
	v_add_co_u32 v10, vcc_lo, v10, v14
	v_add_co_ci_u32_e64 v11, null, v11, v15, vcc_lo
	v_lshlrev_b64 v[6:7], 1, v[6:7]
	s_cmp_eq_u64 s[28:29], 1
	v_lshlrev_b64 v[16:17], 1, v[10:11]
	s_cselect_b32 s3, -1, 0
	v_add_co_u32 v6, vcc_lo, s8, v6
	v_add_co_ci_u32_e64 v7, null, s9, v7, vcc_lo
	v_add_co_u32 v16, vcc_lo, v6, v16
	v_add_co_ci_u32_e64 v17, null, v7, v17, vcc_lo
	v_cmp_lt_i64_e32 vcc_lo, -1, v[10:11]
	v_cmp_ge_u64_e64 s0, v[16:17], v[6:7]
	s_and_b32 s0, s0, vcc_lo
	s_and_b32 s4, s3, s0
	s_mov_b32 s0, -1
	s_and_saveexec_b32 s3, s4
	s_cbranch_execz .LBB3_69
; %bb.62:
	v_lshlrev_b64 v[10:11], 1, v[4:5]
	v_lshlrev_b64 v[16:17], 1, v[0:1]
	;; [unrolled: 1-line block ×3, first 2 shown]
	v_and_b32_e32 v6, -2, v8
	s_mov_b32 s4, 0
	v_add_co_u32 v7, vcc_lo, v10, v16
	v_add_co_ci_u32_e64 v16, null, v11, v17, vcc_lo
	v_lshlrev_b64 v[10:11], 1, v[2:3]
	v_add_co_u32 v17, vcc_lo, v7, v19
	v_add_co_ci_u32_e64 v16, null, v16, v20, vcc_lo
	v_mov_b32_e32 v7, v9
	v_sub_co_u32 v10, vcc_lo, v17, v10
	v_sub_co_ci_u32_e64 v11, null, v16, v11, vcc_lo
	v_cvt_f32_f16_e32 v16, v18
	v_add_co_u32 v10, vcc_lo, s8, v10
	v_add_co_ci_u32_e64 v11, null, s9, v11, vcc_lo
	v_rcp_f32_e32 v19, v16
	v_add_co_u32 v10, vcc_lo, v10, 2
	v_mov_b32_e32 v17, v7
	v_add_co_ci_u32_e64 v11, null, 0, v11, vcc_lo
	v_mov_b32_e32 v16, v6
	s_branch .LBB3_64
.LBB3_63:                               ;   in Loop: Header=BB3_64 Depth=1
	s_or_b32 exec_lo, exec_lo, s0
	v_add_co_u32 v16, vcc_lo, v16, -2
	v_add_co_ci_u32_e64 v17, null, -1, v17, vcc_lo
	v_add_co_u32 v10, s0, v10, 4
	v_add_co_ci_u32_e64 v11, null, 0, v11, s0
	v_cmp_eq_u64_e32 vcc_lo, 0, v[16:17]
	s_or_b32 s4, vcc_lo, s4
	s_andn2_b32 exec_lo, exec_lo, s4
	s_cbranch_execz .LBB3_68
.LBB3_64:                               ; =>This Inner Loop Header: Depth=1
	global_load_dword v21, v[10:11], off offset:-2
	s_mov_b32 s5, exec_lo
	s_waitcnt vmcnt(0)
	v_lshrrev_b32_e32 v20, 16, v21
	v_cmp_lt_f16_e32 vcc_lo, 0, v20
	v_cmpx_lt_f16_e32 0, v21
	s_cbranch_execz .LBB3_66
; %bb.65:                               ;   in Loop: Header=BB3_64 Depth=1
	v_cvt_f32_f16_e32 v22, v21
	v_mul_f32_e32 v22, v22, v19
	v_fma_mix_f32 v23, -v18, v22, v21 op_sel_hi:[1,0,1]
	v_fmac_f32_e32 v22, v23, v19
	v_fma_mix_f32 v23, -v18, v22, v21 op_sel_hi:[1,0,1]
	v_mul_f32_e32 v23, v23, v19
	v_and_b32_e32 v23, 0xff800000, v23
	v_add_f32_e32 v22, v23, v22
	v_cvt_f16_f32_e32 v22, v22
	v_div_fixup_f16 v22, v22, v18, v21
	global_store_short v[10:11], v22, off offset:-2
.LBB3_66:                               ;   in Loop: Header=BB3_64 Depth=1
	s_or_b32 exec_lo, exec_lo, s5
	s_and_saveexec_b32 s0, vcc_lo
	s_cbranch_execz .LBB3_63
; %bb.67:                               ;   in Loop: Header=BB3_64 Depth=1
	v_cvt_f32_f16_e32 v22, v20
	v_mul_f32_e32 v22, v22, v19
	v_fma_mix_f32 v23, -v18, v22, v21 op_sel:[0,0,1] op_sel_hi:[1,0,1]
	v_fmac_f32_e32 v22, v23, v19
	v_fma_mix_f32 v21, -v18, v22, v21 op_sel:[0,0,1] op_sel_hi:[1,0,1]
	v_mul_f32_e32 v21, v21, v19
	v_and_b32_e32 v21, 0xff800000, v21
	v_add_f32_e32 v21, v21, v22
	v_cvt_f16_f32_e32 v21, v21
	v_div_fixup_f16 v20, v21, v18, v20
	global_store_short v[10:11], v20, off
	s_branch .LBB3_63
.LBB3_68:
	s_or_b32 exec_lo, exec_lo, s4
	v_cmp_ne_u64_e32 vcc_lo, v[8:9], v[6:7]
	v_add_co_u32 v12, s0, v6, v12
	v_add_co_ci_u32_e64 v13, null, v7, v13, s0
	s_orn2_b32 s0, vcc_lo, exec_lo
.LBB3_69:
	s_or_b32 exec_lo, exec_lo, s3
	s_andn2_b32 s1, s1, exec_lo
	s_and_b32 s0, s0, exec_lo
	s_or_b32 s1, s1, s0
.LBB3_70:
	s_or_b32 exec_lo, exec_lo, s2
	s_and_b32 exec_lo, exec_lo, s1
	s_cbranch_execz .LBB3_75
; %bb.71:
	v_lshlrev_b64 v[4:5], 1, v[4:5]
	v_lshlrev_b64 v[6:7], 1, v[12:13]
	;; [unrolled: 1-line block ×4, first 2 shown]
	s_lshl_b64 s[2:3], s[28:29], 1
	s_mov_b32 s1, 0
	v_add_co_u32 v4, vcc_lo, v4, v6
	v_add_co_ci_u32_e64 v5, null, v5, v7, vcc_lo
	v_mul_lo_u32 v6, s29, v4
	v_mad_u64_u32 v[0:1], null, s28, v4, v[0:1]
	v_mul_lo_u32 v5, s28, v5
	v_cvt_f32_f16_e32 v4, v18
	v_sub_co_u32 v0, vcc_lo, v0, v2
	v_add3_u32 v1, v6, v1, v5
	v_rcp_f32_e32 v2, v4
	v_sub_co_ci_u32_e64 v1, null, v1, v3, vcc_lo
	v_add_co_u32 v0, vcc_lo, s8, v0
	v_add_co_ci_u32_e64 v1, null, s9, v1, vcc_lo
	s_inst_prefetch 0x1
	s_branch .LBB3_73
	.p2align	6
.LBB3_72:                               ;   in Loop: Header=BB3_73 Depth=1
	s_or_b32 exec_lo, exec_lo, s0
	v_add_co_u32 v12, vcc_lo, v12, 1
	v_add_co_ci_u32_e64 v13, null, 0, v13, vcc_lo
	v_add_co_u32 v0, s0, v0, s2
	v_add_co_ci_u32_e64 v1, null, s3, v1, s0
	v_cmp_ge_i64_e32 vcc_lo, v[12:13], v[14:15]
	s_or_b32 s1, vcc_lo, s1
	s_andn2_b32 exec_lo, exec_lo, s1
	s_cbranch_execz .LBB3_75
.LBB3_73:                               ; =>This Inner Loop Header: Depth=1
	global_load_ushort v3, v[0:1], off
	s_mov_b32 s0, exec_lo
	s_waitcnt vmcnt(0)
	v_cmpx_lt_f16_e32 0, v3
	s_cbranch_execz .LBB3_72
; %bb.74:                               ;   in Loop: Header=BB3_73 Depth=1
	v_cvt_f32_f16_e32 v4, v3
	v_mul_f32_e32 v4, v4, v2
	v_fma_mix_f32 v5, -v18, v4, v3 op_sel_hi:[1,0,1]
	v_fmac_f32_e32 v4, v5, v2
	v_fma_mix_f32 v5, -v18, v4, v3 op_sel_hi:[1,0,1]
	v_mul_f32_e32 v5, v5, v2
	v_and_b32_e32 v5, 0xff800000, v5
	v_add_f32_e32 v4, v5, v4
	v_cvt_f16_f32_e32 v4, v4
	v_div_fixup_f16 v3, v4, v18, v3
	global_store_short v[0:1], v3, off
	s_branch .LBB3_72
.LBB3_75:
	s_inst_prefetch 0x2
	s_endpgm
	.section	.rodata,"a",@progbits
	.p2align	6, 0x0
	.amdhsa_kernel _ZN2at6native12_GLOBAL__N_130segment_reduce_backward_kernelIN3c104HalfEiEEvNS0_13ReductionTypeEPT_PKS6_S9_S9_PKT0_SC_llS6_lllllll
		.amdhsa_group_segment_fixed_size 0
		.amdhsa_private_segment_fixed_size 0
		.amdhsa_kernarg_size 392
		.amdhsa_user_sgpr_count 6
		.amdhsa_user_sgpr_private_segment_buffer 1
		.amdhsa_user_sgpr_dispatch_ptr 0
		.amdhsa_user_sgpr_queue_ptr 0
		.amdhsa_user_sgpr_kernarg_segment_ptr 1
		.amdhsa_user_sgpr_dispatch_id 0
		.amdhsa_user_sgpr_flat_scratch_init 0
		.amdhsa_user_sgpr_private_segment_size 0
		.amdhsa_wavefront_size32 1
		.amdhsa_uses_dynamic_stack 0
		.amdhsa_system_sgpr_private_segment_wavefront_offset 0
		.amdhsa_system_sgpr_workgroup_id_x 1
		.amdhsa_system_sgpr_workgroup_id_y 0
		.amdhsa_system_sgpr_workgroup_id_z 0
		.amdhsa_system_sgpr_workgroup_info 0
		.amdhsa_system_vgpr_workitem_id 0
		.amdhsa_next_free_vgpr 35
		.amdhsa_next_free_sgpr 44
		.amdhsa_reserve_vcc 1
		.amdhsa_reserve_flat_scratch 0
		.amdhsa_float_round_mode_32 0
		.amdhsa_float_round_mode_16_64 0
		.amdhsa_float_denorm_mode_32 3
		.amdhsa_float_denorm_mode_16_64 3
		.amdhsa_dx10_clamp 1
		.amdhsa_ieee_mode 1
		.amdhsa_fp16_overflow 0
		.amdhsa_workgroup_processor_mode 1
		.amdhsa_memory_ordered 1
		.amdhsa_forward_progress 1
		.amdhsa_shared_vgpr_count 0
		.amdhsa_exception_fp_ieee_invalid_op 0
		.amdhsa_exception_fp_denorm_src 0
		.amdhsa_exception_fp_ieee_div_zero 0
		.amdhsa_exception_fp_ieee_overflow 0
		.amdhsa_exception_fp_ieee_underflow 0
		.amdhsa_exception_fp_ieee_inexact 0
		.amdhsa_exception_int_div_zero 0
	.end_amdhsa_kernel
	.section	.text._ZN2at6native12_GLOBAL__N_130segment_reduce_backward_kernelIN3c104HalfEiEEvNS0_13ReductionTypeEPT_PKS6_S9_S9_PKT0_SC_llS6_lllllll,"axG",@progbits,_ZN2at6native12_GLOBAL__N_130segment_reduce_backward_kernelIN3c104HalfEiEEvNS0_13ReductionTypeEPT_PKS6_S9_S9_PKT0_SC_llS6_lllllll,comdat
.Lfunc_end3:
	.size	_ZN2at6native12_GLOBAL__N_130segment_reduce_backward_kernelIN3c104HalfEiEEvNS0_13ReductionTypeEPT_PKS6_S9_S9_PKT0_SC_llS6_lllllll, .Lfunc_end3-_ZN2at6native12_GLOBAL__N_130segment_reduce_backward_kernelIN3c104HalfEiEEvNS0_13ReductionTypeEPT_PKS6_S9_S9_PKT0_SC_llS6_lllllll
                                        ; -- End function
	.set _ZN2at6native12_GLOBAL__N_130segment_reduce_backward_kernelIN3c104HalfEiEEvNS0_13ReductionTypeEPT_PKS6_S9_S9_PKT0_SC_llS6_lllllll.num_vgpr, 35
	.set _ZN2at6native12_GLOBAL__N_130segment_reduce_backward_kernelIN3c104HalfEiEEvNS0_13ReductionTypeEPT_PKS6_S9_S9_PKT0_SC_llS6_lllllll.num_agpr, 0
	.set _ZN2at6native12_GLOBAL__N_130segment_reduce_backward_kernelIN3c104HalfEiEEvNS0_13ReductionTypeEPT_PKS6_S9_S9_PKT0_SC_llS6_lllllll.numbered_sgpr, 44
	.set _ZN2at6native12_GLOBAL__N_130segment_reduce_backward_kernelIN3c104HalfEiEEvNS0_13ReductionTypeEPT_PKS6_S9_S9_PKT0_SC_llS6_lllllll.num_named_barrier, 0
	.set _ZN2at6native12_GLOBAL__N_130segment_reduce_backward_kernelIN3c104HalfEiEEvNS0_13ReductionTypeEPT_PKS6_S9_S9_PKT0_SC_llS6_lllllll.private_seg_size, 0
	.set _ZN2at6native12_GLOBAL__N_130segment_reduce_backward_kernelIN3c104HalfEiEEvNS0_13ReductionTypeEPT_PKS6_S9_S9_PKT0_SC_llS6_lllllll.uses_vcc, 1
	.set _ZN2at6native12_GLOBAL__N_130segment_reduce_backward_kernelIN3c104HalfEiEEvNS0_13ReductionTypeEPT_PKS6_S9_S9_PKT0_SC_llS6_lllllll.uses_flat_scratch, 0
	.set _ZN2at6native12_GLOBAL__N_130segment_reduce_backward_kernelIN3c104HalfEiEEvNS0_13ReductionTypeEPT_PKS6_S9_S9_PKT0_SC_llS6_lllllll.has_dyn_sized_stack, 0
	.set _ZN2at6native12_GLOBAL__N_130segment_reduce_backward_kernelIN3c104HalfEiEEvNS0_13ReductionTypeEPT_PKS6_S9_S9_PKT0_SC_llS6_lllllll.has_recursion, 0
	.set _ZN2at6native12_GLOBAL__N_130segment_reduce_backward_kernelIN3c104HalfEiEEvNS0_13ReductionTypeEPT_PKS6_S9_S9_PKT0_SC_llS6_lllllll.has_indirect_call, 0
	.section	.AMDGPU.csdata,"",@progbits
; Kernel info:
; codeLenInByte = 5464
; TotalNumSgprs: 46
; NumVgprs: 35
; ScratchSize: 0
; MemoryBound: 0
; FloatMode: 240
; IeeeMode: 1
; LDSByteSize: 0 bytes/workgroup (compile time only)
; SGPRBlocks: 0
; VGPRBlocks: 4
; NumSGPRsForWavesPerEU: 46
; NumVGPRsForWavesPerEU: 35
; Occupancy: 16
; WaveLimiterHint : 1
; COMPUTE_PGM_RSRC2:SCRATCH_EN: 0
; COMPUTE_PGM_RSRC2:USER_SGPR: 6
; COMPUTE_PGM_RSRC2:TRAP_HANDLER: 0
; COMPUTE_PGM_RSRC2:TGID_X_EN: 1
; COMPUTE_PGM_RSRC2:TGID_Y_EN: 0
; COMPUTE_PGM_RSRC2:TGID_Z_EN: 0
; COMPUTE_PGM_RSRC2:TIDIG_COMP_CNT: 0
	.section	.text._ZN2at6native12_GLOBAL__N_130segment_reduce_backward_kernelIdlEEvNS0_13ReductionTypeEPT_PKS4_S7_S7_PKT0_SA_llS4_lllllll,"axG",@progbits,_ZN2at6native12_GLOBAL__N_130segment_reduce_backward_kernelIdlEEvNS0_13ReductionTypeEPT_PKS4_S7_S7_PKT0_SA_llS4_lllllll,comdat
	.globl	_ZN2at6native12_GLOBAL__N_130segment_reduce_backward_kernelIdlEEvNS0_13ReductionTypeEPT_PKS4_S7_S7_PKT0_SA_llS4_lllllll ; -- Begin function _ZN2at6native12_GLOBAL__N_130segment_reduce_backward_kernelIdlEEvNS0_13ReductionTypeEPT_PKS4_S7_S7_PKT0_SA_llS4_lllllll
	.p2align	8
	.type	_ZN2at6native12_GLOBAL__N_130segment_reduce_backward_kernelIdlEEvNS0_13ReductionTypeEPT_PKS4_S7_S7_PKT0_SA_llS4_lllllll,@function
_ZN2at6native12_GLOBAL__N_130segment_reduce_backward_kernelIdlEEvNS0_13ReductionTypeEPT_PKS4_S7_S7_PKT0_SA_llS4_lllllll: ; @_ZN2at6native12_GLOBAL__N_130segment_reduce_backward_kernelIdlEEvNS0_13ReductionTypeEPT_PKS4_S7_S7_PKT0_SA_llS4_lllllll
; %bb.0:
	s_clause 0x2
	s_load_dwordx16 s[8:23], s[4:5], 0x8
	s_load_dword s0, s[4:5], 0x94
	s_load_dwordx16 s[36:51], s[4:5], 0x48
	v_mov_b32_e32 v2, 0
	v_mov_b32_e32 v1, v2
	s_waitcnt lgkmcnt(0)
	s_and_b32 s0, s0, 0xffff
	s_mul_i32 s1, s38, s21
	s_mul_hi_u32 s2, s38, s20
	s_mul_i32 s3, s39, s20
	s_mul_i32 s7, s38, s20
	v_mad_u64_u32 v[4:5], null, s0, s6, v[0:1]
	s_add_i32 s0, s2, s1
	s_mul_i32 s1, s7, s41
	s_mul_hi_u32 s2, s7, s40
	s_add_i32 s0, s0, s3
	s_add_i32 s1, s2, s1
	s_mul_i32 s0, s0, s40
	s_add_i32 s1, s1, s0
	s_mul_i32 s0, s7, s40
	v_cmp_gt_i64_e32 vcc_lo, s[0:1], v[4:5]
	s_and_saveexec_b32 s0, vcc_lo
	s_cbranch_execz .LBB4_54
; %bb.1:
	v_or_b32_e32 v3, s41, v5
                                        ; implicit-def: $vgpr8_vgpr9
	s_mov_b32 s0, exec_lo
	v_cmpx_ne_u64_e32 0, v[2:3]
	s_xor_b32 s1, exec_lo, s0
	s_cbranch_execz .LBB4_3
; %bb.2:
	s_ashr_i32 s2, s41, 31
	v_ashrrev_i32_e32 v8, 31, v5
	s_add_u32 s6, s40, s2
	s_mov_b32 s3, s2
	s_addc_u32 s7, s41, s2
	s_xor_b64 s[6:7], s[6:7], s[2:3]
	v_add_co_u32 v2, vcc_lo, v4, v8
	v_cvt_f32_u32_e32 v0, s6
	v_cvt_f32_u32_e32 v1, s7
	s_sub_u32 s24, 0, s6
	s_subb_u32 s25, 0, s7
	v_add_co_ci_u32_e64 v3, null, v5, v8, vcc_lo
	v_fmamk_f32 v0, v1, 0x4f800000, v0
	v_xor_b32_e32 v9, v2, v8
	v_xor_b32_e32 v10, v3, v8
	v_rcp_f32_e32 v0, v0
	v_mul_f32_e32 v0, 0x5f7ffffc, v0
	v_mul_f32_e32 v1, 0x2f800000, v0
	v_trunc_f32_e32 v1, v1
	v_fmamk_f32 v0, v1, 0xcf800000, v0
	v_cvt_u32_f32_e32 v1, v1
	v_cvt_u32_f32_e32 v0, v0
	v_readfirstlane_b32 s0, v1
	v_readfirstlane_b32 s3, v0
	s_mul_i32 s26, s24, s0
	s_mul_hi_u32 s28, s24, s3
	s_mul_i32 s27, s25, s3
	s_add_i32 s26, s28, s26
	s_mul_i32 s29, s24, s3
	s_add_i32 s26, s26, s27
	s_mul_hi_u32 s28, s3, s29
	s_mul_i32 s31, s3, s26
	s_mul_hi_u32 s30, s0, s29
	s_mul_i32 s27, s0, s29
	s_mul_hi_u32 s29, s3, s26
	s_add_u32 s28, s28, s31
	s_addc_u32 s29, 0, s29
	s_mul_hi_u32 s33, s0, s26
	s_add_u32 s27, s28, s27
	s_mul_i32 s26, s0, s26
	s_addc_u32 s27, s29, s30
	s_addc_u32 s28, s33, 0
	s_add_u32 s26, s27, s26
	s_addc_u32 s27, 0, s28
	s_add_u32 s3, s3, s26
	s_cselect_b32 s26, -1, 0
	s_mul_hi_u32 s28, s24, s3
	s_cmp_lg_u32 s26, 0
	s_mul_i32 s26, s24, s3
	s_addc_u32 s0, s0, s27
	s_mul_i32 s25, s25, s3
	s_mul_i32 s24, s24, s0
	s_mul_hi_u32 s27, s3, s26
	s_add_i32 s24, s28, s24
	s_mul_hi_u32 s28, s0, s26
	s_add_i32 s24, s24, s25
	s_mul_i32 s25, s0, s26
	s_mul_i32 s30, s3, s24
	s_mul_hi_u32 s29, s3, s24
	s_add_u32 s27, s27, s30
	s_addc_u32 s29, 0, s29
	s_mul_hi_u32 s26, s0, s24
	s_add_u32 s25, s27, s25
	s_mul_i32 s24, s0, s24
	s_addc_u32 s25, s29, s28
	s_addc_u32 s26, s26, 0
	s_add_u32 s24, s25, s24
	s_addc_u32 s25, 0, s26
	s_add_u32 s3, s3, s24
	s_cselect_b32 s24, -1, 0
	v_mul_hi_u32 v11, v9, s3
	s_cmp_lg_u32 s24, 0
	v_mad_u64_u32 v[2:3], null, v10, s3, 0
	s_addc_u32 s0, s0, s25
	v_mad_u64_u32 v[0:1], null, v9, s0, 0
	v_mad_u64_u32 v[6:7], null, v10, s0, 0
	v_add_co_u32 v0, vcc_lo, v11, v0
	v_add_co_ci_u32_e64 v1, null, 0, v1, vcc_lo
	v_add_co_u32 v0, vcc_lo, v0, v2
	v_add_co_ci_u32_e32 v0, vcc_lo, v1, v3, vcc_lo
	v_add_co_ci_u32_e32 v1, vcc_lo, 0, v7, vcc_lo
	v_add_co_u32 v2, vcc_lo, v0, v6
	v_add_co_ci_u32_e64 v3, null, 0, v1, vcc_lo
	v_mul_lo_u32 v6, s7, v2
	v_mad_u64_u32 v[0:1], null, s6, v2, 0
	v_mul_lo_u32 v7, s6, v3
	v_sub_co_u32 v0, vcc_lo, v9, v0
	v_add3_u32 v1, v1, v7, v6
	v_add_co_u32 v7, s0, v2, 2
	v_add_co_ci_u32_e64 v9, null, 0, v3, s0
	v_sub_nc_u32_e32 v6, v10, v1
	v_sub_co_u32 v11, s0, v0, s6
	v_sub_co_ci_u32_e64 v1, null, v10, v1, vcc_lo
	v_subrev_co_ci_u32_e64 v6, null, s7, v6, vcc_lo
	v_cmp_le_u32_e32 vcc_lo, s6, v11
	v_subrev_co_ci_u32_e64 v6, null, 0, v6, s0
	v_cndmask_b32_e64 v10, 0, -1, vcc_lo
	v_cmp_le_u32_e32 vcc_lo, s7, v6
	v_cndmask_b32_e64 v11, 0, -1, vcc_lo
	v_cmp_le_u32_e32 vcc_lo, s6, v0
	;; [unrolled: 2-line block ×3, first 2 shown]
	v_cndmask_b32_e64 v12, 0, -1, vcc_lo
	v_cmp_eq_u32_e32 vcc_lo, s7, v6
	v_cndmask_b32_e32 v6, v11, v10, vcc_lo
	v_add_co_u32 v10, vcc_lo, v2, 1
	v_add_co_ci_u32_e64 v11, null, 0, v3, vcc_lo
	v_cmp_eq_u32_e32 vcc_lo, s7, v1
	v_cndmask_b32_e32 v0, v12, v0, vcc_lo
	v_cmp_ne_u32_e32 vcc_lo, 0, v6
	v_xor_b32_e32 v6, s2, v8
	v_cmp_ne_u32_e64 s0, 0, v0
	v_cndmask_b32_e32 v0, v10, v7, vcc_lo
	v_cndmask_b32_e32 v1, v11, v9, vcc_lo
	v_cndmask_b32_e64 v0, v2, v0, s0
	v_cndmask_b32_e64 v1, v3, v1, s0
	v_xor_b32_e32 v0, v0, v6
	v_xor_b32_e32 v1, v1, v6
	v_sub_co_u32 v8, vcc_lo, v0, v6
	v_sub_co_ci_u32_e64 v9, null, v1, v6, vcc_lo
.LBB4_3:
	s_andn2_saveexec_b32 s0, s1
	s_cbranch_execz .LBB4_5
; %bb.4:
	v_cvt_f32_u32_e32 v0, s40
	s_sub_i32 s1, 0, s40
	v_mov_b32_e32 v9, 0
	v_rcp_iflag_f32_e32 v0, v0
	v_mul_f32_e32 v0, 0x4f7ffffe, v0
	v_cvt_u32_f32_e32 v0, v0
	v_mul_lo_u32 v1, s1, v0
	v_mul_hi_u32 v1, v0, v1
	v_add_nc_u32_e32 v0, v0, v1
	v_mul_hi_u32 v0, v4, v0
	v_mul_lo_u32 v1, v0, s40
	v_add_nc_u32_e32 v2, 1, v0
	v_sub_nc_u32_e32 v1, v4, v1
	v_subrev_nc_u32_e32 v3, s40, v1
	v_cmp_le_u32_e32 vcc_lo, s40, v1
	v_cndmask_b32_e32 v1, v1, v3, vcc_lo
	v_cndmask_b32_e32 v0, v0, v2, vcc_lo
	v_cmp_le_u32_e32 vcc_lo, s40, v1
	v_add_nc_u32_e32 v2, 1, v0
	v_cndmask_b32_e32 v8, v0, v2, vcc_lo
.LBB4_5:
	s_or_b32 exec_lo, exec_lo, s0
	v_or_b32_e32 v1, s21, v9
	v_mov_b32_e32 v0, 0
                                        ; implicit-def: $vgpr6_vgpr7
	s_mov_b32 s0, exec_lo
	v_cmpx_ne_u64_e32 0, v[0:1]
	s_xor_b32 s1, exec_lo, s0
	s_cbranch_execz .LBB4_7
; %bb.6:
	s_ashr_i32 s2, s21, 31
	v_ashrrev_i32_e32 v10, 31, v9
	s_add_u32 s6, s20, s2
	s_mov_b32 s3, s2
	s_addc_u32 s7, s21, s2
	s_xor_b64 s[6:7], s[6:7], s[2:3]
	v_add_co_u32 v2, vcc_lo, v8, v10
	v_cvt_f32_u32_e32 v0, s6
	v_cvt_f32_u32_e32 v1, s7
	s_sub_u32 s24, 0, s6
	s_subb_u32 s25, 0, s7
	v_add_co_ci_u32_e64 v3, null, v9, v10, vcc_lo
	v_fmamk_f32 v0, v1, 0x4f800000, v0
	v_xor_b32_e32 v11, v2, v10
	v_xor_b32_e32 v12, v3, v10
	v_rcp_f32_e32 v0, v0
	v_mul_f32_e32 v0, 0x5f7ffffc, v0
	v_mul_f32_e32 v1, 0x2f800000, v0
	v_trunc_f32_e32 v1, v1
	v_fmamk_f32 v0, v1, 0xcf800000, v0
	v_cvt_u32_f32_e32 v1, v1
	v_cvt_u32_f32_e32 v0, v0
	v_readfirstlane_b32 s0, v1
	v_readfirstlane_b32 s3, v0
	s_mul_i32 s26, s24, s0
	s_mul_hi_u32 s28, s24, s3
	s_mul_i32 s27, s25, s3
	s_add_i32 s26, s28, s26
	s_mul_i32 s29, s24, s3
	s_add_i32 s26, s26, s27
	s_mul_hi_u32 s28, s3, s29
	s_mul_i32 s31, s3, s26
	s_mul_hi_u32 s30, s0, s29
	s_mul_i32 s27, s0, s29
	s_mul_hi_u32 s29, s3, s26
	s_add_u32 s28, s28, s31
	s_addc_u32 s29, 0, s29
	s_mul_hi_u32 s33, s0, s26
	s_add_u32 s27, s28, s27
	s_mul_i32 s26, s0, s26
	s_addc_u32 s27, s29, s30
	s_addc_u32 s28, s33, 0
	s_add_u32 s26, s27, s26
	s_addc_u32 s27, 0, s28
	s_add_u32 s3, s3, s26
	s_cselect_b32 s26, -1, 0
	s_mul_hi_u32 s28, s24, s3
	s_cmp_lg_u32 s26, 0
	s_mul_i32 s26, s24, s3
	s_addc_u32 s0, s0, s27
	s_mul_i32 s25, s25, s3
	s_mul_i32 s24, s24, s0
	s_mul_hi_u32 s27, s3, s26
	s_add_i32 s24, s28, s24
	s_mul_hi_u32 s28, s0, s26
	s_add_i32 s24, s24, s25
	s_mul_i32 s25, s0, s26
	s_mul_i32 s30, s3, s24
	s_mul_hi_u32 s29, s3, s24
	s_add_u32 s27, s27, s30
	s_addc_u32 s29, 0, s29
	s_mul_hi_u32 s26, s0, s24
	s_add_u32 s25, s27, s25
	s_mul_i32 s24, s0, s24
	s_addc_u32 s25, s29, s28
	s_addc_u32 s26, s26, 0
	s_add_u32 s24, s25, s24
	s_addc_u32 s25, 0, s26
	s_add_u32 s3, s3, s24
	s_cselect_b32 s24, -1, 0
	v_mul_hi_u32 v13, v11, s3
	s_cmp_lg_u32 s24, 0
	v_mad_u64_u32 v[2:3], null, v12, s3, 0
	s_addc_u32 s0, s0, s25
	v_mad_u64_u32 v[0:1], null, v11, s0, 0
	v_mad_u64_u32 v[6:7], null, v12, s0, 0
	v_add_co_u32 v0, vcc_lo, v13, v0
	v_add_co_ci_u32_e64 v1, null, 0, v1, vcc_lo
	v_add_co_u32 v0, vcc_lo, v0, v2
	v_add_co_ci_u32_e32 v0, vcc_lo, v1, v3, vcc_lo
	v_add_co_ci_u32_e32 v1, vcc_lo, 0, v7, vcc_lo
	v_add_co_u32 v2, vcc_lo, v0, v6
	v_add_co_ci_u32_e64 v3, null, 0, v1, vcc_lo
	v_mul_lo_u32 v6, s7, v2
	v_mad_u64_u32 v[0:1], null, s6, v2, 0
	v_mul_lo_u32 v7, s6, v3
	v_sub_co_u32 v0, vcc_lo, v11, v0
	v_add3_u32 v1, v1, v7, v6
	v_add_co_u32 v7, s0, v2, 2
	v_add_co_ci_u32_e64 v11, null, 0, v3, s0
	v_sub_nc_u32_e32 v6, v12, v1
	v_sub_co_u32 v13, s0, v0, s6
	v_sub_co_ci_u32_e64 v1, null, v12, v1, vcc_lo
	v_subrev_co_ci_u32_e64 v6, null, s7, v6, vcc_lo
	v_cmp_le_u32_e32 vcc_lo, s6, v13
	v_subrev_co_ci_u32_e64 v6, null, 0, v6, s0
	v_cndmask_b32_e64 v12, 0, -1, vcc_lo
	v_cmp_le_u32_e32 vcc_lo, s7, v6
	v_cndmask_b32_e64 v13, 0, -1, vcc_lo
	v_cmp_le_u32_e32 vcc_lo, s6, v0
	;; [unrolled: 2-line block ×3, first 2 shown]
	v_cndmask_b32_e64 v14, 0, -1, vcc_lo
	v_cmp_eq_u32_e32 vcc_lo, s7, v6
	v_cndmask_b32_e32 v6, v13, v12, vcc_lo
	v_add_co_u32 v12, vcc_lo, v2, 1
	v_add_co_ci_u32_e64 v13, null, 0, v3, vcc_lo
	v_cmp_eq_u32_e32 vcc_lo, s7, v1
	v_cndmask_b32_e32 v0, v14, v0, vcc_lo
	v_cmp_ne_u32_e32 vcc_lo, 0, v6
	v_cmp_ne_u32_e64 s0, 0, v0
	v_cndmask_b32_e32 v0, v12, v7, vcc_lo
	v_cndmask_b32_e32 v1, v13, v11, vcc_lo
	v_xor_b32_e32 v7, s2, v10
	v_cndmask_b32_e64 v0, v2, v0, s0
	v_cndmask_b32_e64 v1, v3, v1, s0
	v_xor_b32_e32 v0, v0, v7
	v_xor_b32_e32 v1, v1, v7
	v_sub_co_u32 v6, vcc_lo, v0, v7
	v_sub_co_ci_u32_e64 v7, null, v1, v7, vcc_lo
.LBB4_7:
	s_andn2_saveexec_b32 s0, s1
	s_cbranch_execz .LBB4_9
; %bb.8:
	v_cvt_f32_u32_e32 v0, s20
	s_sub_i32 s1, 0, s20
	v_mov_b32_e32 v7, 0
	v_rcp_iflag_f32_e32 v0, v0
	v_mul_f32_e32 v0, 0x4f7ffffe, v0
	v_cvt_u32_f32_e32 v0, v0
	v_mul_lo_u32 v1, s1, v0
	v_mul_hi_u32 v1, v0, v1
	v_add_nc_u32_e32 v0, v0, v1
	v_mul_hi_u32 v0, v8, v0
	v_mul_lo_u32 v1, v0, s20
	v_add_nc_u32_e32 v2, 1, v0
	v_sub_nc_u32_e32 v1, v8, v1
	v_subrev_nc_u32_e32 v3, s20, v1
	v_cmp_le_u32_e32 vcc_lo, s20, v1
	v_cndmask_b32_e32 v1, v1, v3, vcc_lo
	v_cndmask_b32_e32 v0, v0, v2, vcc_lo
	v_cmp_le_u32_e32 vcc_lo, s20, v1
	v_add_nc_u32_e32 v2, 1, v0
	v_cndmask_b32_e32 v6, v0, v2, vcc_lo
.LBB4_9:
	s_or_b32 exec_lo, exec_lo, s0
	v_mul_lo_u32 v2, v7, s20
	v_mul_lo_u32 v3, v6, s21
	v_mad_u64_u32 v[0:1], null, v6, s20, 0
	v_add3_u32 v3, v1, v3, v2
	v_mul_lo_u32 v10, v0, s23
	v_mad_u64_u32 v[1:2], null, v0, s22, 0
	v_mul_lo_u32 v11, v3, s22
	v_add3_u32 v2, v2, v10, v11
	v_sub_co_u32 v10, vcc_lo, v8, v0
	v_sub_co_ci_u32_e64 v11, null, v9, v3, vcc_lo
	v_lshlrev_b64 v[2:3], 3, v[1:2]
	v_lshlrev_b64 v[0:1], 3, v[10:11]
	v_add_co_u32 v2, vcc_lo, s16, v2
	v_add_co_ci_u32_e64 v3, null, s17, v3, vcc_lo
	v_add_co_u32 v2, vcc_lo, v2, v0
	v_add_co_ci_u32_e64 v3, null, v3, v1, vcc_lo
	global_load_dwordx2 v[12:13], v[2:3], off
	s_waitcnt vmcnt(0)
	v_cmp_ne_u64_e32 vcc_lo, 0, v[12:13]
	s_and_b32 exec_lo, exec_lo, vcc_lo
	s_cbranch_execz .LBB4_54
; %bb.10:
	s_add_u32 s0, s20, 1
	s_addc_u32 s1, s21, 0
	s_mul_hi_u32 s2, s50, s0
	s_mul_i32 s1, s50, s1
	s_mul_i32 s3, s51, s0
	s_add_i32 s1, s2, s1
	s_mul_i32 s0, s50, s0
	s_add_i32 s1, s1, s3
	v_mul_lo_u32 v14, s0, v7
	v_mad_u64_u32 v[2:3], null, s0, v6, 0
	v_mul_lo_u32 v15, s1, v6
	v_mul_lo_u32 v16, v9, s40
	;; [unrolled: 1-line block ×3, first 2 shown]
	v_mad_u64_u32 v[8:9], null, v8, s40, 0
	s_load_dword s1, s[4:5], 0x0
	v_add3_u32 v3, v3, v14, v15
	v_mad_u64_u32 v[14:15], null, v6, s48, v[10:11]
	v_mul_lo_u32 v10, v6, s49
	v_mul_lo_u32 v11, v7, s48
	v_lshlrev_b64 v[2:3], 3, v[2:3]
	v_add3_u32 v9, v9, v17, v16
	v_add_co_u32 v2, vcc_lo, s18, v2
	v_add_co_ci_u32_e64 v3, null, s19, v3, vcc_lo
	v_add3_u32 v15, v11, v15, v10
	v_add_co_u32 v0, vcc_lo, v2, v0
	v_add_co_ci_u32_e64 v1, null, v3, v1, vcc_lo
	v_sub_co_u32 v18, vcc_lo, v4, v8
	v_sub_co_ci_u32_e64 v19, null, v5, v9, vcc_lo
	global_load_dwordx4 v[0:3], v[0:1], off
	v_mul_lo_u32 v15, v15, s46
	s_waitcnt lgkmcnt(0)
	s_and_b32 s0, s1, -3
	v_mad_u64_u32 v[10:11], null, v14, s46, v[18:19]
	v_mul_lo_u32 v14, v14, s47
	s_cmp_lg_u32 s0, 0
	v_add3_u32 v11, v15, v11, v14
	s_cbranch_scc0 .LBB4_25
; %bb.11:
	s_cmp_lt_i32 s1, 3
	s_mov_b32 s0, -1
	s_cbranch_scc1 .LBB4_34
; %bb.12:
	s_cmp_lt_i32 s1, 4
	s_cbranch_scc1 .LBB4_28
; %bb.13:
	s_cmp_eq_u32 s1, 4
	s_cbranch_scc0 .LBB4_27
; %bb.14:
	s_mov_b32 s16, exec_lo
	s_waitcnt vmcnt(0)
	v_cmpx_lt_i64_e64 v[0:1], v[2:3]
	s_cbranch_execz .LBB4_26
; %bb.15:
	v_lshlrev_b64 v[16:17], 3, v[10:11]
	v_mul_lo_u32 v24, s45, v6
	v_mul_lo_u32 v25, s44, v7
	v_mad_u64_u32 v[22:23], null, s44, v6, 0
	s_lshl_b64 s[2:3], s[42:43], 3
	v_add_co_u32 v14, vcc_lo, s10, v16
	v_add_co_ci_u32_e64 v15, null, s11, v17, vcc_lo
	v_add_co_u32 v16, vcc_lo, s12, v16
	v_add_co_ci_u32_e64 v17, null, s13, v17, vcc_lo
	global_load_dwordx2 v[20:21], v[14:15], off
	global_load_dwordx2 v[16:17], v[16:17], off
	v_add3_u32 v23, v23, v25, v24
	v_lshlrev_b64 v[24:25], 3, v[0:1]
	v_mad_u64_u32 v[18:19], null, v22, s42, v[18:19]
	s_mov_b64 s[4:5], 0
	v_lshlrev_b64 v[26:27], 3, v[22:23]
	v_mul_lo_u32 v23, v23, s42
	s_mov_b32 s17, 0
	v_add_co_u32 v26, vcc_lo, v26, v24
	v_add_co_ci_u32_e64 v27, null, v27, v25, vcc_lo
	v_lshlrev_b64 v[24:25], 3, v[4:5]
	v_mul_lo_u32 v28, s43, v26
	v_mul_lo_u32 v27, s42, v27
	v_mad_u64_u32 v[24:25], null, s42, v26, v[24:25]
	v_mul_lo_u32 v26, v22, s43
	v_add3_u32 v22, v28, v25, v27
	v_add3_u32 v19, v23, v19, v26
	s_waitcnt vmcnt(0)
	v_mul_f64 v[16:17], v[20:21], v[16:17]
	v_lshlrev_b64 v[20:21], 3, v[8:9]
	v_sub_co_u32 v20, vcc_lo, v24, v20
	v_sub_co_ci_u32_e64 v21, null, v22, v21, vcc_lo
	v_mov_b32_e32 v23, v1
	v_add_co_u32 v20, vcc_lo, s14, v20
	v_add_co_ci_u32_e64 v21, null, s15, v21, vcc_lo
	v_mov_b32_e32 v22, v0
	s_branch .LBB4_18
.LBB4_16:                               ;   in Loop: Header=BB4_18 Depth=1
	s_or_b32 exec_lo, exec_lo, s19
	global_load_dwordx2 v[28:29], v[14:15], off
	s_waitcnt vmcnt(0)
	v_mul_f64 v[26:27], v[26:27], v[28:29]
.LBB4_17:                               ;   in Loop: Header=BB4_18 Depth=1
	s_or_b32 exec_lo, exec_lo, s18
	v_add_co_u32 v22, vcc_lo, v22, 1
	v_add_co_ci_u32_e64 v23, null, 0, v23, vcc_lo
	v_add_co_u32 v24, s0, s8, v24
	v_add_co_ci_u32_e64 v25, null, s9, v25, s0
	v_cmp_ge_i64_e32 vcc_lo, v[22:23], v[2:3]
	s_add_u32 s4, s4, 1
	s_addc_u32 s5, s5, 0
	global_store_dwordx2 v[24:25], v[26:27], off
	s_or_b32 s17, vcc_lo, s17
	s_andn2_b32 exec_lo, exec_lo, s17
	s_cbranch_execz .LBB4_26
.LBB4_18:                               ; =>This Loop Header: Depth=1
                                        ;     Child Loop BB4_23 Depth 2
	v_mad_u64_u32 v[24:25], null, v22, s42, v[18:19]
	v_mul_lo_u32 v26, v22, s43
	v_mul_lo_u32 v27, v23, s42
	s_mov_b32 s0, exec_lo
	v_add3_u32 v25, v27, v25, v26
	v_lshlrev_b64 v[24:25], 3, v[24:25]
	v_add_co_u32 v26, vcc_lo, s14, v24
	v_add_co_ci_u32_e64 v27, null, s15, v25, vcc_lo
	global_load_dwordx2 v[28:29], v[26:27], off
                                        ; implicit-def: $vgpr26_vgpr27
	s_waitcnt vmcnt(0)
	v_cmpx_lg_f64_e32 0, v[28:29]
	s_xor_b32 s0, exec_lo, s0
	s_cbranch_execz .LBB4_20
; %bb.19:                               ;   in Loop: Header=BB4_18 Depth=1
	v_div_scale_f64 v[26:27], null, v[28:29], v[28:29], v[16:17]
	v_rcp_f64_e32 v[30:31], v[26:27]
	v_fma_f64 v[32:33], -v[26:27], v[30:31], 1.0
	v_fma_f64 v[30:31], v[30:31], v[32:33], v[30:31]
	v_fma_f64 v[32:33], -v[26:27], v[30:31], 1.0
	v_fma_f64 v[30:31], v[30:31], v[32:33], v[30:31]
	v_div_scale_f64 v[32:33], vcc_lo, v[16:17], v[28:29], v[16:17]
	v_mul_f64 v[34:35], v[32:33], v[30:31]
	v_fma_f64 v[26:27], -v[26:27], v[34:35], v[32:33]
	v_div_fmas_f64 v[26:27], v[26:27], v[30:31], v[34:35]
	v_div_fixup_f64 v[26:27], v[26:27], v[28:29], v[16:17]
.LBB4_20:                               ;   in Loop: Header=BB4_18 Depth=1
	s_andn2_saveexec_b32 s18, s0
	s_cbranch_execz .LBB4_17
; %bb.21:                               ;   in Loop: Header=BB4_18 Depth=1
	v_mov_b32_e32 v26, s36
	v_mov_b32_e32 v29, v21
	;; [unrolled: 1-line block ×6, first 2 shown]
	s_mov_b32 s19, 0
	s_mov_b64 s[6:7], s[4:5]
	s_branch .LBB4_23
	.p2align	6
.LBB4_22:                               ;   in Loop: Header=BB4_23 Depth=2
	v_add_co_u32 v30, vcc_lo, v30, 1
	v_add_co_ci_u32_e64 v31, null, 0, v31, vcc_lo
	v_add_co_u32 v28, s0, v28, s2
	v_add_co_ci_u32_e64 v29, null, s3, v29, s0
	v_cmp_ge_i64_e32 vcc_lo, v[30:31], v[2:3]
	s_add_u32 s6, s6, -1
	s_addc_u32 s7, s7, -1
	s_or_b32 s19, vcc_lo, s19
	s_andn2_b32 exec_lo, exec_lo, s19
	s_cbranch_execz .LBB4_16
.LBB4_23:                               ;   Parent Loop BB4_18 Depth=1
                                        ; =>  This Inner Loop Header: Depth=2
	s_cmp_eq_u64 s[6:7], 0
	s_cbranch_scc1 .LBB4_22
; %bb.24:                               ;   in Loop: Header=BB4_23 Depth=2
	global_load_dwordx2 v[32:33], v[28:29], off
	s_waitcnt vmcnt(0)
	v_mul_f64 v[26:27], v[26:27], v[32:33]
	s_branch .LBB4_22
.LBB4_25:
	s_cbranch_execnz .LBB4_41
	s_branch .LBB4_54
.LBB4_26:
	s_or_b32 exec_lo, exec_lo, s16
.LBB4_27:
	s_mov_b32 s0, 0
.LBB4_28:
	s_andn2_b32 vcc_lo, exec_lo, s0
	s_cbranch_vccnz .LBB4_33
; %bb.29:
	s_mov_b32 s4, exec_lo
	s_waitcnt vmcnt(0)
	v_cmpx_lt_i64_e64 v[0:1], v[2:3]
	s_cbranch_execz .LBB4_32
; %bb.30:
	v_lshlrev_b64 v[14:15], 3, v[10:11]
	v_mul_lo_u32 v18, v7, s44
	v_mul_lo_u32 v19, v6, s45
	v_mad_u64_u32 v[16:17], null, v6, s44, 0
	s_lshl_b64 s[2:3], s[42:43], 3
	v_add_co_u32 v14, vcc_lo, s10, v14
	v_add_co_ci_u32_e64 v15, null, s11, v15, vcc_lo
	s_mov_b32 s5, 0
	v_add3_u32 v17, v17, v19, v18
	v_lshlrev_b64 v[18:19], 3, v[0:1]
	global_load_dwordx2 v[14:15], v[14:15], off
	v_lshlrev_b64 v[16:17], 3, v[16:17]
	v_add_co_u32 v18, vcc_lo, v16, v18
	v_add_co_ci_u32_e64 v19, null, v17, v19, vcc_lo
	v_lshlrev_b64 v[16:17], 3, v[4:5]
	v_mul_lo_u32 v21, s43, v18
	v_mul_lo_u32 v20, s42, v19
	v_mad_u64_u32 v[16:17], null, s42, v18, v[16:17]
	v_lshlrev_b64 v[18:19], 3, v[8:9]
	v_add3_u32 v17, v21, v17, v20
	v_sub_co_u32 v16, vcc_lo, v16, v18
	v_sub_co_ci_u32_e64 v17, null, v17, v19, vcc_lo
	v_add_co_u32 v16, vcc_lo, s8, v16
	v_mov_b32_e32 v19, v1
	v_add_co_ci_u32_e64 v17, null, s9, v17, vcc_lo
	v_mov_b32_e32 v18, v0
.LBB4_31:                               ; =>This Inner Loop Header: Depth=1
	v_add_co_u32 v18, vcc_lo, v18, 1
	v_add_co_ci_u32_e64 v19, null, 0, v19, vcc_lo
	s_waitcnt vmcnt(0)
	global_store_dwordx2 v[16:17], v[14:15], off
	v_add_co_u32 v16, s0, v16, s2
	v_cmp_ge_i64_e32 vcc_lo, v[18:19], v[2:3]
	v_add_co_ci_u32_e64 v17, null, s3, v17, s0
	s_or_b32 s5, vcc_lo, s5
	s_andn2_b32 exec_lo, exec_lo, s5
	s_cbranch_execnz .LBB4_31
.LBB4_32:
	s_or_b32 exec_lo, exec_lo, s4
.LBB4_33:
	s_mov_b32 s0, 0
.LBB4_34:
	s_andn2_b32 vcc_lo, exec_lo, s0
	s_cbranch_vccnz .LBB4_40
; %bb.35:
	s_cmp_lg_u32 s1, 1
	s_cbranch_scc1 .LBB4_40
; %bb.36:
	s_mov_b32 s1, exec_lo
	s_waitcnt vmcnt(0)
	v_cmpx_lt_i64_e64 v[0:1], v[2:3]
	s_cbranch_execz .LBB4_39
; %bb.37:
	v_lshlrev_b64 v[14:15], 3, v[10:11]
	v_cvt_f64_i32_e32 v[16:17], v13
	v_cvt_f64_u32_e32 v[12:13], v12
	v_mul_lo_u32 v24, v7, s44
	v_mul_lo_u32 v25, v6, s45
	s_lshl_b64 s[2:3], s[42:43], 3
	v_add_co_u32 v14, vcc_lo, s10, v14
	v_add_co_ci_u32_e64 v15, null, s11, v15, vcc_lo
	s_mov_b32 s4, 0
	global_load_dwordx2 v[14:15], v[14:15], off
	v_ldexp_f64 v[16:17], v[16:17], 32
	v_add_f64 v[12:13], v[16:17], v[12:13]
	s_waitcnt vmcnt(0)
	v_div_scale_f64 v[16:17], null, v[12:13], v[12:13], v[14:15]
	v_rcp_f64_e32 v[18:19], v[16:17]
	v_fma_f64 v[20:21], -v[16:17], v[18:19], 1.0
	v_fma_f64 v[18:19], v[18:19], v[20:21], v[18:19]
	v_fma_f64 v[20:21], -v[16:17], v[18:19], 1.0
	v_fma_f64 v[18:19], v[18:19], v[20:21], v[18:19]
	v_div_scale_f64 v[20:21], vcc_lo, v[14:15], v[12:13], v[14:15]
	v_mul_f64 v[22:23], v[20:21], v[18:19]
	v_fma_f64 v[16:17], -v[16:17], v[22:23], v[20:21]
	v_mad_u64_u32 v[20:21], null, v6, s44, 0
	v_add3_u32 v21, v21, v25, v24
	v_div_fmas_f64 v[16:17], v[16:17], v[18:19], v[22:23]
	v_lshlrev_b64 v[18:19], 3, v[20:21]
	v_lshlrev_b64 v[20:21], 3, v[0:1]
	v_add_co_u32 v20, vcc_lo, v18, v20
	v_add_co_ci_u32_e64 v21, null, v19, v21, vcc_lo
	v_lshlrev_b64 v[18:19], 3, v[4:5]
	v_mul_lo_u32 v22, s43, v20
	v_mul_lo_u32 v21, s42, v21
	v_mad_u64_u32 v[18:19], null, s42, v20, v[18:19]
	v_div_fixup_f64 v[12:13], v[16:17], v[12:13], v[14:15]
	v_lshlrev_b64 v[14:15], 3, v[8:9]
	v_add3_u32 v16, v22, v19, v21
	v_sub_co_u32 v14, vcc_lo, v18, v14
	v_sub_co_ci_u32_e64 v15, null, v16, v15, vcc_lo
	v_mov_b32_e32 v17, v1
	v_add_co_u32 v14, vcc_lo, s8, v14
	v_add_co_ci_u32_e64 v15, null, s9, v15, vcc_lo
	v_mov_b32_e32 v16, v0
.LBB4_38:                               ; =>This Inner Loop Header: Depth=1
	v_add_co_u32 v16, vcc_lo, v16, 1
	v_add_co_ci_u32_e64 v17, null, 0, v17, vcc_lo
	global_store_dwordx2 v[14:15], v[12:13], off
	v_add_co_u32 v14, s0, v14, s2
	v_cmp_ge_i64_e32 vcc_lo, v[16:17], v[2:3]
	v_add_co_ci_u32_e64 v15, null, s3, v15, s0
	s_or_b32 s4, vcc_lo, s4
	s_andn2_b32 exec_lo, exec_lo, s4
	s_cbranch_execnz .LBB4_38
.LBB4_39:
	s_or_b32 exec_lo, exec_lo, s1
.LBB4_40:
	s_branch .LBB4_54
.LBB4_41:
	v_mov_b32_e32 v12, 0
	v_mov_b32_e32 v13, 0
	s_mov_b32 s4, exec_lo
	s_waitcnt vmcnt(0)
	v_cmp_ge_i64_e32 vcc_lo, v[0:1], v[2:3]
	v_cmpx_lt_i64_e64 v[0:1], v[2:3]
	s_cbranch_execz .LBB4_49
; %bb.42:
	v_mad_u64_u32 v[12:13], null, v6, s44, v[0:1]
	v_mul_lo_u32 v14, v6, s45
	v_mul_lo_u32 v15, v7, s44
	v_mov_b32_e32 v19, v1
	v_mov_b32_e32 v18, v0
	s_lshl_b64 s[2:3], s[42:43], 3
	s_mov_b32 s5, 0
	v_mul_lo_u32 v16, s43, v12
	v_add3_u32 v14, v15, v13, v14
	v_mad_u64_u32 v[12:13], null, s42, v12, v[4:5]
	v_mul_lo_u32 v17, s42, v14
	v_lshlrev_b64 v[14:15], 3, v[10:11]
	v_add_co_u32 v10, s0, s12, v14
	v_add3_u32 v13, v16, v13, v17
	v_add_co_ci_u32_e64 v11, null, s13, v15, s0
	v_sub_co_u32 v12, s0, v12, v8
	v_sub_co_ci_u32_e64 v13, null, v13, v9, s0
	v_add_co_u32 v14, s0, s10, v14
	v_add_co_ci_u32_e64 v15, null, s11, v15, s0
	v_lshlrev_b64 v[16:17], 3, v[12:13]
	v_mov_b32_e32 v12, 0
	v_mov_b32_e32 v13, 0
	s_inst_prefetch 0x1
	s_branch .LBB4_44
	.p2align	6
.LBB4_43:                               ;   in Loop: Header=BB4_44 Depth=1
	s_or_b32 exec_lo, exec_lo, s1
	v_add_co_u32 v18, s0, v18, 1
	v_add_co_ci_u32_e64 v19, null, 0, v19, s0
	v_add_co_u32 v16, s1, v16, s2
	v_add_co_ci_u32_e64 v17, null, s3, v17, s1
	v_cmp_ge_i64_e64 s0, v[18:19], v[2:3]
	s_or_b32 s5, s0, s5
	s_andn2_b32 exec_lo, exec_lo, s5
	s_cbranch_execz .LBB4_48
.LBB4_44:                               ; =>This Inner Loop Header: Depth=1
	v_add_co_u32 v20, s0, s14, v16
	v_add_co_ci_u32_e64 v21, null, s15, v17, s0
	s_mov_b32 s1, exec_lo
	global_load_dwordx2 v[20:21], v[20:21], off
	s_waitcnt vmcnt(0)
	v_cmp_u_f64_e64 s6, v[20:21], v[20:21]
	v_cmpx_o_f64_e32 v[20:21], v[20:21]
	s_cbranch_execz .LBB4_46
; %bb.45:                               ;   in Loop: Header=BB4_44 Depth=1
	global_load_dwordx2 v[22:23], v[10:11], off
	s_andn2_b32 s6, s6, exec_lo
	s_waitcnt vmcnt(0)
	v_cmp_eq_f64_e64 s0, v[20:21], v[22:23]
	s_and_b32 s0, s0, exec_lo
	s_or_b32 s6, s6, s0
.LBB4_46:                               ;   in Loop: Header=BB4_44 Depth=1
	s_or_b32 exec_lo, exec_lo, s1
	s_and_saveexec_b32 s1, s6
	s_cbranch_execz .LBB4_43
; %bb.47:                               ;   in Loop: Header=BB4_44 Depth=1
	global_load_dwordx2 v[20:21], v[14:15], off
	v_add_co_u32 v22, s0, s8, v16
	v_add_co_ci_u32_e64 v23, null, s9, v17, s0
	v_add_co_u32 v12, s0, v12, 1
	v_add_co_ci_u32_e64 v13, null, 0, v13, s0
	s_waitcnt vmcnt(0)
	global_store_dwordx2 v[22:23], v[20:21], off
	s_branch .LBB4_43
.LBB4_48:
	s_inst_prefetch 0x2
	s_or_b32 exec_lo, exec_lo, s5
.LBB4_49:
	s_or_b32 exec_lo, exec_lo, s4
	v_cmp_lt_i64_e64 s0, 1, v[12:13]
	s_xor_b32 s1, vcc_lo, -1
	s_and_b32 s0, s0, s1
	s_and_b32 exec_lo, exec_lo, s0
	s_cbranch_execz .LBB4_54
; %bb.50:
	v_cvt_f64_u32_e32 v[10:11], v13
	v_mul_lo_u32 v13, v7, s44
	v_mul_lo_u32 v14, v6, s45
	v_mad_u64_u32 v[6:7], null, v6, s44, 0
	v_lshlrev_b64 v[4:5], 3, v[4:5]
	v_lshlrev_b64 v[8:9], 3, v[8:9]
	s_lshl_b64 s[2:3], s[42:43], 3
	s_mov_b32 s1, 0
	v_add3_u32 v7, v7, v14, v13
	v_cvt_f64_u32_e32 v[12:13], v12
	v_lshlrev_b64 v[14:15], 3, v[0:1]
	v_lshlrev_b64 v[6:7], 3, v[6:7]
	v_add_co_u32 v6, vcc_lo, v6, v14
	v_ldexp_f64 v[10:11], v[10:11], 32
	v_add_co_ci_u32_e64 v7, null, v7, v15, vcc_lo
	v_mul_lo_u32 v15, s43, v6
	v_mul_lo_u32 v14, s42, v7
	v_mad_u64_u32 v[6:7], null, s42, v6, v[4:5]
	v_add3_u32 v7, v15, v7, v14
	v_sub_co_u32 v6, vcc_lo, v6, v8
	v_sub_co_ci_u32_e64 v7, null, v7, v9, vcc_lo
	v_add_f64 v[4:5], v[10:11], v[12:13]
	v_add_co_u32 v6, vcc_lo, s8, v6
	v_add_co_ci_u32_e64 v7, null, s9, v7, vcc_lo
	s_inst_prefetch 0x1
	s_branch .LBB4_52
	.p2align	6
.LBB4_51:                               ;   in Loop: Header=BB4_52 Depth=1
	s_or_b32 exec_lo, exec_lo, s0
	v_add_co_u32 v0, vcc_lo, v0, 1
	v_add_co_ci_u32_e64 v1, null, 0, v1, vcc_lo
	v_add_co_u32 v6, s0, v6, s2
	v_add_co_ci_u32_e64 v7, null, s3, v7, s0
	v_cmp_ge_i64_e32 vcc_lo, v[0:1], v[2:3]
	s_or_b32 s1, vcc_lo, s1
	s_andn2_b32 exec_lo, exec_lo, s1
	s_cbranch_execz .LBB4_54
.LBB4_52:                               ; =>This Inner Loop Header: Depth=1
	global_load_dwordx2 v[8:9], v[6:7], off
	s_mov_b32 s0, exec_lo
	s_waitcnt vmcnt(0)
	v_cmpx_lt_f64_e32 0, v[8:9]
	s_cbranch_execz .LBB4_51
; %bb.53:                               ;   in Loop: Header=BB4_52 Depth=1
	v_div_scale_f64 v[10:11], null, v[4:5], v[4:5], v[8:9]
	v_rcp_f64_e32 v[12:13], v[10:11]
	v_fma_f64 v[14:15], -v[10:11], v[12:13], 1.0
	v_fma_f64 v[12:13], v[12:13], v[14:15], v[12:13]
	v_fma_f64 v[14:15], -v[10:11], v[12:13], 1.0
	v_fma_f64 v[12:13], v[12:13], v[14:15], v[12:13]
	v_div_scale_f64 v[14:15], vcc_lo, v[8:9], v[4:5], v[8:9]
	v_mul_f64 v[16:17], v[14:15], v[12:13]
	v_fma_f64 v[10:11], -v[10:11], v[16:17], v[14:15]
	v_div_fmas_f64 v[10:11], v[10:11], v[12:13], v[16:17]
	v_div_fixup_f64 v[8:9], v[10:11], v[4:5], v[8:9]
	global_store_dwordx2 v[6:7], v[8:9], off
	s_branch .LBB4_51
.LBB4_54:
	s_inst_prefetch 0x2
	s_endpgm
	.section	.rodata,"a",@progbits
	.p2align	6, 0x0
	.amdhsa_kernel _ZN2at6native12_GLOBAL__N_130segment_reduce_backward_kernelIdlEEvNS0_13ReductionTypeEPT_PKS4_S7_S7_PKT0_SA_llS4_lllllll
		.amdhsa_group_segment_fixed_size 0
		.amdhsa_private_segment_fixed_size 0
		.amdhsa_kernarg_size 392
		.amdhsa_user_sgpr_count 6
		.amdhsa_user_sgpr_private_segment_buffer 1
		.amdhsa_user_sgpr_dispatch_ptr 0
		.amdhsa_user_sgpr_queue_ptr 0
		.amdhsa_user_sgpr_kernarg_segment_ptr 1
		.amdhsa_user_sgpr_dispatch_id 0
		.amdhsa_user_sgpr_flat_scratch_init 0
		.amdhsa_user_sgpr_private_segment_size 0
		.amdhsa_wavefront_size32 1
		.amdhsa_uses_dynamic_stack 0
		.amdhsa_system_sgpr_private_segment_wavefront_offset 0
		.amdhsa_system_sgpr_workgroup_id_x 1
		.amdhsa_system_sgpr_workgroup_id_y 0
		.amdhsa_system_sgpr_workgroup_id_z 0
		.amdhsa_system_sgpr_workgroup_info 0
		.amdhsa_system_vgpr_workitem_id 0
		.amdhsa_next_free_vgpr 36
		.amdhsa_next_free_sgpr 52
		.amdhsa_reserve_vcc 1
		.amdhsa_reserve_flat_scratch 0
		.amdhsa_float_round_mode_32 0
		.amdhsa_float_round_mode_16_64 0
		.amdhsa_float_denorm_mode_32 3
		.amdhsa_float_denorm_mode_16_64 3
		.amdhsa_dx10_clamp 1
		.amdhsa_ieee_mode 1
		.amdhsa_fp16_overflow 0
		.amdhsa_workgroup_processor_mode 1
		.amdhsa_memory_ordered 1
		.amdhsa_forward_progress 1
		.amdhsa_shared_vgpr_count 0
		.amdhsa_exception_fp_ieee_invalid_op 0
		.amdhsa_exception_fp_denorm_src 0
		.amdhsa_exception_fp_ieee_div_zero 0
		.amdhsa_exception_fp_ieee_overflow 0
		.amdhsa_exception_fp_ieee_underflow 0
		.amdhsa_exception_fp_ieee_inexact 0
		.amdhsa_exception_int_div_zero 0
	.end_amdhsa_kernel
	.section	.text._ZN2at6native12_GLOBAL__N_130segment_reduce_backward_kernelIdlEEvNS0_13ReductionTypeEPT_PKS4_S7_S7_PKT0_SA_llS4_lllllll,"axG",@progbits,_ZN2at6native12_GLOBAL__N_130segment_reduce_backward_kernelIdlEEvNS0_13ReductionTypeEPT_PKS4_S7_S7_PKT0_SA_llS4_lllllll,comdat
.Lfunc_end4:
	.size	_ZN2at6native12_GLOBAL__N_130segment_reduce_backward_kernelIdlEEvNS0_13ReductionTypeEPT_PKS4_S7_S7_PKT0_SA_llS4_lllllll, .Lfunc_end4-_ZN2at6native12_GLOBAL__N_130segment_reduce_backward_kernelIdlEEvNS0_13ReductionTypeEPT_PKS4_S7_S7_PKT0_SA_llS4_lllllll
                                        ; -- End function
	.set _ZN2at6native12_GLOBAL__N_130segment_reduce_backward_kernelIdlEEvNS0_13ReductionTypeEPT_PKS4_S7_S7_PKT0_SA_llS4_lllllll.num_vgpr, 36
	.set _ZN2at6native12_GLOBAL__N_130segment_reduce_backward_kernelIdlEEvNS0_13ReductionTypeEPT_PKS4_S7_S7_PKT0_SA_llS4_lllllll.num_agpr, 0
	.set _ZN2at6native12_GLOBAL__N_130segment_reduce_backward_kernelIdlEEvNS0_13ReductionTypeEPT_PKS4_S7_S7_PKT0_SA_llS4_lllllll.numbered_sgpr, 52
	.set _ZN2at6native12_GLOBAL__N_130segment_reduce_backward_kernelIdlEEvNS0_13ReductionTypeEPT_PKS4_S7_S7_PKT0_SA_llS4_lllllll.num_named_barrier, 0
	.set _ZN2at6native12_GLOBAL__N_130segment_reduce_backward_kernelIdlEEvNS0_13ReductionTypeEPT_PKS4_S7_S7_PKT0_SA_llS4_lllllll.private_seg_size, 0
	.set _ZN2at6native12_GLOBAL__N_130segment_reduce_backward_kernelIdlEEvNS0_13ReductionTypeEPT_PKS4_S7_S7_PKT0_SA_llS4_lllllll.uses_vcc, 1
	.set _ZN2at6native12_GLOBAL__N_130segment_reduce_backward_kernelIdlEEvNS0_13ReductionTypeEPT_PKS4_S7_S7_PKT0_SA_llS4_lllllll.uses_flat_scratch, 0
	.set _ZN2at6native12_GLOBAL__N_130segment_reduce_backward_kernelIdlEEvNS0_13ReductionTypeEPT_PKS4_S7_S7_PKT0_SA_llS4_lllllll.has_dyn_sized_stack, 0
	.set _ZN2at6native12_GLOBAL__N_130segment_reduce_backward_kernelIdlEEvNS0_13ReductionTypeEPT_PKS4_S7_S7_PKT0_SA_llS4_lllllll.has_recursion, 0
	.set _ZN2at6native12_GLOBAL__N_130segment_reduce_backward_kernelIdlEEvNS0_13ReductionTypeEPT_PKS4_S7_S7_PKT0_SA_llS4_lllllll.has_indirect_call, 0
	.section	.AMDGPU.csdata,"",@progbits
; Kernel info:
; codeLenInByte = 4340
; TotalNumSgprs: 54
; NumVgprs: 36
; ScratchSize: 0
; MemoryBound: 1
; FloatMode: 240
; IeeeMode: 1
; LDSByteSize: 0 bytes/workgroup (compile time only)
; SGPRBlocks: 0
; VGPRBlocks: 4
; NumSGPRsForWavesPerEU: 54
; NumVGPRsForWavesPerEU: 36
; Occupancy: 16
; WaveLimiterHint : 0
; COMPUTE_PGM_RSRC2:SCRATCH_EN: 0
; COMPUTE_PGM_RSRC2:USER_SGPR: 6
; COMPUTE_PGM_RSRC2:TRAP_HANDLER: 0
; COMPUTE_PGM_RSRC2:TGID_X_EN: 1
; COMPUTE_PGM_RSRC2:TGID_Y_EN: 0
; COMPUTE_PGM_RSRC2:TGID_Z_EN: 0
; COMPUTE_PGM_RSRC2:TIDIG_COMP_CNT: 0
	.section	.text._ZN2at6native12_GLOBAL__N_130segment_reduce_backward_kernelIflEEvNS0_13ReductionTypeEPT_PKS4_S7_S7_PKT0_SA_llS4_lllllll,"axG",@progbits,_ZN2at6native12_GLOBAL__N_130segment_reduce_backward_kernelIflEEvNS0_13ReductionTypeEPT_PKS4_S7_S7_PKT0_SA_llS4_lllllll,comdat
	.globl	_ZN2at6native12_GLOBAL__N_130segment_reduce_backward_kernelIflEEvNS0_13ReductionTypeEPT_PKS4_S7_S7_PKT0_SA_llS4_lllllll ; -- Begin function _ZN2at6native12_GLOBAL__N_130segment_reduce_backward_kernelIflEEvNS0_13ReductionTypeEPT_PKS4_S7_S7_PKT0_SA_llS4_lllllll
	.p2align	8
	.type	_ZN2at6native12_GLOBAL__N_130segment_reduce_backward_kernelIflEEvNS0_13ReductionTypeEPT_PKS4_S7_S7_PKT0_SA_llS4_lllllll,@function
_ZN2at6native12_GLOBAL__N_130segment_reduce_backward_kernelIflEEvNS0_13ReductionTypeEPT_PKS4_S7_S7_PKT0_SA_llS4_lllllll: ; @_ZN2at6native12_GLOBAL__N_130segment_reduce_backward_kernelIflEEvNS0_13ReductionTypeEPT_PKS4_S7_S7_PKT0_SA_llS4_lllllll
; %bb.0:
	s_clause 0x2
	s_load_dwordx16 s[8:23], s[4:5], 0x8
	s_load_dword s0, s[4:5], 0x94
	s_load_dwordx8 s[24:31], s[4:5], 0x50
	v_mov_b32_e32 v2, 0
	v_mov_b32_e32 v1, v2
	s_waitcnt lgkmcnt(0)
	s_and_b32 s0, s0, 0xffff
	s_mul_i32 s1, s24, s21
	s_mul_hi_u32 s2, s24, s20
	s_mul_i32 s3, s25, s20
	s_mul_i32 s7, s24, s20
	v_mad_u64_u32 v[4:5], null, s0, s6, v[0:1]
	s_add_i32 s0, s2, s1
	s_mul_i32 s1, s7, s27
	s_mul_hi_u32 s2, s7, s26
	s_add_i32 s0, s0, s3
	s_add_i32 s1, s2, s1
	s_mul_i32 s0, s0, s26
	s_add_i32 s1, s1, s0
	s_mul_i32 s0, s7, s26
	v_cmp_gt_i64_e32 vcc_lo, s[0:1], v[4:5]
	s_and_saveexec_b32 s0, vcc_lo
	s_cbranch_execz .LBB5_54
; %bb.1:
	v_or_b32_e32 v3, s27, v5
                                        ; implicit-def: $vgpr8_vgpr9
	s_mov_b32 s0, exec_lo
	v_cmpx_ne_u64_e32 0, v[2:3]
	s_xor_b32 s1, exec_lo, s0
	s_cbranch_execz .LBB5_3
; %bb.2:
	s_ashr_i32 s2, s27, 31
	v_ashrrev_i32_e32 v8, 31, v5
	s_add_u32 s6, s26, s2
	s_mov_b32 s3, s2
	s_addc_u32 s7, s27, s2
	s_xor_b64 s[6:7], s[6:7], s[2:3]
	v_add_co_u32 v2, vcc_lo, v4, v8
	v_cvt_f32_u32_e32 v0, s6
	v_cvt_f32_u32_e32 v1, s7
	s_sub_u32 s24, 0, s6
	s_subb_u32 s25, 0, s7
	v_add_co_ci_u32_e64 v3, null, v5, v8, vcc_lo
	v_fmamk_f32 v0, v1, 0x4f800000, v0
	v_xor_b32_e32 v9, v2, v8
	v_xor_b32_e32 v10, v3, v8
	v_rcp_f32_e32 v0, v0
	v_mul_f32_e32 v0, 0x5f7ffffc, v0
	v_mul_f32_e32 v1, 0x2f800000, v0
	v_trunc_f32_e32 v1, v1
	v_fmamk_f32 v0, v1, 0xcf800000, v0
	v_cvt_u32_f32_e32 v1, v1
	v_cvt_u32_f32_e32 v0, v0
	v_readfirstlane_b32 s0, v1
	v_readfirstlane_b32 s3, v0
	s_mul_i32 s33, s24, s0
	s_mul_hi_u32 s35, s24, s3
	s_mul_i32 s34, s25, s3
	s_add_i32 s33, s35, s33
	s_mul_i32 s36, s24, s3
	s_add_i32 s33, s33, s34
	s_mul_hi_u32 s35, s3, s36
	s_mul_i32 s38, s3, s33
	s_mul_hi_u32 s37, s0, s36
	s_mul_i32 s34, s0, s36
	s_mul_hi_u32 s36, s3, s33
	s_add_u32 s35, s35, s38
	s_addc_u32 s36, 0, s36
	s_mul_hi_u32 s39, s0, s33
	s_add_u32 s34, s35, s34
	s_mul_i32 s33, s0, s33
	s_addc_u32 s34, s36, s37
	s_addc_u32 s35, s39, 0
	s_add_u32 s33, s34, s33
	s_addc_u32 s34, 0, s35
	s_add_u32 s3, s3, s33
	s_cselect_b32 s33, -1, 0
	s_mul_hi_u32 s35, s24, s3
	s_cmp_lg_u32 s33, 0
	s_mul_i32 s33, s24, s3
	s_addc_u32 s0, s0, s34
	s_mul_i32 s25, s25, s3
	s_mul_i32 s24, s24, s0
	s_mul_hi_u32 s34, s3, s33
	s_add_i32 s24, s35, s24
	s_mul_hi_u32 s35, s0, s33
	s_add_i32 s24, s24, s25
	s_mul_i32 s25, s0, s33
	s_mul_i32 s37, s3, s24
	s_mul_hi_u32 s36, s3, s24
	s_add_u32 s34, s34, s37
	s_addc_u32 s36, 0, s36
	s_mul_hi_u32 s33, s0, s24
	s_add_u32 s25, s34, s25
	s_mul_i32 s24, s0, s24
	s_addc_u32 s25, s36, s35
	s_addc_u32 s33, s33, 0
	s_add_u32 s24, s25, s24
	s_addc_u32 s25, 0, s33
	s_add_u32 s3, s3, s24
	s_cselect_b32 s24, -1, 0
	v_mul_hi_u32 v11, v9, s3
	s_cmp_lg_u32 s24, 0
	v_mad_u64_u32 v[2:3], null, v10, s3, 0
	s_addc_u32 s0, s0, s25
	v_mad_u64_u32 v[0:1], null, v9, s0, 0
	v_mad_u64_u32 v[6:7], null, v10, s0, 0
	v_add_co_u32 v0, vcc_lo, v11, v0
	v_add_co_ci_u32_e64 v1, null, 0, v1, vcc_lo
	v_add_co_u32 v0, vcc_lo, v0, v2
	v_add_co_ci_u32_e32 v0, vcc_lo, v1, v3, vcc_lo
	v_add_co_ci_u32_e32 v1, vcc_lo, 0, v7, vcc_lo
	v_add_co_u32 v2, vcc_lo, v0, v6
	v_add_co_ci_u32_e64 v3, null, 0, v1, vcc_lo
	v_mul_lo_u32 v6, s7, v2
	v_mad_u64_u32 v[0:1], null, s6, v2, 0
	v_mul_lo_u32 v7, s6, v3
	v_sub_co_u32 v0, vcc_lo, v9, v0
	v_add3_u32 v1, v1, v7, v6
	v_add_co_u32 v7, s0, v2, 2
	v_add_co_ci_u32_e64 v9, null, 0, v3, s0
	v_sub_nc_u32_e32 v6, v10, v1
	v_sub_co_u32 v11, s0, v0, s6
	v_sub_co_ci_u32_e64 v1, null, v10, v1, vcc_lo
	v_subrev_co_ci_u32_e64 v6, null, s7, v6, vcc_lo
	v_cmp_le_u32_e32 vcc_lo, s6, v11
	v_subrev_co_ci_u32_e64 v6, null, 0, v6, s0
	v_cndmask_b32_e64 v10, 0, -1, vcc_lo
	v_cmp_le_u32_e32 vcc_lo, s7, v6
	v_cndmask_b32_e64 v11, 0, -1, vcc_lo
	v_cmp_le_u32_e32 vcc_lo, s6, v0
	;; [unrolled: 2-line block ×3, first 2 shown]
	v_cndmask_b32_e64 v12, 0, -1, vcc_lo
	v_cmp_eq_u32_e32 vcc_lo, s7, v6
	v_cndmask_b32_e32 v6, v11, v10, vcc_lo
	v_add_co_u32 v10, vcc_lo, v2, 1
	v_add_co_ci_u32_e64 v11, null, 0, v3, vcc_lo
	v_cmp_eq_u32_e32 vcc_lo, s7, v1
	v_cndmask_b32_e32 v0, v12, v0, vcc_lo
	v_cmp_ne_u32_e32 vcc_lo, 0, v6
	v_xor_b32_e32 v6, s2, v8
	v_cmp_ne_u32_e64 s0, 0, v0
	v_cndmask_b32_e32 v0, v10, v7, vcc_lo
	v_cndmask_b32_e32 v1, v11, v9, vcc_lo
	v_cndmask_b32_e64 v0, v2, v0, s0
	v_cndmask_b32_e64 v1, v3, v1, s0
	v_xor_b32_e32 v0, v0, v6
	v_xor_b32_e32 v1, v1, v6
	v_sub_co_u32 v8, vcc_lo, v0, v6
	v_sub_co_ci_u32_e64 v9, null, v1, v6, vcc_lo
.LBB5_3:
	s_andn2_saveexec_b32 s0, s1
	s_cbranch_execz .LBB5_5
; %bb.4:
	v_cvt_f32_u32_e32 v0, s26
	s_sub_i32 s1, 0, s26
	v_mov_b32_e32 v9, 0
	v_rcp_iflag_f32_e32 v0, v0
	v_mul_f32_e32 v0, 0x4f7ffffe, v0
	v_cvt_u32_f32_e32 v0, v0
	v_mul_lo_u32 v1, s1, v0
	v_mul_hi_u32 v1, v0, v1
	v_add_nc_u32_e32 v0, v0, v1
	v_mul_hi_u32 v0, v4, v0
	v_mul_lo_u32 v1, v0, s26
	v_add_nc_u32_e32 v2, 1, v0
	v_sub_nc_u32_e32 v1, v4, v1
	v_subrev_nc_u32_e32 v3, s26, v1
	v_cmp_le_u32_e32 vcc_lo, s26, v1
	v_cndmask_b32_e32 v1, v1, v3, vcc_lo
	v_cndmask_b32_e32 v0, v0, v2, vcc_lo
	v_cmp_le_u32_e32 vcc_lo, s26, v1
	v_add_nc_u32_e32 v2, 1, v0
	v_cndmask_b32_e32 v8, v0, v2, vcc_lo
.LBB5_5:
	s_or_b32 exec_lo, exec_lo, s0
	v_or_b32_e32 v1, s21, v9
	v_mov_b32_e32 v0, 0
                                        ; implicit-def: $vgpr6_vgpr7
	s_mov_b32 s0, exec_lo
	v_cmpx_ne_u64_e32 0, v[0:1]
	s_xor_b32 s1, exec_lo, s0
	s_cbranch_execz .LBB5_7
; %bb.6:
	s_ashr_i32 s2, s21, 31
	v_ashrrev_i32_e32 v10, 31, v9
	s_add_u32 s6, s20, s2
	s_mov_b32 s3, s2
	s_addc_u32 s7, s21, s2
	s_xor_b64 s[6:7], s[6:7], s[2:3]
	v_add_co_u32 v2, vcc_lo, v8, v10
	v_cvt_f32_u32_e32 v0, s6
	v_cvt_f32_u32_e32 v1, s7
	s_sub_u32 s24, 0, s6
	s_subb_u32 s25, 0, s7
	v_add_co_ci_u32_e64 v3, null, v9, v10, vcc_lo
	v_fmamk_f32 v0, v1, 0x4f800000, v0
	v_xor_b32_e32 v11, v2, v10
	v_xor_b32_e32 v12, v3, v10
	v_rcp_f32_e32 v0, v0
	v_mul_f32_e32 v0, 0x5f7ffffc, v0
	v_mul_f32_e32 v1, 0x2f800000, v0
	v_trunc_f32_e32 v1, v1
	v_fmamk_f32 v0, v1, 0xcf800000, v0
	v_cvt_u32_f32_e32 v1, v1
	v_cvt_u32_f32_e32 v0, v0
	v_readfirstlane_b32 s0, v1
	v_readfirstlane_b32 s3, v0
	s_mul_i32 s33, s24, s0
	s_mul_hi_u32 s35, s24, s3
	s_mul_i32 s34, s25, s3
	s_add_i32 s33, s35, s33
	s_mul_i32 s36, s24, s3
	s_add_i32 s33, s33, s34
	s_mul_hi_u32 s35, s3, s36
	s_mul_i32 s38, s3, s33
	s_mul_hi_u32 s37, s0, s36
	s_mul_i32 s34, s0, s36
	s_mul_hi_u32 s36, s3, s33
	s_add_u32 s35, s35, s38
	s_addc_u32 s36, 0, s36
	s_mul_hi_u32 s39, s0, s33
	s_add_u32 s34, s35, s34
	s_mul_i32 s33, s0, s33
	s_addc_u32 s34, s36, s37
	s_addc_u32 s35, s39, 0
	s_add_u32 s33, s34, s33
	s_addc_u32 s34, 0, s35
	s_add_u32 s3, s3, s33
	s_cselect_b32 s33, -1, 0
	s_mul_hi_u32 s35, s24, s3
	s_cmp_lg_u32 s33, 0
	s_mul_i32 s33, s24, s3
	s_addc_u32 s0, s0, s34
	s_mul_i32 s25, s25, s3
	s_mul_i32 s24, s24, s0
	s_mul_hi_u32 s34, s3, s33
	s_add_i32 s24, s35, s24
	s_mul_hi_u32 s35, s0, s33
	s_add_i32 s24, s24, s25
	s_mul_i32 s25, s0, s33
	s_mul_i32 s37, s3, s24
	s_mul_hi_u32 s36, s3, s24
	s_add_u32 s34, s34, s37
	s_addc_u32 s36, 0, s36
	s_mul_hi_u32 s33, s0, s24
	s_add_u32 s25, s34, s25
	s_mul_i32 s24, s0, s24
	s_addc_u32 s25, s36, s35
	s_addc_u32 s33, s33, 0
	s_add_u32 s24, s25, s24
	s_addc_u32 s25, 0, s33
	s_add_u32 s3, s3, s24
	s_cselect_b32 s24, -1, 0
	v_mul_hi_u32 v13, v11, s3
	s_cmp_lg_u32 s24, 0
	v_mad_u64_u32 v[2:3], null, v12, s3, 0
	s_addc_u32 s0, s0, s25
	v_mad_u64_u32 v[0:1], null, v11, s0, 0
	v_mad_u64_u32 v[6:7], null, v12, s0, 0
	v_add_co_u32 v0, vcc_lo, v13, v0
	v_add_co_ci_u32_e64 v1, null, 0, v1, vcc_lo
	v_add_co_u32 v0, vcc_lo, v0, v2
	v_add_co_ci_u32_e32 v0, vcc_lo, v1, v3, vcc_lo
	v_add_co_ci_u32_e32 v1, vcc_lo, 0, v7, vcc_lo
	v_add_co_u32 v2, vcc_lo, v0, v6
	v_add_co_ci_u32_e64 v3, null, 0, v1, vcc_lo
	v_mul_lo_u32 v6, s7, v2
	v_mad_u64_u32 v[0:1], null, s6, v2, 0
	v_mul_lo_u32 v7, s6, v3
	v_sub_co_u32 v0, vcc_lo, v11, v0
	v_add3_u32 v1, v1, v7, v6
	v_add_co_u32 v7, s0, v2, 2
	v_add_co_ci_u32_e64 v11, null, 0, v3, s0
	v_sub_nc_u32_e32 v6, v12, v1
	v_sub_co_u32 v13, s0, v0, s6
	v_sub_co_ci_u32_e64 v1, null, v12, v1, vcc_lo
	v_subrev_co_ci_u32_e64 v6, null, s7, v6, vcc_lo
	v_cmp_le_u32_e32 vcc_lo, s6, v13
	v_subrev_co_ci_u32_e64 v6, null, 0, v6, s0
	v_cndmask_b32_e64 v12, 0, -1, vcc_lo
	v_cmp_le_u32_e32 vcc_lo, s7, v6
	v_cndmask_b32_e64 v13, 0, -1, vcc_lo
	v_cmp_le_u32_e32 vcc_lo, s6, v0
	;; [unrolled: 2-line block ×3, first 2 shown]
	v_cndmask_b32_e64 v14, 0, -1, vcc_lo
	v_cmp_eq_u32_e32 vcc_lo, s7, v6
	v_cndmask_b32_e32 v6, v13, v12, vcc_lo
	v_add_co_u32 v12, vcc_lo, v2, 1
	v_add_co_ci_u32_e64 v13, null, 0, v3, vcc_lo
	v_cmp_eq_u32_e32 vcc_lo, s7, v1
	v_cndmask_b32_e32 v0, v14, v0, vcc_lo
	v_cmp_ne_u32_e32 vcc_lo, 0, v6
	v_cmp_ne_u32_e64 s0, 0, v0
	v_cndmask_b32_e32 v0, v12, v7, vcc_lo
	v_cndmask_b32_e32 v1, v13, v11, vcc_lo
	v_xor_b32_e32 v7, s2, v10
	v_cndmask_b32_e64 v0, v2, v0, s0
	v_cndmask_b32_e64 v1, v3, v1, s0
	v_xor_b32_e32 v0, v0, v7
	v_xor_b32_e32 v1, v1, v7
	v_sub_co_u32 v6, vcc_lo, v0, v7
	v_sub_co_ci_u32_e64 v7, null, v1, v7, vcc_lo
.LBB5_7:
	s_andn2_saveexec_b32 s0, s1
	s_cbranch_execz .LBB5_9
; %bb.8:
	v_cvt_f32_u32_e32 v0, s20
	s_sub_i32 s1, 0, s20
	v_mov_b32_e32 v7, 0
	v_rcp_iflag_f32_e32 v0, v0
	v_mul_f32_e32 v0, 0x4f7ffffe, v0
	v_cvt_u32_f32_e32 v0, v0
	v_mul_lo_u32 v1, s1, v0
	v_mul_hi_u32 v1, v0, v1
	v_add_nc_u32_e32 v0, v0, v1
	v_mul_hi_u32 v0, v8, v0
	v_mul_lo_u32 v1, v0, s20
	v_add_nc_u32_e32 v2, 1, v0
	v_sub_nc_u32_e32 v1, v8, v1
	v_subrev_nc_u32_e32 v3, s20, v1
	v_cmp_le_u32_e32 vcc_lo, s20, v1
	v_cndmask_b32_e32 v1, v1, v3, vcc_lo
	v_cndmask_b32_e32 v0, v0, v2, vcc_lo
	v_cmp_le_u32_e32 vcc_lo, s20, v1
	v_add_nc_u32_e32 v2, 1, v0
	v_cndmask_b32_e32 v6, v0, v2, vcc_lo
.LBB5_9:
	s_or_b32 exec_lo, exec_lo, s0
	v_mul_lo_u32 v2, v7, s20
	v_mul_lo_u32 v3, v6, s21
	v_mad_u64_u32 v[0:1], null, v6, s20, 0
	v_add3_u32 v3, v1, v3, v2
	v_mul_lo_u32 v10, v0, s23
	v_mad_u64_u32 v[1:2], null, v0, s22, 0
	v_mul_lo_u32 v11, v3, s22
	v_add3_u32 v2, v2, v10, v11
	v_sub_co_u32 v10, vcc_lo, v8, v0
	v_sub_co_ci_u32_e64 v11, null, v9, v3, vcc_lo
	v_lshlrev_b64 v[2:3], 3, v[1:2]
	v_lshlrev_b64 v[0:1], 3, v[10:11]
	v_add_co_u32 v2, vcc_lo, s16, v2
	v_add_co_ci_u32_e64 v3, null, s17, v3, vcc_lo
	v_add_co_u32 v2, vcc_lo, v2, v0
	v_add_co_ci_u32_e64 v3, null, v3, v1, vcc_lo
	global_load_dwordx2 v[12:13], v[2:3], off
	s_waitcnt vmcnt(0)
	v_cmp_ne_u64_e32 vcc_lo, 0, v[12:13]
	s_and_b32 exec_lo, exec_lo, vcc_lo
	s_cbranch_execz .LBB5_54
; %bb.10:
	s_load_dwordx8 s[36:43], s[4:5], 0x70
	s_add_u32 s0, s20, 1
	s_addc_u32 s1, s21, 0
	v_mul_lo_u32 v16, v9, s26
	v_mul_lo_u32 v17, v8, s27
	v_mad_u64_u32 v[8:9], null, v8, s26, 0
	v_add3_u32 v9, v9, v17, v16
	s_waitcnt lgkmcnt(0)
	s_mul_i32 s1, s40, s1
	s_mul_hi_u32 s2, s40, s0
	s_mul_i32 s3, s41, s0
	s_add_i32 s1, s2, s1
	s_mul_i32 s0, s40, s0
	s_add_i32 s1, s1, s3
	v_mul_lo_u32 v14, s0, v7
	v_mad_u64_u32 v[2:3], null, s0, v6, 0
	v_mul_lo_u32 v15, s1, v6
	s_load_dword s1, s[4:5], 0x0
	v_add3_u32 v3, v3, v14, v15
	v_mad_u64_u32 v[14:15], null, v6, s38, v[10:11]
	v_mul_lo_u32 v10, v6, s39
	v_mul_lo_u32 v11, v7, s38
	v_lshlrev_b64 v[2:3], 3, v[2:3]
	v_add_co_u32 v2, vcc_lo, s18, v2
	v_add_co_ci_u32_e64 v3, null, s19, v3, vcc_lo
	v_add3_u32 v15, v11, v15, v10
	v_add_co_u32 v0, vcc_lo, v2, v0
	v_add_co_ci_u32_e64 v1, null, v3, v1, vcc_lo
	v_sub_co_u32 v16, vcc_lo, v4, v8
	v_sub_co_ci_u32_e64 v17, null, v5, v9, vcc_lo
	global_load_dwordx4 v[0:3], v[0:1], off
	v_mul_lo_u32 v15, v15, s36
	s_waitcnt lgkmcnt(0)
	s_and_b32 s0, s1, -3
	v_mad_u64_u32 v[10:11], null, v14, s36, v[16:17]
	v_mul_lo_u32 v14, v14, s37
	s_cmp_lg_u32 s0, 0
	v_add3_u32 v11, v15, v11, v14
	s_cbranch_scc0 .LBB5_25
; %bb.11:
	s_cmp_lt_i32 s1, 3
	s_mov_b32 s0, -1
	s_cbranch_scc1 .LBB5_34
; %bb.12:
	s_cmp_lt_i32 s1, 4
	s_cbranch_scc1 .LBB5_28
; %bb.13:
	s_cmp_eq_u32 s1, 4
	s_cbranch_scc0 .LBB5_27
; %bb.14:
	s_mov_b32 s16, exec_lo
	s_waitcnt vmcnt(0)
	v_cmpx_lt_i64_e64 v[0:1], v[2:3]
	s_cbranch_execz .LBB5_26
; %bb.15:
	v_lshlrev_b64 v[18:19], 2, v[10:11]
	v_mul_lo_u32 v20, s31, v6
	v_mul_lo_u32 v21, s30, v7
	s_load_dword s17, s[4:5], 0x48
	s_lshl_b64 s[2:3], s[28:29], 2
	s_mov_b64 s[4:5], 0
	v_add_co_u32 v14, vcc_lo, s10, v18
	v_add_co_ci_u32_e64 v15, null, s11, v19, vcc_lo
	v_add_co_u32 v18, vcc_lo, s12, v18
	v_add_co_ci_u32_e64 v19, null, s13, v19, vcc_lo
	global_load_dword v24, v[14:15], off
	global_load_dword v25, v[18:19], off
	v_mad_u64_u32 v[18:19], null, s30, v6, 0
	s_mov_b32 s18, 0
	v_add3_u32 v19, v19, v21, v20
	v_lshlrev_b64 v[20:21], 2, v[0:1]
	v_mul_lo_u32 v28, v18, s29
	v_mad_u64_u32 v[16:17], null, v18, s28, v[16:17]
	v_lshlrev_b64 v[22:23], 2, v[18:19]
	v_mul_lo_u32 v18, v19, s28
	v_add_co_u32 v22, vcc_lo, v22, v20
	v_add_co_ci_u32_e64 v23, null, v23, v21, vcc_lo
	v_lshlrev_b64 v[20:21], 2, v[4:5]
	v_mul_lo_u32 v27, s29, v22
	v_add3_u32 v17, v18, v17, v28
	v_mul_lo_u32 v26, s28, v23
	v_mad_u64_u32 v[20:21], null, s28, v22, v[20:21]
	v_lshlrev_b64 v[22:23], 2, v[8:9]
	v_add3_u32 v19, v27, v21, v26
	v_sub_co_u32 v20, vcc_lo, v20, v22
	v_sub_co_ci_u32_e64 v19, null, v19, v23, vcc_lo
	v_add_co_u32 v18, vcc_lo, s14, v20
	v_mov_b32_e32 v21, v1
	v_add_co_ci_u32_e64 v19, null, s15, v19, vcc_lo
	v_mov_b32_e32 v20, v0
	s_waitcnt vmcnt(0)
	v_mul_f32_e32 v28, v24, v25
	s_branch .LBB5_18
.LBB5_16:                               ;   in Loop: Header=BB5_18 Depth=1
	s_or_b32 exec_lo, exec_lo, s20
	global_load_dword v24, v[14:15], off
	s_waitcnt vmcnt(0)
	v_mul_f32_e32 v24, v29, v24
.LBB5_17:                               ;   in Loop: Header=BB5_18 Depth=1
	s_or_b32 exec_lo, exec_lo, s19
	v_add_co_u32 v20, vcc_lo, v20, 1
	v_add_co_ci_u32_e64 v21, null, 0, v21, vcc_lo
	v_add_co_u32 v22, s0, s8, v22
	v_add_co_ci_u32_e64 v23, null, s9, v23, s0
	v_cmp_ge_i64_e32 vcc_lo, v[20:21], v[2:3]
	s_add_u32 s4, s4, 1
	s_addc_u32 s5, s5, 0
	global_store_dword v[22:23], v24, off
	s_or_b32 s18, vcc_lo, s18
	s_andn2_b32 exec_lo, exec_lo, s18
	s_cbranch_execz .LBB5_26
.LBB5_18:                               ; =>This Loop Header: Depth=1
                                        ;     Child Loop BB5_23 Depth 2
	v_mad_u64_u32 v[22:23], null, v20, s28, v[16:17]
	v_mul_lo_u32 v24, v20, s29
	v_mul_lo_u32 v25, v21, s28
	s_mov_b32 s0, exec_lo
	v_add3_u32 v23, v25, v23, v24
	v_lshlrev_b64 v[22:23], 2, v[22:23]
	v_add_co_u32 v24, vcc_lo, s14, v22
	v_add_co_ci_u32_e64 v25, null, s15, v23, vcc_lo
	global_load_dword v25, v[24:25], off
                                        ; implicit-def: $vgpr24
	s_waitcnt vmcnt(0)
	v_cmpx_lg_f32_e32 0, v25
	s_xor_b32 s0, exec_lo, s0
	s_cbranch_execz .LBB5_20
; %bb.19:                               ;   in Loop: Header=BB5_18 Depth=1
	v_div_scale_f32 v24, null, v25, v25, v28
	v_rcp_f32_e32 v26, v24
	v_fma_f32 v27, -v24, v26, 1.0
	v_fmac_f32_e32 v26, v27, v26
	v_div_scale_f32 v27, vcc_lo, v28, v25, v28
	v_mul_f32_e32 v29, v27, v26
	v_fma_f32 v30, -v24, v29, v27
	v_fmac_f32_e32 v29, v30, v26
	v_fma_f32 v24, -v24, v29, v27
	v_div_fmas_f32 v24, v24, v26, v29
	v_div_fixup_f32 v24, v24, v25, v28
.LBB5_20:                               ;   in Loop: Header=BB5_18 Depth=1
	s_andn2_saveexec_b32 s19, s0
	s_cbranch_execz .LBB5_17
; %bb.21:                               ;   in Loop: Header=BB5_18 Depth=1
	v_mov_b32_e32 v25, v19
	v_mov_b32_e32 v27, v1
	s_waitcnt lgkmcnt(0)
	v_mov_b32_e32 v29, s17
	v_mov_b32_e32 v24, v18
	;; [unrolled: 1-line block ×3, first 2 shown]
	s_mov_b32 s20, 0
	s_mov_b64 s[6:7], s[4:5]
	s_branch .LBB5_23
	.p2align	6
.LBB5_22:                               ;   in Loop: Header=BB5_23 Depth=2
	v_add_co_u32 v26, vcc_lo, v26, 1
	v_add_co_ci_u32_e64 v27, null, 0, v27, vcc_lo
	v_add_co_u32 v24, s0, v24, s2
	v_add_co_ci_u32_e64 v25, null, s3, v25, s0
	v_cmp_ge_i64_e32 vcc_lo, v[26:27], v[2:3]
	s_add_u32 s6, s6, -1
	s_addc_u32 s7, s7, -1
	s_or_b32 s20, vcc_lo, s20
	s_andn2_b32 exec_lo, exec_lo, s20
	s_cbranch_execz .LBB5_16
.LBB5_23:                               ;   Parent Loop BB5_18 Depth=1
                                        ; =>  This Inner Loop Header: Depth=2
	s_cmp_eq_u64 s[6:7], 0
	s_cbranch_scc1 .LBB5_22
; %bb.24:                               ;   in Loop: Header=BB5_23 Depth=2
	global_load_dword v30, v[24:25], off
	s_waitcnt vmcnt(0)
	v_mul_f32_e32 v29, v29, v30
	s_branch .LBB5_22
.LBB5_25:
	s_cbranch_execnz .LBB5_41
	s_branch .LBB5_54
.LBB5_26:
	s_or_b32 exec_lo, exec_lo, s16
.LBB5_27:
	s_mov_b32 s0, 0
.LBB5_28:
	s_andn2_b32 vcc_lo, exec_lo, s0
	s_cbranch_vccnz .LBB5_33
; %bb.29:
	s_mov_b32 s4, exec_lo
	s_waitcnt vmcnt(0)
	v_cmpx_lt_i64_e64 v[0:1], v[2:3]
	s_cbranch_execz .LBB5_32
; %bb.30:
	v_lshlrev_b64 v[14:15], 2, v[10:11]
	v_mul_lo_u32 v16, v7, s30
	v_mul_lo_u32 v17, v6, s31
	s_lshl_b64 s[2:3], s[28:29], 2
	s_mov_b32 s5, 0
	v_add_co_u32 v14, vcc_lo, s10, v14
	v_add_co_ci_u32_e64 v15, null, s11, v15, vcc_lo
	global_load_dword v18, v[14:15], off
	v_mad_u64_u32 v[14:15], null, v6, s30, 0
	v_add3_u32 v15, v15, v17, v16
	v_lshlrev_b64 v[16:17], 2, v[0:1]
	v_lshlrev_b64 v[14:15], 2, v[14:15]
	v_add_co_u32 v16, vcc_lo, v14, v16
	v_add_co_ci_u32_e64 v17, null, v15, v17, vcc_lo
	v_lshlrev_b64 v[14:15], 2, v[4:5]
	v_mul_lo_u32 v20, s29, v16
	v_mul_lo_u32 v19, s28, v17
	v_mad_u64_u32 v[14:15], null, s28, v16, v[14:15]
	v_lshlrev_b64 v[16:17], 2, v[8:9]
	v_add3_u32 v15, v20, v15, v19
	v_sub_co_u32 v14, vcc_lo, v14, v16
	v_sub_co_ci_u32_e64 v15, null, v15, v17, vcc_lo
	v_add_co_u32 v14, vcc_lo, s8, v14
	v_mov_b32_e32 v17, v1
	v_add_co_ci_u32_e64 v15, null, s9, v15, vcc_lo
	v_mov_b32_e32 v16, v0
.LBB5_31:                               ; =>This Inner Loop Header: Depth=1
	v_add_co_u32 v16, vcc_lo, v16, 1
	v_add_co_ci_u32_e64 v17, null, 0, v17, vcc_lo
	s_waitcnt vmcnt(0)
	global_store_dword v[14:15], v18, off
	v_add_co_u32 v14, s0, v14, s2
	v_cmp_ge_i64_e32 vcc_lo, v[16:17], v[2:3]
	v_add_co_ci_u32_e64 v15, null, s3, v15, s0
	s_or_b32 s5, vcc_lo, s5
	s_andn2_b32 exec_lo, exec_lo, s5
	s_cbranch_execnz .LBB5_31
.LBB5_32:
	s_or_b32 exec_lo, exec_lo, s4
.LBB5_33:
	s_mov_b32 s0, 0
.LBB5_34:
	s_andn2_b32 vcc_lo, exec_lo, s0
	s_cbranch_vccnz .LBB5_40
; %bb.35:
	s_cmp_lg_u32 s1, 1
	s_cbranch_scc1 .LBB5_40
; %bb.36:
	s_mov_b32 s1, exec_lo
	s_waitcnt vmcnt(0)
	v_cmpx_lt_i64_e64 v[0:1], v[2:3]
	s_cbranch_execz .LBB5_39
; %bb.37:
	v_lshlrev_b64 v[14:15], 2, v[10:11]
	s_lshl_b64 s[2:3], s[28:29], 2
	s_mov_b32 s4, 0
	v_add_co_u32 v14, vcc_lo, s10, v14
	v_add_co_ci_u32_e64 v15, null, s11, v15, vcc_lo
	global_load_dword v16, v[14:15], off
	v_xor_b32_e32 v14, v12, v13
	v_ffbh_i32_e32 v15, v13
	v_ashrrev_i32_e32 v14, 31, v14
	v_add_nc_u32_e32 v15, -1, v15
	v_add_nc_u32_e32 v14, 32, v14
	v_min_u32_e32 v14, v15, v14
	v_mul_lo_u32 v15, v6, s31
	v_lshlrev_b64 v[12:13], v14, v[12:13]
	v_min_u32_e32 v12, 1, v12
	v_or_b32_e32 v12, v13, v12
	v_sub_nc_u32_e32 v13, 32, v14
	v_mul_lo_u32 v14, v7, s30
	v_cvt_f32_i32_e32 v12, v12
	v_ldexp_f32 v17, v12, v13
	v_mad_u64_u32 v[12:13], null, v6, s30, 0
	v_add3_u32 v13, v13, v15, v14
	v_lshlrev_b64 v[14:15], 2, v[0:1]
	v_lshlrev_b64 v[12:13], 2, v[12:13]
	v_add_co_u32 v14, s0, v12, v14
	v_add_co_ci_u32_e64 v15, null, v13, v15, s0
	v_lshlrev_b64 v[12:13], 2, v[4:5]
	v_mul_lo_u32 v23, s29, v14
	v_mul_lo_u32 v22, s28, v15
	v_mad_u64_u32 v[12:13], null, s28, v14, v[12:13]
	v_add3_u32 v13, v23, v13, v22
	s_waitcnt vmcnt(0)
	v_div_scale_f32 v18, null, v17, v17, v16
	v_div_scale_f32 v21, vcc_lo, v16, v17, v16
	v_rcp_f32_e32 v19, v18
	v_fma_f32 v20, -v18, v19, 1.0
	v_fmac_f32_e32 v19, v20, v19
	v_mul_f32_e32 v20, v21, v19
	v_fma_f32 v15, -v18, v20, v21
	v_fmac_f32_e32 v20, v15, v19
	v_lshlrev_b64 v[14:15], 2, v[8:9]
	v_fma_f32 v18, -v18, v20, v21
	v_sub_co_u32 v12, s0, v12, v14
	v_sub_co_ci_u32_e64 v13, null, v13, v15, s0
	v_div_fmas_f32 v14, v18, v19, v20
	v_add_co_u32 v12, vcc_lo, s8, v12
	v_add_co_ci_u32_e64 v13, null, s9, v13, vcc_lo
	v_div_fixup_f32 v16, v14, v17, v16
	v_mov_b32_e32 v15, v1
	v_mov_b32_e32 v14, v0
.LBB5_38:                               ; =>This Inner Loop Header: Depth=1
	v_add_co_u32 v14, vcc_lo, v14, 1
	v_add_co_ci_u32_e64 v15, null, 0, v15, vcc_lo
	global_store_dword v[12:13], v16, off
	v_add_co_u32 v12, s0, v12, s2
	v_cmp_ge_i64_e32 vcc_lo, v[14:15], v[2:3]
	v_add_co_ci_u32_e64 v13, null, s3, v13, s0
	s_or_b32 s4, vcc_lo, s4
	s_andn2_b32 exec_lo, exec_lo, s4
	s_cbranch_execnz .LBB5_38
.LBB5_39:
	s_or_b32 exec_lo, exec_lo, s1
.LBB5_40:
	s_branch .LBB5_54
.LBB5_41:
	v_mov_b32_e32 v12, 0
	v_mov_b32_e32 v13, 0
	s_mov_b32 s4, exec_lo
	s_waitcnt vmcnt(0)
	v_cmp_ge_i64_e32 vcc_lo, v[0:1], v[2:3]
	v_cmpx_lt_i64_e64 v[0:1], v[2:3]
	s_cbranch_execz .LBB5_49
; %bb.42:
	v_mad_u64_u32 v[12:13], null, v6, s30, v[0:1]
	v_mul_lo_u32 v14, v6, s31
	v_mul_lo_u32 v15, v7, s30
	v_mov_b32_e32 v19, v1
	v_mov_b32_e32 v18, v0
	s_lshl_b64 s[2:3], s[28:29], 2
	s_mov_b32 s5, 0
	v_mul_lo_u32 v16, s29, v12
	v_add3_u32 v14, v15, v13, v14
	v_mad_u64_u32 v[12:13], null, s28, v12, v[4:5]
	v_mul_lo_u32 v17, s28, v14
	v_lshlrev_b64 v[14:15], 2, v[10:11]
	v_add_co_u32 v10, s0, s12, v14
	v_add3_u32 v13, v16, v13, v17
	v_add_co_ci_u32_e64 v11, null, s13, v15, s0
	v_sub_co_u32 v12, s0, v12, v8
	v_sub_co_ci_u32_e64 v13, null, v13, v9, s0
	v_add_co_u32 v14, s0, s10, v14
	v_add_co_ci_u32_e64 v15, null, s11, v15, s0
	v_lshlrev_b64 v[16:17], 2, v[12:13]
	v_mov_b32_e32 v12, 0
	v_mov_b32_e32 v13, 0
	s_inst_prefetch 0x1
	s_branch .LBB5_44
	.p2align	6
.LBB5_43:                               ;   in Loop: Header=BB5_44 Depth=1
	s_or_b32 exec_lo, exec_lo, s1
	v_add_co_u32 v18, s0, v18, 1
	v_add_co_ci_u32_e64 v19, null, 0, v19, s0
	v_add_co_u32 v16, s1, v16, s2
	v_add_co_ci_u32_e64 v17, null, s3, v17, s1
	v_cmp_ge_i64_e64 s0, v[18:19], v[2:3]
	s_or_b32 s5, s0, s5
	s_andn2_b32 exec_lo, exec_lo, s5
	s_cbranch_execz .LBB5_48
.LBB5_44:                               ; =>This Inner Loop Header: Depth=1
	v_add_co_u32 v20, s0, s14, v16
	v_add_co_ci_u32_e64 v21, null, s15, v17, s0
	s_mov_b32 s1, exec_lo
	global_load_dword v20, v[20:21], off
	s_waitcnt vmcnt(0)
	v_cmp_u_f32_e64 s6, v20, v20
	v_cmpx_o_f32_e32 v20, v20
	s_cbranch_execz .LBB5_46
; %bb.45:                               ;   in Loop: Header=BB5_44 Depth=1
	global_load_dword v21, v[10:11], off
	s_andn2_b32 s6, s6, exec_lo
	s_waitcnt vmcnt(0)
	v_cmp_eq_f32_e64 s0, v20, v21
	s_and_b32 s0, s0, exec_lo
	s_or_b32 s6, s6, s0
.LBB5_46:                               ;   in Loop: Header=BB5_44 Depth=1
	s_or_b32 exec_lo, exec_lo, s1
	s_and_saveexec_b32 s1, s6
	s_cbranch_execz .LBB5_43
; %bb.47:                               ;   in Loop: Header=BB5_44 Depth=1
	global_load_dword v22, v[14:15], off
	v_add_co_u32 v20, s0, s8, v16
	v_add_co_ci_u32_e64 v21, null, s9, v17, s0
	v_add_co_u32 v12, s0, v12, 1
	v_add_co_ci_u32_e64 v13, null, 0, v13, s0
	s_waitcnt vmcnt(0)
	global_store_dword v[20:21], v22, off
	s_branch .LBB5_43
.LBB5_48:
	s_inst_prefetch 0x2
	s_or_b32 exec_lo, exec_lo, s5
.LBB5_49:
	s_or_b32 exec_lo, exec_lo, s4
	v_cmp_lt_i64_e64 s0, 1, v[12:13]
	s_xor_b32 s1, vcc_lo, -1
	s_and_b32 s0, s0, s1
	s_and_b32 exec_lo, exec_lo, s0
	s_cbranch_execz .LBB5_54
; %bb.50:
	v_mul_lo_u32 v10, v7, s30
	v_mul_lo_u32 v11, v6, s31
	v_mad_u64_u32 v[6:7], null, v6, s30, 0
	v_ffbh_u32_e32 v14, v13
	v_lshlrev_b64 v[4:5], 2, v[4:5]
	s_lshl_b64 s[2:3], s[28:29], 2
	s_mov_b32 s1, 0
	v_min_u32_e32 v14, 32, v14
	v_add3_u32 v7, v7, v11, v10
	v_lshlrev_b64 v[10:11], 2, v[0:1]
	v_lshlrev_b64 v[12:13], v14, v[12:13]
	;; [unrolled: 1-line block ×3, first 2 shown]
	v_add_co_u32 v6, vcc_lo, v6, v10
	v_add_co_ci_u32_e64 v7, null, v7, v11, vcc_lo
	v_min_u32_e32 v10, 1, v12
	v_mul_lo_u32 v12, s29, v6
	v_mad_u64_u32 v[4:5], null, s28, v6, v[4:5]
	v_mul_lo_u32 v11, s28, v7
	v_lshlrev_b64 v[6:7], 2, v[8:9]
	v_or_b32_e32 v10, v13, v10
	v_sub_nc_u32_e32 v9, 32, v14
	v_sub_co_u32 v4, vcc_lo, v4, v6
	v_add3_u32 v5, v12, v5, v11
	v_cvt_f32_u32_e32 v8, v10
	v_sub_co_ci_u32_e64 v5, null, v5, v7, vcc_lo
	v_add_co_u32 v4, vcc_lo, s8, v4
	v_ldexp_f32 v6, v8, v9
	v_add_co_ci_u32_e64 v5, null, s9, v5, vcc_lo
	s_inst_prefetch 0x1
	s_branch .LBB5_52
	.p2align	6
.LBB5_51:                               ;   in Loop: Header=BB5_52 Depth=1
	s_or_b32 exec_lo, exec_lo, s0
	v_add_co_u32 v0, vcc_lo, v0, 1
	v_add_co_ci_u32_e64 v1, null, 0, v1, vcc_lo
	v_add_co_u32 v4, s0, v4, s2
	v_add_co_ci_u32_e64 v5, null, s3, v5, s0
	v_cmp_ge_i64_e32 vcc_lo, v[0:1], v[2:3]
	s_or_b32 s1, vcc_lo, s1
	s_andn2_b32 exec_lo, exec_lo, s1
	s_cbranch_execz .LBB5_54
.LBB5_52:                               ; =>This Inner Loop Header: Depth=1
	global_load_dword v7, v[4:5], off
	s_mov_b32 s0, exec_lo
	s_waitcnt vmcnt(0)
	v_cmpx_lt_f32_e32 0, v7
	s_cbranch_execz .LBB5_51
; %bb.53:                               ;   in Loop: Header=BB5_52 Depth=1
	v_div_scale_f32 v8, null, v6, v6, v7
	v_rcp_f32_e32 v9, v8
	v_fma_f32 v10, -v8, v9, 1.0
	v_fmac_f32_e32 v9, v10, v9
	v_div_scale_f32 v10, vcc_lo, v7, v6, v7
	v_mul_f32_e32 v11, v10, v9
	v_fma_f32 v12, -v8, v11, v10
	v_fmac_f32_e32 v11, v12, v9
	v_fma_f32 v8, -v8, v11, v10
	v_div_fmas_f32 v8, v8, v9, v11
	v_div_fixup_f32 v7, v8, v6, v7
	global_store_dword v[4:5], v7, off
	s_branch .LBB5_51
.LBB5_54:
	s_inst_prefetch 0x2
	s_endpgm
	.section	.rodata,"a",@progbits
	.p2align	6, 0x0
	.amdhsa_kernel _ZN2at6native12_GLOBAL__N_130segment_reduce_backward_kernelIflEEvNS0_13ReductionTypeEPT_PKS4_S7_S7_PKT0_SA_llS4_lllllll
		.amdhsa_group_segment_fixed_size 0
		.amdhsa_private_segment_fixed_size 0
		.amdhsa_kernarg_size 392
		.amdhsa_user_sgpr_count 6
		.amdhsa_user_sgpr_private_segment_buffer 1
		.amdhsa_user_sgpr_dispatch_ptr 0
		.amdhsa_user_sgpr_queue_ptr 0
		.amdhsa_user_sgpr_kernarg_segment_ptr 1
		.amdhsa_user_sgpr_dispatch_id 0
		.amdhsa_user_sgpr_flat_scratch_init 0
		.amdhsa_user_sgpr_private_segment_size 0
		.amdhsa_wavefront_size32 1
		.amdhsa_uses_dynamic_stack 0
		.amdhsa_system_sgpr_private_segment_wavefront_offset 0
		.amdhsa_system_sgpr_workgroup_id_x 1
		.amdhsa_system_sgpr_workgroup_id_y 0
		.amdhsa_system_sgpr_workgroup_id_z 0
		.amdhsa_system_sgpr_workgroup_info 0
		.amdhsa_system_vgpr_workitem_id 0
		.amdhsa_next_free_vgpr 31
		.amdhsa_next_free_sgpr 44
		.amdhsa_reserve_vcc 1
		.amdhsa_reserve_flat_scratch 0
		.amdhsa_float_round_mode_32 0
		.amdhsa_float_round_mode_16_64 0
		.amdhsa_float_denorm_mode_32 3
		.amdhsa_float_denorm_mode_16_64 3
		.amdhsa_dx10_clamp 1
		.amdhsa_ieee_mode 1
		.amdhsa_fp16_overflow 0
		.amdhsa_workgroup_processor_mode 1
		.amdhsa_memory_ordered 1
		.amdhsa_forward_progress 1
		.amdhsa_shared_vgpr_count 0
		.amdhsa_exception_fp_ieee_invalid_op 0
		.amdhsa_exception_fp_denorm_src 0
		.amdhsa_exception_fp_ieee_div_zero 0
		.amdhsa_exception_fp_ieee_overflow 0
		.amdhsa_exception_fp_ieee_underflow 0
		.amdhsa_exception_fp_ieee_inexact 0
		.amdhsa_exception_int_div_zero 0
	.end_amdhsa_kernel
	.section	.text._ZN2at6native12_GLOBAL__N_130segment_reduce_backward_kernelIflEEvNS0_13ReductionTypeEPT_PKS4_S7_S7_PKT0_SA_llS4_lllllll,"axG",@progbits,_ZN2at6native12_GLOBAL__N_130segment_reduce_backward_kernelIflEEvNS0_13ReductionTypeEPT_PKS4_S7_S7_PKT0_SA_llS4_lllllll,comdat
.Lfunc_end5:
	.size	_ZN2at6native12_GLOBAL__N_130segment_reduce_backward_kernelIflEEvNS0_13ReductionTypeEPT_PKS4_S7_S7_PKT0_SA_llS4_lllllll, .Lfunc_end5-_ZN2at6native12_GLOBAL__N_130segment_reduce_backward_kernelIflEEvNS0_13ReductionTypeEPT_PKS4_S7_S7_PKT0_SA_llS4_lllllll
                                        ; -- End function
	.set _ZN2at6native12_GLOBAL__N_130segment_reduce_backward_kernelIflEEvNS0_13ReductionTypeEPT_PKS4_S7_S7_PKT0_SA_llS4_lllllll.num_vgpr, 31
	.set _ZN2at6native12_GLOBAL__N_130segment_reduce_backward_kernelIflEEvNS0_13ReductionTypeEPT_PKS4_S7_S7_PKT0_SA_llS4_lllllll.num_agpr, 0
	.set _ZN2at6native12_GLOBAL__N_130segment_reduce_backward_kernelIflEEvNS0_13ReductionTypeEPT_PKS4_S7_S7_PKT0_SA_llS4_lllllll.numbered_sgpr, 44
	.set _ZN2at6native12_GLOBAL__N_130segment_reduce_backward_kernelIflEEvNS0_13ReductionTypeEPT_PKS4_S7_S7_PKT0_SA_llS4_lllllll.num_named_barrier, 0
	.set _ZN2at6native12_GLOBAL__N_130segment_reduce_backward_kernelIflEEvNS0_13ReductionTypeEPT_PKS4_S7_S7_PKT0_SA_llS4_lllllll.private_seg_size, 0
	.set _ZN2at6native12_GLOBAL__N_130segment_reduce_backward_kernelIflEEvNS0_13ReductionTypeEPT_PKS4_S7_S7_PKT0_SA_llS4_lllllll.uses_vcc, 1
	.set _ZN2at6native12_GLOBAL__N_130segment_reduce_backward_kernelIflEEvNS0_13ReductionTypeEPT_PKS4_S7_S7_PKT0_SA_llS4_lllllll.uses_flat_scratch, 0
	.set _ZN2at6native12_GLOBAL__N_130segment_reduce_backward_kernelIflEEvNS0_13ReductionTypeEPT_PKS4_S7_S7_PKT0_SA_llS4_lllllll.has_dyn_sized_stack, 0
	.set _ZN2at6native12_GLOBAL__N_130segment_reduce_backward_kernelIflEEvNS0_13ReductionTypeEPT_PKS4_S7_S7_PKT0_SA_llS4_lllllll.has_recursion, 0
	.set _ZN2at6native12_GLOBAL__N_130segment_reduce_backward_kernelIflEEvNS0_13ReductionTypeEPT_PKS4_S7_S7_PKT0_SA_llS4_lllllll.has_indirect_call, 0
	.section	.AMDGPU.csdata,"",@progbits
; Kernel info:
; codeLenInByte = 4328
; TotalNumSgprs: 46
; NumVgprs: 31
; ScratchSize: 0
; MemoryBound: 0
; FloatMode: 240
; IeeeMode: 1
; LDSByteSize: 0 bytes/workgroup (compile time only)
; SGPRBlocks: 0
; VGPRBlocks: 3
; NumSGPRsForWavesPerEU: 46
; NumVGPRsForWavesPerEU: 31
; Occupancy: 16
; WaveLimiterHint : 1
; COMPUTE_PGM_RSRC2:SCRATCH_EN: 0
; COMPUTE_PGM_RSRC2:USER_SGPR: 6
; COMPUTE_PGM_RSRC2:TRAP_HANDLER: 0
; COMPUTE_PGM_RSRC2:TGID_X_EN: 1
; COMPUTE_PGM_RSRC2:TGID_Y_EN: 0
; COMPUTE_PGM_RSRC2:TGID_Z_EN: 0
; COMPUTE_PGM_RSRC2:TIDIG_COMP_CNT: 0
	.section	.text._ZN2at6native12_GLOBAL__N_130segment_reduce_backward_kernelIN3c108BFloat16ElEEvNS0_13ReductionTypeEPT_PKS6_S9_S9_PKT0_SC_llS6_lllllll,"axG",@progbits,_ZN2at6native12_GLOBAL__N_130segment_reduce_backward_kernelIN3c108BFloat16ElEEvNS0_13ReductionTypeEPT_PKS6_S9_S9_PKT0_SC_llS6_lllllll,comdat
	.globl	_ZN2at6native12_GLOBAL__N_130segment_reduce_backward_kernelIN3c108BFloat16ElEEvNS0_13ReductionTypeEPT_PKS6_S9_S9_PKT0_SC_llS6_lllllll ; -- Begin function _ZN2at6native12_GLOBAL__N_130segment_reduce_backward_kernelIN3c108BFloat16ElEEvNS0_13ReductionTypeEPT_PKS6_S9_S9_PKT0_SC_llS6_lllllll
	.p2align	8
	.type	_ZN2at6native12_GLOBAL__N_130segment_reduce_backward_kernelIN3c108BFloat16ElEEvNS0_13ReductionTypeEPT_PKS6_S9_S9_PKT0_SC_llS6_lllllll,@function
_ZN2at6native12_GLOBAL__N_130segment_reduce_backward_kernelIN3c108BFloat16ElEEvNS0_13ReductionTypeEPT_PKS6_S9_S9_PKT0_SC_llS6_lllllll: ; @_ZN2at6native12_GLOBAL__N_130segment_reduce_backward_kernelIN3c108BFloat16ElEEvNS0_13ReductionTypeEPT_PKS6_S9_S9_PKT0_SC_llS6_lllllll
; %bb.0:
	s_clause 0x2
	s_load_dwordx16 s[8:23], s[4:5], 0x8
	s_load_dword s0, s[4:5], 0x94
	s_load_dwordx8 s[24:31], s[4:5], 0x50
	v_mov_b32_e32 v2, 0
	v_mov_b32_e32 v1, v2
	s_waitcnt lgkmcnt(0)
	s_and_b32 s0, s0, 0xffff
	s_mul_i32 s1, s24, s21
	s_mul_hi_u32 s2, s24, s20
	s_mul_i32 s3, s25, s20
	s_mul_i32 s7, s24, s20
	v_mad_u64_u32 v[4:5], null, s0, s6, v[0:1]
	s_add_i32 s0, s2, s1
	s_mul_i32 s1, s7, s27
	s_mul_hi_u32 s2, s7, s26
	s_add_i32 s0, s0, s3
	s_add_i32 s1, s2, s1
	s_mul_i32 s0, s0, s26
	s_add_i32 s1, s1, s0
	s_mul_i32 s0, s7, s26
	v_cmp_gt_i64_e32 vcc_lo, s[0:1], v[4:5]
	s_and_saveexec_b32 s0, vcc_lo
	s_cbranch_execz .LBB6_75
; %bb.1:
	v_or_b32_e32 v3, s27, v5
                                        ; implicit-def: $vgpr6_vgpr7
	s_mov_b32 s0, exec_lo
	v_cmpx_ne_u64_e32 0, v[2:3]
	s_xor_b32 s1, exec_lo, s0
	s_cbranch_execz .LBB6_3
; %bb.2:
	s_ashr_i32 s2, s27, 31
	v_ashrrev_i32_e32 v8, 31, v5
	s_add_u32 s6, s26, s2
	s_mov_b32 s3, s2
	s_addc_u32 s7, s27, s2
	s_xor_b64 s[6:7], s[6:7], s[2:3]
	v_add_co_u32 v2, vcc_lo, v4, v8
	v_cvt_f32_u32_e32 v0, s6
	v_cvt_f32_u32_e32 v1, s7
	s_sub_u32 s24, 0, s6
	s_subb_u32 s25, 0, s7
	v_add_co_ci_u32_e64 v3, null, v5, v8, vcc_lo
	v_fmamk_f32 v0, v1, 0x4f800000, v0
	v_xor_b32_e32 v9, v2, v8
	v_xor_b32_e32 v10, v3, v8
	v_rcp_f32_e32 v0, v0
	v_mul_f32_e32 v0, 0x5f7ffffc, v0
	v_mul_f32_e32 v1, 0x2f800000, v0
	v_trunc_f32_e32 v1, v1
	v_fmamk_f32 v0, v1, 0xcf800000, v0
	v_cvt_u32_f32_e32 v1, v1
	v_cvt_u32_f32_e32 v0, v0
	v_readfirstlane_b32 s0, v1
	v_readfirstlane_b32 s3, v0
	s_mul_i32 s33, s24, s0
	s_mul_hi_u32 s35, s24, s3
	s_mul_i32 s34, s25, s3
	s_add_i32 s33, s35, s33
	s_mul_i32 s36, s24, s3
	s_add_i32 s33, s33, s34
	s_mul_hi_u32 s35, s3, s36
	s_mul_i32 s38, s3, s33
	s_mul_hi_u32 s37, s0, s36
	s_mul_i32 s34, s0, s36
	s_mul_hi_u32 s36, s3, s33
	s_add_u32 s35, s35, s38
	s_addc_u32 s36, 0, s36
	s_mul_hi_u32 s39, s0, s33
	s_add_u32 s34, s35, s34
	s_mul_i32 s33, s0, s33
	s_addc_u32 s34, s36, s37
	s_addc_u32 s35, s39, 0
	s_add_u32 s33, s34, s33
	s_addc_u32 s34, 0, s35
	s_add_u32 s3, s3, s33
	s_cselect_b32 s33, -1, 0
	s_mul_hi_u32 s35, s24, s3
	s_cmp_lg_u32 s33, 0
	s_mul_i32 s33, s24, s3
	s_addc_u32 s0, s0, s34
	s_mul_i32 s25, s25, s3
	s_mul_i32 s24, s24, s0
	s_mul_hi_u32 s34, s3, s33
	s_add_i32 s24, s35, s24
	s_mul_hi_u32 s35, s0, s33
	s_add_i32 s24, s24, s25
	s_mul_i32 s25, s0, s33
	s_mul_i32 s37, s3, s24
	s_mul_hi_u32 s36, s3, s24
	s_add_u32 s34, s34, s37
	s_addc_u32 s36, 0, s36
	s_mul_hi_u32 s33, s0, s24
	s_add_u32 s25, s34, s25
	s_mul_i32 s24, s0, s24
	s_addc_u32 s25, s36, s35
	s_addc_u32 s33, s33, 0
	s_add_u32 s24, s25, s24
	s_addc_u32 s25, 0, s33
	s_add_u32 s3, s3, s24
	s_cselect_b32 s24, -1, 0
	v_mul_hi_u32 v11, v9, s3
	s_cmp_lg_u32 s24, 0
	v_mad_u64_u32 v[2:3], null, v10, s3, 0
	s_addc_u32 s0, s0, s25
	v_mad_u64_u32 v[0:1], null, v9, s0, 0
	v_mad_u64_u32 v[6:7], null, v10, s0, 0
	v_add_co_u32 v0, vcc_lo, v11, v0
	v_add_co_ci_u32_e64 v1, null, 0, v1, vcc_lo
	v_add_co_u32 v0, vcc_lo, v0, v2
	v_add_co_ci_u32_e32 v0, vcc_lo, v1, v3, vcc_lo
	v_add_co_ci_u32_e32 v1, vcc_lo, 0, v7, vcc_lo
	v_add_co_u32 v2, vcc_lo, v0, v6
	v_add_co_ci_u32_e64 v3, null, 0, v1, vcc_lo
	v_mul_lo_u32 v6, s7, v2
	v_mad_u64_u32 v[0:1], null, s6, v2, 0
	v_mul_lo_u32 v7, s6, v3
	v_sub_co_u32 v0, vcc_lo, v9, v0
	v_add3_u32 v1, v1, v7, v6
	v_add_co_u32 v7, s0, v2, 2
	v_add_co_ci_u32_e64 v9, null, 0, v3, s0
	v_sub_nc_u32_e32 v6, v10, v1
	v_sub_co_u32 v11, s0, v0, s6
	v_sub_co_ci_u32_e64 v1, null, v10, v1, vcc_lo
	v_subrev_co_ci_u32_e64 v6, null, s7, v6, vcc_lo
	v_cmp_le_u32_e32 vcc_lo, s6, v11
	v_subrev_co_ci_u32_e64 v6, null, 0, v6, s0
	v_cndmask_b32_e64 v10, 0, -1, vcc_lo
	v_cmp_le_u32_e32 vcc_lo, s7, v6
	v_cndmask_b32_e64 v11, 0, -1, vcc_lo
	v_cmp_le_u32_e32 vcc_lo, s6, v0
	;; [unrolled: 2-line block ×3, first 2 shown]
	v_cndmask_b32_e64 v12, 0, -1, vcc_lo
	v_cmp_eq_u32_e32 vcc_lo, s7, v6
	v_cndmask_b32_e32 v6, v11, v10, vcc_lo
	v_add_co_u32 v10, vcc_lo, v2, 1
	v_add_co_ci_u32_e64 v11, null, 0, v3, vcc_lo
	v_cmp_eq_u32_e32 vcc_lo, s7, v1
	v_cndmask_b32_e32 v0, v12, v0, vcc_lo
	v_cmp_ne_u32_e32 vcc_lo, 0, v6
	v_cmp_ne_u32_e64 s0, 0, v0
	v_cndmask_b32_e32 v0, v10, v7, vcc_lo
	v_cndmask_b32_e32 v1, v11, v9, vcc_lo
	v_xor_b32_e32 v7, s2, v8
	v_cndmask_b32_e64 v0, v2, v0, s0
	v_cndmask_b32_e64 v1, v3, v1, s0
	v_xor_b32_e32 v0, v0, v7
	v_xor_b32_e32 v1, v1, v7
	v_sub_co_u32 v6, vcc_lo, v0, v7
	v_sub_co_ci_u32_e64 v7, null, v1, v7, vcc_lo
.LBB6_3:
	s_andn2_saveexec_b32 s0, s1
	s_cbranch_execz .LBB6_5
; %bb.4:
	v_cvt_f32_u32_e32 v0, s26
	s_sub_i32 s1, 0, s26
	v_mov_b32_e32 v7, 0
	v_rcp_iflag_f32_e32 v0, v0
	v_mul_f32_e32 v0, 0x4f7ffffe, v0
	v_cvt_u32_f32_e32 v0, v0
	v_mul_lo_u32 v1, s1, v0
	v_mul_hi_u32 v1, v0, v1
	v_add_nc_u32_e32 v0, v0, v1
	v_mul_hi_u32 v0, v4, v0
	v_mul_lo_u32 v1, v0, s26
	v_add_nc_u32_e32 v2, 1, v0
	v_sub_nc_u32_e32 v1, v4, v1
	v_subrev_nc_u32_e32 v3, s26, v1
	v_cmp_le_u32_e32 vcc_lo, s26, v1
	v_cndmask_b32_e32 v1, v1, v3, vcc_lo
	v_cndmask_b32_e32 v0, v0, v2, vcc_lo
	v_cmp_le_u32_e32 vcc_lo, s26, v1
	v_add_nc_u32_e32 v2, 1, v0
	v_cndmask_b32_e32 v6, v0, v2, vcc_lo
.LBB6_5:
	s_or_b32 exec_lo, exec_lo, s0
	v_or_b32_e32 v1, s21, v7
	v_mov_b32_e32 v0, 0
                                        ; implicit-def: $vgpr8_vgpr9
	s_mov_b32 s0, exec_lo
	v_cmpx_ne_u64_e32 0, v[0:1]
	s_xor_b32 s1, exec_lo, s0
	s_cbranch_execz .LBB6_7
; %bb.6:
	s_ashr_i32 s2, s21, 31
	v_ashrrev_i32_e32 v10, 31, v7
	s_add_u32 s6, s20, s2
	s_mov_b32 s3, s2
	s_addc_u32 s7, s21, s2
	s_xor_b64 s[6:7], s[6:7], s[2:3]
	v_add_co_u32 v2, vcc_lo, v6, v10
	v_cvt_f32_u32_e32 v0, s6
	v_cvt_f32_u32_e32 v1, s7
	s_sub_u32 s24, 0, s6
	s_subb_u32 s25, 0, s7
	v_add_co_ci_u32_e64 v3, null, v7, v10, vcc_lo
	v_fmamk_f32 v0, v1, 0x4f800000, v0
	v_xor_b32_e32 v11, v2, v10
	v_xor_b32_e32 v12, v3, v10
	v_rcp_f32_e32 v0, v0
	v_mul_f32_e32 v0, 0x5f7ffffc, v0
	v_mul_f32_e32 v1, 0x2f800000, v0
	v_trunc_f32_e32 v1, v1
	v_fmamk_f32 v0, v1, 0xcf800000, v0
	v_cvt_u32_f32_e32 v1, v1
	v_cvt_u32_f32_e32 v0, v0
	v_readfirstlane_b32 s0, v1
	v_readfirstlane_b32 s3, v0
	s_mul_i32 s33, s24, s0
	s_mul_hi_u32 s35, s24, s3
	s_mul_i32 s34, s25, s3
	s_add_i32 s33, s35, s33
	s_mul_i32 s36, s24, s3
	s_add_i32 s33, s33, s34
	s_mul_hi_u32 s35, s3, s36
	s_mul_i32 s38, s3, s33
	s_mul_hi_u32 s37, s0, s36
	s_mul_i32 s34, s0, s36
	s_mul_hi_u32 s36, s3, s33
	s_add_u32 s35, s35, s38
	s_addc_u32 s36, 0, s36
	s_mul_hi_u32 s39, s0, s33
	s_add_u32 s34, s35, s34
	s_mul_i32 s33, s0, s33
	s_addc_u32 s34, s36, s37
	s_addc_u32 s35, s39, 0
	s_add_u32 s33, s34, s33
	s_addc_u32 s34, 0, s35
	s_add_u32 s3, s3, s33
	s_cselect_b32 s33, -1, 0
	s_mul_hi_u32 s35, s24, s3
	s_cmp_lg_u32 s33, 0
	s_mul_i32 s33, s24, s3
	s_addc_u32 s0, s0, s34
	s_mul_i32 s25, s25, s3
	s_mul_i32 s24, s24, s0
	s_mul_hi_u32 s34, s3, s33
	s_add_i32 s24, s35, s24
	s_mul_hi_u32 s35, s0, s33
	s_add_i32 s24, s24, s25
	s_mul_i32 s25, s0, s33
	s_mul_i32 s37, s3, s24
	s_mul_hi_u32 s36, s3, s24
	s_add_u32 s34, s34, s37
	s_addc_u32 s36, 0, s36
	s_mul_hi_u32 s33, s0, s24
	s_add_u32 s25, s34, s25
	s_mul_i32 s24, s0, s24
	s_addc_u32 s25, s36, s35
	s_addc_u32 s33, s33, 0
	s_add_u32 s24, s25, s24
	s_addc_u32 s25, 0, s33
	s_add_u32 s3, s3, s24
	s_cselect_b32 s24, -1, 0
	v_mul_hi_u32 v13, v11, s3
	s_cmp_lg_u32 s24, 0
	v_mad_u64_u32 v[2:3], null, v12, s3, 0
	s_addc_u32 s0, s0, s25
	v_mad_u64_u32 v[0:1], null, v11, s0, 0
	v_mad_u64_u32 v[8:9], null, v12, s0, 0
	v_add_co_u32 v0, vcc_lo, v13, v0
	v_add_co_ci_u32_e64 v1, null, 0, v1, vcc_lo
	v_add_co_u32 v0, vcc_lo, v0, v2
	v_add_co_ci_u32_e32 v0, vcc_lo, v1, v3, vcc_lo
	v_add_co_ci_u32_e32 v1, vcc_lo, 0, v9, vcc_lo
	v_add_co_u32 v2, vcc_lo, v0, v8
	v_add_co_ci_u32_e64 v3, null, 0, v1, vcc_lo
	v_mul_lo_u32 v8, s7, v2
	v_mad_u64_u32 v[0:1], null, s6, v2, 0
	v_mul_lo_u32 v9, s6, v3
	v_sub_co_u32 v0, vcc_lo, v11, v0
	v_add3_u32 v1, v1, v9, v8
	v_add_co_u32 v9, s0, v2, 2
	v_add_co_ci_u32_e64 v11, null, 0, v3, s0
	v_sub_nc_u32_e32 v8, v12, v1
	v_sub_co_u32 v13, s0, v0, s6
	v_sub_co_ci_u32_e64 v1, null, v12, v1, vcc_lo
	v_subrev_co_ci_u32_e64 v8, null, s7, v8, vcc_lo
	v_cmp_le_u32_e32 vcc_lo, s6, v13
	v_subrev_co_ci_u32_e64 v8, null, 0, v8, s0
	v_cndmask_b32_e64 v12, 0, -1, vcc_lo
	v_cmp_le_u32_e32 vcc_lo, s7, v8
	v_cndmask_b32_e64 v13, 0, -1, vcc_lo
	v_cmp_le_u32_e32 vcc_lo, s6, v0
	;; [unrolled: 2-line block ×3, first 2 shown]
	v_cndmask_b32_e64 v14, 0, -1, vcc_lo
	v_cmp_eq_u32_e32 vcc_lo, s7, v8
	v_cndmask_b32_e32 v8, v13, v12, vcc_lo
	v_add_co_u32 v12, vcc_lo, v2, 1
	v_add_co_ci_u32_e64 v13, null, 0, v3, vcc_lo
	v_cmp_eq_u32_e32 vcc_lo, s7, v1
	v_cndmask_b32_e32 v0, v14, v0, vcc_lo
	v_cmp_ne_u32_e32 vcc_lo, 0, v8
	v_cmp_ne_u32_e64 s0, 0, v0
	v_cndmask_b32_e32 v0, v12, v9, vcc_lo
	v_cndmask_b32_e32 v1, v13, v11, vcc_lo
	v_xor_b32_e32 v9, s2, v10
	v_cndmask_b32_e64 v0, v2, v0, s0
	v_cndmask_b32_e64 v1, v3, v1, s0
	v_xor_b32_e32 v0, v0, v9
	v_xor_b32_e32 v1, v1, v9
	v_sub_co_u32 v8, vcc_lo, v0, v9
	v_sub_co_ci_u32_e64 v9, null, v1, v9, vcc_lo
.LBB6_7:
	s_andn2_saveexec_b32 s0, s1
	s_cbranch_execz .LBB6_9
; %bb.8:
	v_cvt_f32_u32_e32 v0, s20
	s_sub_i32 s1, 0, s20
	v_mov_b32_e32 v9, 0
	v_rcp_iflag_f32_e32 v0, v0
	v_mul_f32_e32 v0, 0x4f7ffffe, v0
	v_cvt_u32_f32_e32 v0, v0
	v_mul_lo_u32 v1, s1, v0
	v_mul_hi_u32 v1, v0, v1
	v_add_nc_u32_e32 v0, v0, v1
	v_mul_hi_u32 v0, v6, v0
	v_mul_lo_u32 v1, v0, s20
	v_add_nc_u32_e32 v2, 1, v0
	v_sub_nc_u32_e32 v1, v6, v1
	v_subrev_nc_u32_e32 v3, s20, v1
	v_cmp_le_u32_e32 vcc_lo, s20, v1
	v_cndmask_b32_e32 v1, v1, v3, vcc_lo
	v_cndmask_b32_e32 v0, v0, v2, vcc_lo
	v_cmp_le_u32_e32 vcc_lo, s20, v1
	v_add_nc_u32_e32 v2, 1, v0
	v_cndmask_b32_e32 v8, v0, v2, vcc_lo
.LBB6_9:
	s_or_b32 exec_lo, exec_lo, s0
	v_mul_lo_u32 v2, v9, s20
	v_mul_lo_u32 v3, v8, s21
	v_mad_u64_u32 v[0:1], null, v8, s20, 0
	v_add3_u32 v3, v1, v3, v2
	v_mul_lo_u32 v10, v0, s23
	v_mad_u64_u32 v[1:2], null, v0, s22, 0
	v_mul_lo_u32 v11, v3, s22
	v_add3_u32 v2, v2, v10, v11
	v_sub_co_u32 v10, vcc_lo, v6, v0
	v_sub_co_ci_u32_e64 v11, null, v7, v3, vcc_lo
	v_lshlrev_b64 v[2:3], 3, v[1:2]
	v_lshlrev_b64 v[0:1], 3, v[10:11]
	v_add_co_u32 v2, vcc_lo, s16, v2
	v_add_co_ci_u32_e64 v3, null, s17, v3, vcc_lo
	v_add_co_u32 v2, vcc_lo, v2, v0
	v_add_co_ci_u32_e64 v3, null, v3, v1, vcc_lo
	global_load_dwordx2 v[14:15], v[2:3], off
	s_waitcnt vmcnt(0)
	v_cmp_ne_u64_e32 vcc_lo, 0, v[14:15]
	s_and_b32 exec_lo, exec_lo, vcc_lo
	s_cbranch_execz .LBB6_75
; %bb.10:
	s_load_dwordx8 s[36:43], s[4:5], 0x70
	s_add_u32 s0, s20, 1
	s_addc_u32 s1, s21, 0
	s_waitcnt lgkmcnt(0)
	s_mul_i32 s1, s40, s1
	s_mul_hi_u32 s2, s40, s0
	s_mul_i32 s3, s41, s0
	s_add_i32 s1, s2, s1
	s_mul_i32 s0, s40, s0
	s_add_i32 s1, s1, s3
	v_mul_lo_u32 v12, s0, v9
	v_mad_u64_u32 v[2:3], null, s0, v8, 0
	v_mul_lo_u32 v13, s1, v8
	v_mad_u64_u32 v[16:17], null, v8, s38, v[10:11]
	v_mul_lo_u32 v18, v8, s39
	v_mul_lo_u32 v19, v9, s38
	s_load_dword s1, s[4:5], 0x0
	v_add3_u32 v3, v3, v12, v13
	v_mul_lo_u32 v12, v7, s26
	v_mul_lo_u32 v13, v6, s27
	v_mad_u64_u32 v[6:7], null, v6, s26, 0
	v_lshlrev_b64 v[2:3], 3, v[2:3]
	v_add3_u32 v17, v19, v17, v18
	v_add3_u32 v7, v7, v13, v12
	v_add_co_u32 v2, vcc_lo, s18, v2
	v_add_co_ci_u32_e64 v3, null, s19, v3, vcc_lo
	v_mul_lo_u32 v17, v17, s36
	v_add_co_u32 v0, vcc_lo, v2, v0
	v_add_co_ci_u32_e64 v1, null, v3, v1, vcc_lo
	v_sub_co_u32 v10, vcc_lo, v4, v6
	v_sub_co_ci_u32_e64 v11, null, v5, v7, vcc_lo
	global_load_dwordx4 v[0:3], v[0:1], off
	s_waitcnt lgkmcnt(0)
	s_and_b32 s0, s1, -3
	v_mad_u64_u32 v[12:13], null, v16, s36, v[10:11]
	v_mul_lo_u32 v16, v16, s37
	s_cmp_lg_u32 s0, 0
	v_add3_u32 v13, v17, v13, v16
	s_cbranch_scc0 .LBB6_25
; %bb.11:
	s_cmp_lt_i32 s1, 3
	s_mov_b32 s0, -1
	s_cbranch_scc1 .LBB6_39
; %bb.12:
	s_cmp_lt_i32 s1, 4
	s_cbranch_scc1 .LBB6_28
; %bb.13:
	s_cmp_eq_u32 s1, 4
	s_cbranch_scc0 .LBB6_27
; %bb.14:
	s_mov_b32 s16, exec_lo
	s_waitcnt vmcnt(0)
	v_cmpx_gt_i64_e64 v[2:3], v[0:1]
	s_cbranch_execz .LBB6_26
; %bb.15:
	v_lshlrev_b64 v[16:17], 1, v[12:13]
	v_mul_lo_u32 v21, s31, v8
	v_mul_lo_u32 v22, s30, v9
	v_lshlrev_b64 v[25:26], 1, v[4:5]
	s_load_dword s17, s[4:5], 0x48
	v_mov_b32_e32 v30, 0x7fc0
	v_add_co_u32 v18, vcc_lo, s12, v16
	v_add_co_ci_u32_e64 v19, null, s13, v17, vcc_lo
	v_add_co_u32 v16, vcc_lo, s10, v16
	v_add_co_ci_u32_e64 v17, null, s11, v17, vcc_lo
	global_load_ushort v18, v[18:19], off
	global_load_ushort v27, v[16:17], off
	v_mad_u64_u32 v[19:20], null, s30, v8, 0
	s_lshl_b64 s[2:3], s[28:29], 1
	s_mov_b64 s[4:5], 0
	s_mov_b32 s18, 0
	v_add3_u32 v20, v20, v22, v21
	v_lshlrev_b64 v[21:22], 1, v[0:1]
	v_mul_lo_u32 v28, v19, s29
	v_lshlrev_b64 v[23:24], 1, v[19:20]
	v_add_co_u32 v21, vcc_lo, v23, v21
	v_add_co_ci_u32_e64 v22, null, v24, v22, vcc_lo
	v_mul_lo_u32 v31, s29, v21
	v_mul_lo_u32 v29, s28, v22
	s_waitcnt vmcnt(1)
	v_lshlrev_b32_e32 v23, 16, v18
	s_waitcnt vmcnt(0)
	v_lshlrev_b32_e32 v24, 16, v27
	v_mul_lo_u32 v27, v20, s28
	v_mad_u64_u32 v[20:21], null, s28, v21, v[25:26]
	v_mad_u64_u32 v[18:19], null, v19, s28, v[10:11]
	v_mul_f32_e32 v24, v24, v23
	v_lshlrev_b64 v[22:23], 1, v[6:7]
	v_add3_u32 v21, v31, v21, v29
	v_bfe_u32 v25, v24, 16, 1
	v_add3_u32 v19, v27, v19, v28
	v_sub_co_u32 v20, vcc_lo, v20, v22
	v_sub_co_ci_u32_e64 v21, null, v21, v23, vcc_lo
	v_add3_u32 v25, v24, v25, 0x7fff
	v_add_co_u32 v20, vcc_lo, s14, v20
	v_add_co_ci_u32_e64 v21, null, s15, v21, vcc_lo
	v_and_b32_e32 v22, 0xffff0000, v25
	v_cmp_o_f32_e32 vcc_lo, v24, v24
	v_cndmask_b32_e32 v31, 0x7fc00000, v22, vcc_lo
	v_mov_b32_e32 v23, v1
	v_mov_b32_e32 v22, v0
	s_branch .LBB6_18
.LBB6_16:                               ;   in Loop: Header=BB6_18 Depth=1
	s_inst_prefetch 0x2
	s_or_b32 exec_lo, exec_lo, s20
	global_load_ushort v26, v[16:17], off
	v_lshlrev_b32_e32 v27, 16, v32
	s_waitcnt vmcnt(0)
	v_lshlrev_b32_e32 v26, 16, v26
	v_mul_f32_e32 v26, v27, v26
.LBB6_17:                               ;   in Loop: Header=BB6_18 Depth=1
	s_or_b32 exec_lo, exec_lo, s19
	v_bfe_u32 v27, v26, 16, 1
	v_add_co_u32 v22, vcc_lo, v22, 1
	v_add_co_ci_u32_e64 v23, null, 0, v23, vcc_lo
	v_cmp_o_f32_e32 vcc_lo, v26, v26
	v_add3_u32 v26, v26, v27, 0x7fff
	s_add_u32 s4, s4, 1
	v_cmp_ge_i64_e64 s0, v[22:23], v[2:3]
	s_addc_u32 s5, s5, 0
	v_cndmask_b32_sdwa v26, v30, v26, vcc_lo dst_sel:DWORD dst_unused:UNUSED_PAD src0_sel:DWORD src1_sel:WORD_1
	v_add_co_u32 v24, vcc_lo, s8, v24
	v_add_co_ci_u32_e64 v25, null, s9, v25, vcc_lo
	s_or_b32 s18, s0, s18
	global_store_short v[24:25], v26, off
	s_andn2_b32 exec_lo, exec_lo, s18
	s_cbranch_execz .LBB6_26
.LBB6_18:                               ; =>This Loop Header: Depth=1
                                        ;     Child Loop BB6_23 Depth 2
	v_mad_u64_u32 v[24:25], null, v22, s28, v[18:19]
	v_mul_lo_u32 v26, v22, s29
	v_mul_lo_u32 v27, v23, s28
	s_mov_b32 s0, exec_lo
	v_add3_u32 v25, v27, v25, v26
	v_lshlrev_b64 v[24:25], 1, v[24:25]
	v_add_co_u32 v26, vcc_lo, s14, v24
	v_add_co_ci_u32_e64 v27, null, s15, v25, vcc_lo
	global_load_ushort v26, v[26:27], off
	s_waitcnt vmcnt(0)
	v_lshlrev_b32_e32 v27, 16, v26
                                        ; implicit-def: $vgpr26
	v_cmpx_lg_f32_e32 0, v27
	s_xor_b32 s0, exec_lo, s0
	s_cbranch_execz .LBB6_20
; %bb.19:                               ;   in Loop: Header=BB6_18 Depth=1
	v_div_scale_f32 v26, null, v27, v27, v31
	v_rcp_f32_e32 v28, v26
	v_fma_f32 v29, -v26, v28, 1.0
	v_fmac_f32_e32 v28, v29, v28
	v_div_scale_f32 v29, vcc_lo, v31, v27, v31
	v_mul_f32_e32 v32, v29, v28
	v_fma_f32 v33, -v26, v32, v29
	v_fmac_f32_e32 v32, v33, v28
	v_fma_f32 v26, -v26, v32, v29
	v_div_fmas_f32 v26, v26, v28, v32
	v_div_fixup_f32 v26, v26, v27, v31
.LBB6_20:                               ;   in Loop: Header=BB6_18 Depth=1
	s_andn2_saveexec_b32 s19, s0
	s_cbranch_execz .LBB6_17
; %bb.21:                               ;   in Loop: Header=BB6_18 Depth=1
	v_mov_b32_e32 v27, v21
	v_mov_b32_e32 v29, v1
	s_waitcnt lgkmcnt(0)
	v_mov_b32_e32 v32, s17
	v_mov_b32_e32 v26, v20
	;; [unrolled: 1-line block ×3, first 2 shown]
	s_mov_b32 s20, 0
	s_mov_b64 s[6:7], s[4:5]
	s_inst_prefetch 0x1
	s_branch .LBB6_23
	.p2align	6
.LBB6_22:                               ;   in Loop: Header=BB6_23 Depth=2
	v_add_co_u32 v28, vcc_lo, v28, 1
	v_add_co_ci_u32_e64 v29, null, 0, v29, vcc_lo
	v_add_co_u32 v26, s0, v26, s2
	v_add_co_ci_u32_e64 v27, null, s3, v27, s0
	v_cmp_ge_i64_e32 vcc_lo, v[28:29], v[2:3]
	s_add_u32 s6, s6, -1
	s_addc_u32 s7, s7, -1
	s_or_b32 s20, vcc_lo, s20
	s_andn2_b32 exec_lo, exec_lo, s20
	s_cbranch_execz .LBB6_16
.LBB6_23:                               ;   Parent Loop BB6_18 Depth=1
                                        ; =>  This Inner Loop Header: Depth=2
	s_cmp_eq_u64 s[6:7], 0
	s_cbranch_scc1 .LBB6_22
; %bb.24:                               ;   in Loop: Header=BB6_23 Depth=2
	global_load_ushort v33, v[26:27], off
	v_lshlrev_b32_e32 v32, 16, v32
	s_waitcnt vmcnt(0)
	v_lshlrev_b32_e32 v33, 16, v33
	v_mul_f32_e32 v32, v32, v33
	v_bfe_u32 v33, v32, 16, 1
	v_cmp_o_f32_e32 vcc_lo, v32, v32
	v_add3_u32 v32, v32, v33, 0x7fff
	v_cndmask_b32_sdwa v32, v30, v32, vcc_lo dst_sel:DWORD dst_unused:UNUSED_PAD src0_sel:DWORD src1_sel:WORD_1
	s_branch .LBB6_22
.LBB6_25:
	s_cbranch_execnz .LBB6_51
	s_branch .LBB6_75
.LBB6_26:
	s_or_b32 exec_lo, exec_lo, s16
.LBB6_27:
	s_mov_b32 s0, 0
.LBB6_28:
	s_andn2_b32 vcc_lo, exec_lo, s0
	s_cbranch_vccnz .LBB6_38
; %bb.29:
	s_mov_b32 s4, exec_lo
	s_waitcnt vmcnt(0)
	v_cmpx_gt_i64_e64 v[2:3], v[0:1]
	s_cbranch_execz .LBB6_37
; %bb.30:
	v_lshlrev_b64 v[16:17], 1, v[12:13]
	v_mul_lo_u32 v20, s31, v8
	v_mul_lo_u32 v21, s30, v9
	s_cmp_eq_u64 s[28:29], 1
	s_cselect_b32 s0, -1, 0
	v_add_co_u32 v16, vcc_lo, s10, v16
	v_add_co_ci_u32_e64 v17, null, s11, v17, vcc_lo
	v_sub_co_u32 v18, vcc_lo, v2, v0
	v_sub_co_ci_u32_e64 v19, null, v3, v1, vcc_lo
	global_load_ushort v26, v[16:17], off
	v_mad_u64_u32 v[16:17], null, s30, v8, 0
	v_cmp_lt_u64_e32 vcc_lo, 1, v[18:19]
	v_add3_u32 v17, v17, v21, v20
	v_mov_b32_e32 v21, v1
	v_mov_b32_e32 v20, v0
	s_and_b32 s3, vcc_lo, s0
	s_mov_b32 s0, -1
	s_and_saveexec_b32 s2, s3
	s_cbranch_execz .LBB6_34
; %bb.31:
	v_mul_lo_u32 v22, v17, s28
	v_mul_lo_u32 v23, v16, s29
	v_mad_u64_u32 v[20:21], null, v16, s28, 0
	v_lshlrev_b64 v[24:25], 1, v[10:11]
	s_mov_b32 s3, 0
	v_add3_u32 v21, v21, v23, v22
	v_lshlrev_b64 v[22:23], 1, v[20:21]
	v_mov_b32_e32 v21, v19
	v_and_b32_e32 v20, -2, v18
	v_add_co_u32 v27, vcc_lo, s8, v22
	v_add_co_ci_u32_e64 v28, null, s9, v23, vcc_lo
	v_lshlrev_b64 v[22:23], 1, v[0:1]
	v_add_co_u32 v24, vcc_lo, v27, v24
	v_add_co_ci_u32_e64 v25, null, v28, v25, vcc_lo
	s_waitcnt vmcnt(0)
	v_perm_b32 v27, v26, v26, 0x5040100
	v_add_co_u32 v22, vcc_lo, v24, v22
	v_add_co_ci_u32_e64 v23, null, v25, v23, vcc_lo
	v_mov_b32_e32 v25, v21
	v_mov_b32_e32 v24, v20
.LBB6_32:                               ; =>This Inner Loop Header: Depth=1
	v_add_co_u32 v24, vcc_lo, v24, -2
	v_add_co_ci_u32_e64 v25, null, -1, v25, vcc_lo
	global_store_dword v[22:23], v27, off
	v_add_co_u32 v22, s0, v22, 4
	v_cmp_eq_u64_e32 vcc_lo, 0, v[24:25]
	v_add_co_ci_u32_e64 v23, null, 0, v23, s0
	s_or_b32 s3, vcc_lo, s3
	s_andn2_b32 exec_lo, exec_lo, s3
	s_cbranch_execnz .LBB6_32
; %bb.33:
	s_or_b32 exec_lo, exec_lo, s3
	v_cmp_ne_u64_e32 vcc_lo, v[18:19], v[20:21]
	v_add_co_u32 v20, s0, v0, v20
	v_add_co_ci_u32_e64 v21, null, v1, v21, s0
	s_orn2_b32 s0, vcc_lo, exec_lo
.LBB6_34:
	s_or_b32 exec_lo, exec_lo, s2
	s_and_b32 exec_lo, exec_lo, s0
	s_cbranch_execz .LBB6_37
; %bb.35:
	v_lshlrev_b64 v[16:17], 1, v[16:17]
	v_lshlrev_b64 v[18:19], 1, v[20:21]
	s_lshl_b64 s[2:3], s[28:29], 1
	s_mov_b32 s5, 0
	v_add_co_u32 v18, vcc_lo, v16, v18
	v_add_co_ci_u32_e64 v19, null, v17, v19, vcc_lo
	v_lshlrev_b64 v[16:17], 1, v[4:5]
	v_mul_lo_u32 v23, s29, v18
	v_mul_lo_u32 v22, s28, v19
	v_mad_u64_u32 v[16:17], null, s28, v18, v[16:17]
	v_lshlrev_b64 v[18:19], 1, v[6:7]
	v_add3_u32 v17, v23, v17, v22
	v_sub_co_u32 v16, vcc_lo, v16, v18
	v_sub_co_ci_u32_e64 v17, null, v17, v19, vcc_lo
	v_add_co_u32 v16, vcc_lo, s8, v16
	v_add_co_ci_u32_e64 v17, null, s9, v17, vcc_lo
.LBB6_36:                               ; =>This Inner Loop Header: Depth=1
	v_add_co_u32 v20, vcc_lo, v20, 1
	v_add_co_ci_u32_e64 v21, null, 0, v21, vcc_lo
	s_waitcnt vmcnt(0)
	global_store_short v[16:17], v26, off
	v_add_co_u32 v16, s0, v16, s2
	v_cmp_ge_i64_e32 vcc_lo, v[20:21], v[2:3]
	v_add_co_ci_u32_e64 v17, null, s3, v17, s0
	s_or_b32 s5, vcc_lo, s5
	s_andn2_b32 exec_lo, exec_lo, s5
	s_cbranch_execnz .LBB6_36
.LBB6_37:
	s_or_b32 exec_lo, exec_lo, s4
.LBB6_38:
	s_mov_b32 s0, 0
.LBB6_39:
	s_andn2_b32 vcc_lo, exec_lo, s0
	s_cbranch_vccnz .LBB6_50
; %bb.40:
	s_cmp_lg_u32 s1, 1
	s_cbranch_scc1 .LBB6_50
; %bb.41:
	s_mov_b32 s1, exec_lo
	s_waitcnt vmcnt(0)
	v_cmpx_gt_i64_e64 v[2:3], v[0:1]
	s_cbranch_execz .LBB6_49
; %bb.42:
	v_lshlrev_b64 v[16:17], 1, v[12:13]
	v_ffbh_i32_e32 v18, v15
	s_cmp_eq_u64 s[28:29], 1
	s_cselect_b32 s2, -1, 0
	v_add_nc_u32_e32 v18, -1, v18
	v_add_co_u32 v16, vcc_lo, s10, v16
	v_add_co_ci_u32_e64 v17, null, s11, v17, vcc_lo
	global_load_ushort v16, v[16:17], off
	v_xor_b32_e32 v17, v14, v15
	v_ashrrev_i32_e32 v17, 31, v17
	v_add_nc_u32_e32 v17, 32, v17
	v_min_u32_e32 v17, v18, v17
	v_lshlrev_b64 v[14:15], v17, v[14:15]
	v_min_u32_e32 v14, 1, v14
	v_or_b32_e32 v14, v15, v14
	v_sub_nc_u32_e32 v15, 32, v17
	v_cvt_f32_i32_e32 v14, v14
	v_ldexp_f32 v14, v14, v15
	v_bfe_u32 v15, v14, 16, 1
	v_add3_u32 v14, v14, v15, 0x7fff
	v_and_b32_e32 v14, 0xffff0000, v14
	s_waitcnt vmcnt(0)
	v_lshlrev_b32_e32 v15, 16, v16
	v_div_scale_f32 v16, null, v14, v14, v15
	v_div_scale_f32 v19, vcc_lo, v15, v14, v15
	v_rcp_f32_e32 v17, v16
	v_fma_f32 v18, -v16, v17, 1.0
	v_fmac_f32_e32 v17, v18, v17
	v_mul_f32_e32 v18, v19, v17
	v_fma_f32 v20, -v16, v18, v19
	v_fmac_f32_e32 v18, v20, v17
	v_mul_lo_u32 v20, s30, v9
	v_fma_f32 v16, -v16, v18, v19
	v_mul_lo_u32 v19, s31, v8
	v_div_fmas_f32 v16, v16, v17, v18
	v_div_fixup_f32 v18, v16, v14, v15
	v_mad_u64_u32 v[14:15], null, s30, v8, 0
	v_bfe_u32 v16, v18, 16, 1
	v_cmp_o_f32_e64 s0, v18, v18
	v_add3_u32 v15, v15, v20, v19
	v_add3_u32 v21, v18, v16, 0x7fff
	v_sub_co_u32 v16, vcc_lo, v2, v0
	v_sub_co_ci_u32_e64 v17, null, v3, v1, vcc_lo
	v_lshrrev_b32_e32 v21, 16, v21
	v_mov_b32_e32 v19, v1
	v_mov_b32_e32 v18, v0
	v_cmp_lt_u64_e32 vcc_lo, 1, v[16:17]
	v_cndmask_b32_e64 v24, 0x7fc0, v21, s0
	s_mov_b32 s0, -1
	s_and_b32 s3, vcc_lo, s2
	s_and_saveexec_b32 s2, s3
	s_cbranch_execz .LBB6_46
; %bb.43:
	v_mul_lo_u32 v20, v15, s28
	v_mul_lo_u32 v21, v14, s29
	v_mad_u64_u32 v[18:19], null, v14, s28, 0
	v_lshlrev_b64 v[22:23], 1, v[10:11]
	s_mov_b32 s3, 0
	v_add3_u32 v19, v19, v21, v20
	v_lshlrev_b64 v[20:21], 1, v[18:19]
	v_mov_b32_e32 v19, v17
	v_and_b32_e32 v18, -2, v16
	v_add_co_u32 v25, vcc_lo, s8, v20
	v_add_co_ci_u32_e64 v26, null, s9, v21, vcc_lo
	v_lshlrev_b64 v[20:21], 1, v[0:1]
	v_add_co_u32 v22, vcc_lo, v25, v22
	v_add_co_ci_u32_e64 v23, null, v26, v23, vcc_lo
	v_perm_b32 v25, v24, v24, 0x5040100
	v_add_co_u32 v20, vcc_lo, v22, v20
	v_add_co_ci_u32_e64 v21, null, v23, v21, vcc_lo
	v_mov_b32_e32 v23, v19
	v_mov_b32_e32 v22, v18
.LBB6_44:                               ; =>This Inner Loop Header: Depth=1
	v_add_co_u32 v22, vcc_lo, v22, -2
	v_add_co_ci_u32_e64 v23, null, -1, v23, vcc_lo
	global_store_dword v[20:21], v25, off
	v_add_co_u32 v20, s0, v20, 4
	v_cmp_eq_u64_e32 vcc_lo, 0, v[22:23]
	v_add_co_ci_u32_e64 v21, null, 0, v21, s0
	s_or_b32 s3, vcc_lo, s3
	s_andn2_b32 exec_lo, exec_lo, s3
	s_cbranch_execnz .LBB6_44
; %bb.45:
	s_or_b32 exec_lo, exec_lo, s3
	v_cmp_ne_u64_e32 vcc_lo, v[16:17], v[18:19]
	v_add_co_u32 v18, s0, v0, v18
	v_add_co_ci_u32_e64 v19, null, v1, v19, s0
	s_orn2_b32 s0, vcc_lo, exec_lo
.LBB6_46:
	s_or_b32 exec_lo, exec_lo, s2
	s_and_b32 exec_lo, exec_lo, s0
	s_cbranch_execz .LBB6_49
; %bb.47:
	v_lshlrev_b64 v[14:15], 1, v[14:15]
	v_lshlrev_b64 v[16:17], 1, v[18:19]
	s_lshl_b64 s[2:3], s[28:29], 1
	s_mov_b32 s4, 0
	v_add_co_u32 v16, vcc_lo, v14, v16
	v_add_co_ci_u32_e64 v17, null, v15, v17, vcc_lo
	v_lshlrev_b64 v[14:15], 1, v[4:5]
	v_mul_lo_u32 v21, s29, v16
	v_mul_lo_u32 v20, s28, v17
	v_mad_u64_u32 v[14:15], null, s28, v16, v[14:15]
	v_lshlrev_b64 v[16:17], 1, v[6:7]
	v_add3_u32 v15, v21, v15, v20
	v_sub_co_u32 v14, vcc_lo, v14, v16
	v_sub_co_ci_u32_e64 v15, null, v15, v17, vcc_lo
	v_add_co_u32 v14, vcc_lo, s8, v14
	v_add_co_ci_u32_e64 v15, null, s9, v15, vcc_lo
.LBB6_48:                               ; =>This Inner Loop Header: Depth=1
	v_add_co_u32 v18, vcc_lo, v18, 1
	v_add_co_ci_u32_e64 v19, null, 0, v19, vcc_lo
	global_store_short v[14:15], v24, off
	v_add_co_u32 v14, s0, v14, s2
	v_cmp_ge_i64_e32 vcc_lo, v[18:19], v[2:3]
	v_add_co_ci_u32_e64 v15, null, s3, v15, s0
	s_or_b32 s4, vcc_lo, s4
	s_andn2_b32 exec_lo, exec_lo, s4
	s_cbranch_execnz .LBB6_48
.LBB6_49:
	s_or_b32 exec_lo, exec_lo, s1
.LBB6_50:
	s_branch .LBB6_75
.LBB6_51:
	v_mov_b32_e32 v14, 0
	v_mov_b32_e32 v15, 0
	s_mov_b32 s4, exec_lo
	s_waitcnt vmcnt(0)
	v_cmp_le_i64_e32 vcc_lo, v[2:3], v[0:1]
	v_cmpx_gt_i64_e64 v[2:3], v[0:1]
	s_cbranch_execz .LBB6_59
; %bb.52:
	v_mad_u64_u32 v[14:15], null, v8, s30, v[0:1]
	v_mul_lo_u32 v16, v8, s31
	v_mul_lo_u32 v17, v9, s30
	v_mov_b32_e32 v21, v1
	v_mov_b32_e32 v20, v0
	s_lshl_b64 s[2:3], s[28:29], 1
	s_mov_b32 s5, 0
	v_mul_lo_u32 v18, s29, v14
	v_add3_u32 v16, v17, v15, v16
	v_mad_u64_u32 v[14:15], null, s28, v14, v[4:5]
	v_mul_lo_u32 v19, s28, v16
	v_lshlrev_b64 v[16:17], 1, v[12:13]
	v_add_co_u32 v12, s0, s12, v16
	v_add3_u32 v15, v18, v15, v19
	v_add_co_ci_u32_e64 v13, null, s13, v17, s0
	v_sub_co_u32 v14, s0, v14, v6
	v_sub_co_ci_u32_e64 v15, null, v15, v7, s0
	v_add_co_u32 v16, s0, s10, v16
	v_add_co_ci_u32_e64 v17, null, s11, v17, s0
	v_lshlrev_b64 v[18:19], 1, v[14:15]
	v_mov_b32_e32 v14, 0
	v_mov_b32_e32 v15, 0
	s_branch .LBB6_54
.LBB6_53:                               ;   in Loop: Header=BB6_54 Depth=1
	s_or_b32 exec_lo, exec_lo, s1
	v_add_co_u32 v20, s0, v20, 1
	v_add_co_ci_u32_e64 v21, null, 0, v21, s0
	v_add_co_u32 v18, s1, v18, s2
	v_add_co_ci_u32_e64 v19, null, s3, v19, s1
	v_cmp_ge_i64_e64 s0, v[20:21], v[2:3]
	s_or_b32 s5, s0, s5
	s_andn2_b32 exec_lo, exec_lo, s5
	s_cbranch_execz .LBB6_58
.LBB6_54:                               ; =>This Inner Loop Header: Depth=1
	v_add_co_u32 v22, s0, s14, v18
	v_add_co_ci_u32_e64 v23, null, s15, v19, s0
	s_mov_b32 s1, exec_lo
	global_load_ushort v22, v[22:23], off
	s_waitcnt vmcnt(0)
	v_lshlrev_b32_e32 v22, 16, v22
	v_cmp_u_f32_e64 s6, v22, v22
	v_cmpx_o_f32_e32 v22, v22
	s_cbranch_execz .LBB6_56
; %bb.55:                               ;   in Loop: Header=BB6_54 Depth=1
	global_load_ushort v23, v[12:13], off
	s_andn2_b32 s6, s6, exec_lo
	s_waitcnt vmcnt(0)
	v_lshlrev_b32_e32 v23, 16, v23
	v_cmp_eq_f32_e64 s0, v22, v23
	s_and_b32 s0, s0, exec_lo
	s_or_b32 s6, s6, s0
.LBB6_56:                               ;   in Loop: Header=BB6_54 Depth=1
	s_or_b32 exec_lo, exec_lo, s1
	s_and_saveexec_b32 s1, s6
	s_cbranch_execz .LBB6_53
; %bb.57:                               ;   in Loop: Header=BB6_54 Depth=1
	global_load_ushort v24, v[16:17], off
	v_add_co_u32 v22, s0, s8, v18
	v_add_co_ci_u32_e64 v23, null, s9, v19, s0
	v_add_co_u32 v14, s0, v14, 1
	v_add_co_ci_u32_e64 v15, null, 0, v15, s0
	s_waitcnt vmcnt(0)
	global_store_short v[22:23], v24, off
	s_branch .LBB6_53
.LBB6_58:
	s_or_b32 exec_lo, exec_lo, s5
.LBB6_59:
	s_or_b32 exec_lo, exec_lo, s4
	v_cmp_lt_i64_e64 s0, 1, v[14:15]
	s_xor_b32 s1, vcc_lo, -1
	s_and_b32 s0, s0, s1
	s_and_b32 exec_lo, exec_lo, s0
	s_cbranch_execz .LBB6_75
; %bb.60:
	v_ffbh_u32_e32 v12, v15
	s_mov_b32 s2, exec_lo
	v_min_u32_e32 v16, 32, v12
	v_lshlrev_b64 v[12:13], v16, v[14:15]
	v_mul_lo_u32 v15, s31, v8
	v_min_u32_e32 v12, 1, v12
	v_or_b32_e32 v12, v13, v12
	v_sub_nc_u32_e32 v13, 32, v16
	v_mul_lo_u32 v16, s30, v9
	v_mad_u64_u32 v[8:9], null, s30, v8, 0
	v_cvt_f32_u32_e32 v12, v12
	v_ldexp_f32 v14, v12, v13
	v_sub_co_u32 v12, vcc_lo, v2, v0
	v_sub_co_ci_u32_e64 v13, null, v3, v1, vcc_lo
	v_bfe_u32 v17, v14, 16, 1
	v_add3_u32 v9, v9, v16, v15
	v_cmp_gt_u64_e64 s1, 32, v[12:13]
	v_add3_u32 v14, v14, v17, 0x7fff
	v_and_b32_e32 v18, 0xffff0000, v14
	v_cmpx_lt_u64_e32 31, v[12:13]
	s_cbranch_execz .LBB6_70
; %bb.61:
	v_add_co_u32 v14, vcc_lo, v8, v0
	v_add_co_ci_u32_e64 v16, null, v9, v1, vcc_lo
	v_not_b32_e32 v17, v0
	v_add_co_u32 v10, vcc_lo, v14, v10
	v_not_b32_e32 v15, v1
	v_add_co_ci_u32_e64 v11, null, v16, v11, vcc_lo
	v_add_co_u32 v14, vcc_lo, v2, v17
	v_add_co_ci_u32_e64 v15, null, v3, v15, vcc_lo
	v_lshlrev_b64 v[10:11], 1, v[10:11]
	s_cmp_eq_u64 s[28:29], 1
	v_lshlrev_b64 v[16:17], 1, v[14:15]
	s_cselect_b32 s3, -1, 0
	v_add_co_u32 v10, vcc_lo, s8, v10
	v_add_co_ci_u32_e64 v11, null, s9, v11, vcc_lo
	v_add_co_u32 v16, vcc_lo, v10, v16
	v_add_co_ci_u32_e64 v17, null, v11, v17, vcc_lo
	v_cmp_lt_i64_e32 vcc_lo, -1, v[14:15]
	v_cmp_ge_u64_e64 s0, v[16:17], v[10:11]
	s_and_b32 s0, s0, vcc_lo
	s_and_b32 s4, s3, s0
	s_mov_b32 s0, -1
	s_and_saveexec_b32 s3, s4
	s_cbranch_execz .LBB6_69
; %bb.62:
	v_lshlrev_b64 v[10:11], 1, v[8:9]
	v_lshlrev_b64 v[14:15], 1, v[4:5]
	;; [unrolled: 1-line block ×3, first 2 shown]
	v_mov_b32_e32 v19, v18
	v_mov_b32_e32 v20, 0x7fc0
	s_mov_b32 s4, 0
	v_add_co_u32 v10, vcc_lo, v10, v14
	v_add_co_ci_u32_e64 v11, null, v11, v15, vcc_lo
	v_lshlrev_b64 v[14:15], 1, v[6:7]
	v_add_co_u32 v16, vcc_lo, v10, v16
	v_add_co_ci_u32_e64 v11, null, v11, v17, vcc_lo
	v_and_b32_e32 v10, -2, v12
	v_sub_co_u32 v14, vcc_lo, v16, v14
	v_sub_co_ci_u32_e64 v15, null, v11, v15, vcc_lo
	v_mov_b32_e32 v11, v13
	v_add_co_u32 v14, vcc_lo, s8, v14
	v_add_co_ci_u32_e64 v15, null, s9, v15, vcc_lo
	v_mov_b32_e32 v17, v11
	v_add_co_u32 v14, vcc_lo, v14, 2
	v_add_co_ci_u32_e64 v15, null, 0, v15, vcc_lo
	v_mov_b32_e32 v16, v10
	s_branch .LBB6_64
.LBB6_63:                               ;   in Loop: Header=BB6_64 Depth=1
	s_or_b32 exec_lo, exec_lo, s5
	v_add_co_u32 v16, vcc_lo, v16, -2
	v_add_co_ci_u32_e64 v17, null, -1, v17, vcc_lo
	v_add_co_u32 v14, s0, v14, 4
	v_add_co_ci_u32_e64 v15, null, 0, v15, s0
	v_cmp_eq_u64_e32 vcc_lo, 0, v[16:17]
	s_or_b32 s4, vcc_lo, s4
	s_andn2_b32 exec_lo, exec_lo, s4
	s_cbranch_execz .LBB6_68
.LBB6_64:                               ; =>This Inner Loop Header: Depth=1
	global_load_dword v21, v[14:15], off offset:-2
	s_mov_b32 s5, exec_lo
	s_waitcnt vmcnt(0)
	v_and_b32_e32 v22, 0xffff0000, v21
	v_lshlrev_b32_e32 v23, 16, v21
	v_div_scale_f32 v21, null, v19, v19, v22
	v_div_scale_f32 v24, null, v18, v18, v23
	v_div_scale_f32 v29, vcc_lo, v22, v19, v22
	v_rcp_f32_e32 v25, v21
	v_rcp_f32_e32 v26, v24
	v_fma_f32 v27, -v21, v25, 1.0
	v_fma_f32 v28, -v24, v26, 1.0
	v_fmac_f32_e32 v25, v27, v25
	v_div_scale_f32 v27, s0, v23, v18, v23
	v_fmac_f32_e32 v26, v28, v26
	v_mul_f32_e32 v28, v29, v25
	v_mul_f32_e32 v30, v27, v26
	v_fma_f32 v31, -v21, v28, v29
	v_fma_f32 v32, -v24, v30, v27
	v_fmac_f32_e32 v28, v31, v25
	v_fmac_f32_e32 v30, v32, v26
	v_fma_f32 v21, -v21, v28, v29
	v_fma_f32 v24, -v24, v30, v27
	v_div_fmas_f32 v21, v21, v25, v28
	s_mov_b32 vcc_lo, s0
	v_cmp_lt_f32_e64 s0, 0, v22
	v_div_fmas_f32 v24, v24, v26, v30
	v_div_fixup_f32 v21, v21, v19, v22
	v_div_fixup_f32 v22, v24, v18, v23
	v_cmpx_lt_f32_e32 0, v23
	s_cbranch_execz .LBB6_66
; %bb.65:                               ;   in Loop: Header=BB6_64 Depth=1
	v_bfe_u32 v23, v22, 16, 1
	v_cmp_o_f32_e32 vcc_lo, v22, v22
	v_add3_u32 v22, v22, v23, 0x7fff
	v_cndmask_b32_sdwa v22, v20, v22, vcc_lo dst_sel:DWORD dst_unused:UNUSED_PAD src0_sel:DWORD src1_sel:WORD_1
	global_store_short v[14:15], v22, off offset:-2
.LBB6_66:                               ;   in Loop: Header=BB6_64 Depth=1
	s_or_b32 exec_lo, exec_lo, s5
	s_and_saveexec_b32 s5, s0
	s_cbranch_execz .LBB6_63
; %bb.67:                               ;   in Loop: Header=BB6_64 Depth=1
	v_bfe_u32 v22, v21, 16, 1
	v_cmp_o_f32_e32 vcc_lo, v21, v21
	v_add3_u32 v21, v21, v22, 0x7fff
	v_cndmask_b32_sdwa v21, v20, v21, vcc_lo dst_sel:DWORD dst_unused:UNUSED_PAD src0_sel:DWORD src1_sel:WORD_1
	global_store_short v[14:15], v21, off
	s_branch .LBB6_63
.LBB6_68:
	s_or_b32 exec_lo, exec_lo, s4
	v_cmp_ne_u64_e32 vcc_lo, v[12:13], v[10:11]
	v_add_co_u32 v0, s0, v0, v10
	v_add_co_ci_u32_e64 v1, null, v1, v11, s0
	s_orn2_b32 s0, vcc_lo, exec_lo
.LBB6_69:
	s_or_b32 exec_lo, exec_lo, s3
	s_andn2_b32 s1, s1, exec_lo
	s_and_b32 s0, s0, exec_lo
	s_or_b32 s1, s1, s0
.LBB6_70:
	s_or_b32 exec_lo, exec_lo, s2
	s_and_b32 exec_lo, exec_lo, s1
	s_cbranch_execz .LBB6_75
; %bb.71:
	v_lshlrev_b64 v[8:9], 1, v[8:9]
	v_lshlrev_b64 v[10:11], 1, v[0:1]
	;; [unrolled: 1-line block ×4, first 2 shown]
	s_lshl_b64 s[2:3], s[28:29], 1
	s_mov_b32 s1, 0
	v_add_co_u32 v8, vcc_lo, v8, v10
	v_add_co_ci_u32_e64 v9, null, v9, v11, vcc_lo
	v_mul_lo_u32 v10, s29, v8
	v_mad_u64_u32 v[4:5], null, s28, v8, v[4:5]
	v_mul_lo_u32 v9, s28, v9
	v_sub_co_u32 v4, vcc_lo, v4, v6
	v_add3_u32 v5, v10, v5, v9
	v_mov_b32_e32 v6, 0x7fc0
	v_sub_co_ci_u32_e64 v5, null, v5, v7, vcc_lo
	v_add_co_u32 v4, vcc_lo, s8, v4
	v_add_co_ci_u32_e64 v5, null, s9, v5, vcc_lo
	s_inst_prefetch 0x1
	s_branch .LBB6_73
	.p2align	6
.LBB6_72:                               ;   in Loop: Header=BB6_73 Depth=1
	s_or_b32 exec_lo, exec_lo, s0
	v_add_co_u32 v0, vcc_lo, v0, 1
	v_add_co_ci_u32_e64 v1, null, 0, v1, vcc_lo
	v_add_co_u32 v4, s0, v4, s2
	v_add_co_ci_u32_e64 v5, null, s3, v5, s0
	v_cmp_ge_i64_e32 vcc_lo, v[0:1], v[2:3]
	s_or_b32 s1, vcc_lo, s1
	s_andn2_b32 exec_lo, exec_lo, s1
	s_cbranch_execz .LBB6_75
.LBB6_73:                               ; =>This Inner Loop Header: Depth=1
	global_load_ushort v7, v[4:5], off
	s_mov_b32 s0, exec_lo
	s_waitcnt vmcnt(0)
	v_lshlrev_b32_e32 v7, 16, v7
	v_cmpx_lt_f32_e32 0, v7
	s_cbranch_execz .LBB6_72
; %bb.74:                               ;   in Loop: Header=BB6_73 Depth=1
	v_div_scale_f32 v8, null, v18, v18, v7
	v_rcp_f32_e32 v9, v8
	v_fma_f32 v10, -v8, v9, 1.0
	v_fmac_f32_e32 v9, v10, v9
	v_div_scale_f32 v10, vcc_lo, v7, v18, v7
	v_mul_f32_e32 v11, v10, v9
	v_fma_f32 v12, -v8, v11, v10
	v_fmac_f32_e32 v11, v12, v9
	v_fma_f32 v8, -v8, v11, v10
	v_div_fmas_f32 v8, v8, v9, v11
	v_div_fixup_f32 v7, v8, v18, v7
	v_bfe_u32 v8, v7, 16, 1
	v_cmp_o_f32_e32 vcc_lo, v7, v7
	v_add3_u32 v7, v7, v8, 0x7fff
	v_cndmask_b32_sdwa v7, v6, v7, vcc_lo dst_sel:DWORD dst_unused:UNUSED_PAD src0_sel:DWORD src1_sel:WORD_1
	global_store_short v[4:5], v7, off
	s_branch .LBB6_72
.LBB6_75:
	s_inst_prefetch 0x2
	s_endpgm
	.section	.rodata,"a",@progbits
	.p2align	6, 0x0
	.amdhsa_kernel _ZN2at6native12_GLOBAL__N_130segment_reduce_backward_kernelIN3c108BFloat16ElEEvNS0_13ReductionTypeEPT_PKS6_S9_S9_PKT0_SC_llS6_lllllll
		.amdhsa_group_segment_fixed_size 0
		.amdhsa_private_segment_fixed_size 0
		.amdhsa_kernarg_size 392
		.amdhsa_user_sgpr_count 6
		.amdhsa_user_sgpr_private_segment_buffer 1
		.amdhsa_user_sgpr_dispatch_ptr 0
		.amdhsa_user_sgpr_queue_ptr 0
		.amdhsa_user_sgpr_kernarg_segment_ptr 1
		.amdhsa_user_sgpr_dispatch_id 0
		.amdhsa_user_sgpr_flat_scratch_init 0
		.amdhsa_user_sgpr_private_segment_size 0
		.amdhsa_wavefront_size32 1
		.amdhsa_uses_dynamic_stack 0
		.amdhsa_system_sgpr_private_segment_wavefront_offset 0
		.amdhsa_system_sgpr_workgroup_id_x 1
		.amdhsa_system_sgpr_workgroup_id_y 0
		.amdhsa_system_sgpr_workgroup_id_z 0
		.amdhsa_system_sgpr_workgroup_info 0
		.amdhsa_system_vgpr_workitem_id 0
		.amdhsa_next_free_vgpr 34
		.amdhsa_next_free_sgpr 44
		.amdhsa_reserve_vcc 1
		.amdhsa_reserve_flat_scratch 0
		.amdhsa_float_round_mode_32 0
		.amdhsa_float_round_mode_16_64 0
		.amdhsa_float_denorm_mode_32 3
		.amdhsa_float_denorm_mode_16_64 3
		.amdhsa_dx10_clamp 1
		.amdhsa_ieee_mode 1
		.amdhsa_fp16_overflow 0
		.amdhsa_workgroup_processor_mode 1
		.amdhsa_memory_ordered 1
		.amdhsa_forward_progress 1
		.amdhsa_shared_vgpr_count 0
		.amdhsa_exception_fp_ieee_invalid_op 0
		.amdhsa_exception_fp_denorm_src 0
		.amdhsa_exception_fp_ieee_div_zero 0
		.amdhsa_exception_fp_ieee_overflow 0
		.amdhsa_exception_fp_ieee_underflow 0
		.amdhsa_exception_fp_ieee_inexact 0
		.amdhsa_exception_int_div_zero 0
	.end_amdhsa_kernel
	.section	.text._ZN2at6native12_GLOBAL__N_130segment_reduce_backward_kernelIN3c108BFloat16ElEEvNS0_13ReductionTypeEPT_PKS6_S9_S9_PKT0_SC_llS6_lllllll,"axG",@progbits,_ZN2at6native12_GLOBAL__N_130segment_reduce_backward_kernelIN3c108BFloat16ElEEvNS0_13ReductionTypeEPT_PKS6_S9_S9_PKT0_SC_llS6_lllllll,comdat
.Lfunc_end6:
	.size	_ZN2at6native12_GLOBAL__N_130segment_reduce_backward_kernelIN3c108BFloat16ElEEvNS0_13ReductionTypeEPT_PKS6_S9_S9_PKT0_SC_llS6_lllllll, .Lfunc_end6-_ZN2at6native12_GLOBAL__N_130segment_reduce_backward_kernelIN3c108BFloat16ElEEvNS0_13ReductionTypeEPT_PKS6_S9_S9_PKT0_SC_llS6_lllllll
                                        ; -- End function
	.set _ZN2at6native12_GLOBAL__N_130segment_reduce_backward_kernelIN3c108BFloat16ElEEvNS0_13ReductionTypeEPT_PKS6_S9_S9_PKT0_SC_llS6_lllllll.num_vgpr, 34
	.set _ZN2at6native12_GLOBAL__N_130segment_reduce_backward_kernelIN3c108BFloat16ElEEvNS0_13ReductionTypeEPT_PKS6_S9_S9_PKT0_SC_llS6_lllllll.num_agpr, 0
	.set _ZN2at6native12_GLOBAL__N_130segment_reduce_backward_kernelIN3c108BFloat16ElEEvNS0_13ReductionTypeEPT_PKS6_S9_S9_PKT0_SC_llS6_lllllll.numbered_sgpr, 44
	.set _ZN2at6native12_GLOBAL__N_130segment_reduce_backward_kernelIN3c108BFloat16ElEEvNS0_13ReductionTypeEPT_PKS6_S9_S9_PKT0_SC_llS6_lllllll.num_named_barrier, 0
	.set _ZN2at6native12_GLOBAL__N_130segment_reduce_backward_kernelIN3c108BFloat16ElEEvNS0_13ReductionTypeEPT_PKS6_S9_S9_PKT0_SC_llS6_lllllll.private_seg_size, 0
	.set _ZN2at6native12_GLOBAL__N_130segment_reduce_backward_kernelIN3c108BFloat16ElEEvNS0_13ReductionTypeEPT_PKS6_S9_S9_PKT0_SC_llS6_lllllll.uses_vcc, 1
	.set _ZN2at6native12_GLOBAL__N_130segment_reduce_backward_kernelIN3c108BFloat16ElEEvNS0_13ReductionTypeEPT_PKS6_S9_S9_PKT0_SC_llS6_lllllll.uses_flat_scratch, 0
	.set _ZN2at6native12_GLOBAL__N_130segment_reduce_backward_kernelIN3c108BFloat16ElEEvNS0_13ReductionTypeEPT_PKS6_S9_S9_PKT0_SC_llS6_lllllll.has_dyn_sized_stack, 0
	.set _ZN2at6native12_GLOBAL__N_130segment_reduce_backward_kernelIN3c108BFloat16ElEEvNS0_13ReductionTypeEPT_PKS6_S9_S9_PKT0_SC_llS6_lllllll.has_recursion, 0
	.set _ZN2at6native12_GLOBAL__N_130segment_reduce_backward_kernelIN3c108BFloat16ElEEvNS0_13ReductionTypeEPT_PKS6_S9_S9_PKT0_SC_llS6_lllllll.has_indirect_call, 0
	.section	.AMDGPU.csdata,"",@progbits
; Kernel info:
; codeLenInByte = 5900
; TotalNumSgprs: 46
; NumVgprs: 34
; ScratchSize: 0
; MemoryBound: 0
; FloatMode: 240
; IeeeMode: 1
; LDSByteSize: 0 bytes/workgroup (compile time only)
; SGPRBlocks: 0
; VGPRBlocks: 4
; NumSGPRsForWavesPerEU: 46
; NumVGPRsForWavesPerEU: 34
; Occupancy: 16
; WaveLimiterHint : 1
; COMPUTE_PGM_RSRC2:SCRATCH_EN: 0
; COMPUTE_PGM_RSRC2:USER_SGPR: 6
; COMPUTE_PGM_RSRC2:TRAP_HANDLER: 0
; COMPUTE_PGM_RSRC2:TGID_X_EN: 1
; COMPUTE_PGM_RSRC2:TGID_Y_EN: 0
; COMPUTE_PGM_RSRC2:TGID_Z_EN: 0
; COMPUTE_PGM_RSRC2:TIDIG_COMP_CNT: 0
	.section	.text._ZN2at6native12_GLOBAL__N_130segment_reduce_backward_kernelIN3c104HalfElEEvNS0_13ReductionTypeEPT_PKS6_S9_S9_PKT0_SC_llS6_lllllll,"axG",@progbits,_ZN2at6native12_GLOBAL__N_130segment_reduce_backward_kernelIN3c104HalfElEEvNS0_13ReductionTypeEPT_PKS6_S9_S9_PKT0_SC_llS6_lllllll,comdat
	.globl	_ZN2at6native12_GLOBAL__N_130segment_reduce_backward_kernelIN3c104HalfElEEvNS0_13ReductionTypeEPT_PKS6_S9_S9_PKT0_SC_llS6_lllllll ; -- Begin function _ZN2at6native12_GLOBAL__N_130segment_reduce_backward_kernelIN3c104HalfElEEvNS0_13ReductionTypeEPT_PKS6_S9_S9_PKT0_SC_llS6_lllllll
	.p2align	8
	.type	_ZN2at6native12_GLOBAL__N_130segment_reduce_backward_kernelIN3c104HalfElEEvNS0_13ReductionTypeEPT_PKS6_S9_S9_PKT0_SC_llS6_lllllll,@function
_ZN2at6native12_GLOBAL__N_130segment_reduce_backward_kernelIN3c104HalfElEEvNS0_13ReductionTypeEPT_PKS6_S9_S9_PKT0_SC_llS6_lllllll: ; @_ZN2at6native12_GLOBAL__N_130segment_reduce_backward_kernelIN3c104HalfElEEvNS0_13ReductionTypeEPT_PKS6_S9_S9_PKT0_SC_llS6_lllllll
; %bb.0:
	s_clause 0x2
	s_load_dwordx16 s[8:23], s[4:5], 0x8
	s_load_dword s0, s[4:5], 0x94
	s_load_dwordx8 s[24:31], s[4:5], 0x50
	v_mov_b32_e32 v2, 0
	v_mov_b32_e32 v1, v2
	s_waitcnt lgkmcnt(0)
	s_and_b32 s0, s0, 0xffff
	s_mul_i32 s1, s24, s21
	s_mul_hi_u32 s2, s24, s20
	s_mul_i32 s3, s25, s20
	s_mul_i32 s7, s24, s20
	v_mad_u64_u32 v[4:5], null, s0, s6, v[0:1]
	s_add_i32 s0, s2, s1
	s_mul_i32 s1, s7, s27
	s_mul_hi_u32 s2, s7, s26
	s_add_i32 s0, s0, s3
	s_add_i32 s1, s2, s1
	s_mul_i32 s0, s0, s26
	s_add_i32 s1, s1, s0
	s_mul_i32 s0, s7, s26
	v_cmp_gt_i64_e32 vcc_lo, s[0:1], v[4:5]
	s_and_saveexec_b32 s0, vcc_lo
	s_cbranch_execz .LBB7_75
; %bb.1:
	v_or_b32_e32 v3, s27, v5
                                        ; implicit-def: $vgpr6_vgpr7
	s_mov_b32 s0, exec_lo
	v_cmpx_ne_u64_e32 0, v[2:3]
	s_xor_b32 s1, exec_lo, s0
	s_cbranch_execz .LBB7_3
; %bb.2:
	s_ashr_i32 s2, s27, 31
	v_ashrrev_i32_e32 v8, 31, v5
	s_add_u32 s6, s26, s2
	s_mov_b32 s3, s2
	s_addc_u32 s7, s27, s2
	s_xor_b64 s[6:7], s[6:7], s[2:3]
	v_add_co_u32 v2, vcc_lo, v4, v8
	v_cvt_f32_u32_e32 v0, s6
	v_cvt_f32_u32_e32 v1, s7
	s_sub_u32 s24, 0, s6
	s_subb_u32 s25, 0, s7
	v_add_co_ci_u32_e64 v3, null, v5, v8, vcc_lo
	v_fmamk_f32 v0, v1, 0x4f800000, v0
	v_xor_b32_e32 v9, v2, v8
	v_xor_b32_e32 v10, v3, v8
	v_rcp_f32_e32 v0, v0
	v_mul_f32_e32 v0, 0x5f7ffffc, v0
	v_mul_f32_e32 v1, 0x2f800000, v0
	v_trunc_f32_e32 v1, v1
	v_fmamk_f32 v0, v1, 0xcf800000, v0
	v_cvt_u32_f32_e32 v1, v1
	v_cvt_u32_f32_e32 v0, v0
	v_readfirstlane_b32 s0, v1
	v_readfirstlane_b32 s3, v0
	s_mul_i32 s33, s24, s0
	s_mul_hi_u32 s35, s24, s3
	s_mul_i32 s34, s25, s3
	s_add_i32 s33, s35, s33
	s_mul_i32 s36, s24, s3
	s_add_i32 s33, s33, s34
	s_mul_hi_u32 s35, s3, s36
	s_mul_i32 s38, s3, s33
	s_mul_hi_u32 s37, s0, s36
	s_mul_i32 s34, s0, s36
	s_mul_hi_u32 s36, s3, s33
	s_add_u32 s35, s35, s38
	s_addc_u32 s36, 0, s36
	s_mul_hi_u32 s39, s0, s33
	s_add_u32 s34, s35, s34
	s_mul_i32 s33, s0, s33
	s_addc_u32 s34, s36, s37
	s_addc_u32 s35, s39, 0
	s_add_u32 s33, s34, s33
	s_addc_u32 s34, 0, s35
	s_add_u32 s3, s3, s33
	s_cselect_b32 s33, -1, 0
	s_mul_hi_u32 s35, s24, s3
	s_cmp_lg_u32 s33, 0
	s_mul_i32 s33, s24, s3
	s_addc_u32 s0, s0, s34
	s_mul_i32 s25, s25, s3
	s_mul_i32 s24, s24, s0
	s_mul_hi_u32 s34, s3, s33
	s_add_i32 s24, s35, s24
	s_mul_hi_u32 s35, s0, s33
	s_add_i32 s24, s24, s25
	s_mul_i32 s25, s0, s33
	s_mul_i32 s37, s3, s24
	s_mul_hi_u32 s36, s3, s24
	s_add_u32 s34, s34, s37
	s_addc_u32 s36, 0, s36
	s_mul_hi_u32 s33, s0, s24
	s_add_u32 s25, s34, s25
	s_mul_i32 s24, s0, s24
	s_addc_u32 s25, s36, s35
	s_addc_u32 s33, s33, 0
	s_add_u32 s24, s25, s24
	s_addc_u32 s25, 0, s33
	s_add_u32 s3, s3, s24
	s_cselect_b32 s24, -1, 0
	v_mul_hi_u32 v11, v9, s3
	s_cmp_lg_u32 s24, 0
	v_mad_u64_u32 v[2:3], null, v10, s3, 0
	s_addc_u32 s0, s0, s25
	v_mad_u64_u32 v[0:1], null, v9, s0, 0
	v_mad_u64_u32 v[6:7], null, v10, s0, 0
	v_add_co_u32 v0, vcc_lo, v11, v0
	v_add_co_ci_u32_e64 v1, null, 0, v1, vcc_lo
	v_add_co_u32 v0, vcc_lo, v0, v2
	v_add_co_ci_u32_e32 v0, vcc_lo, v1, v3, vcc_lo
	v_add_co_ci_u32_e32 v1, vcc_lo, 0, v7, vcc_lo
	v_add_co_u32 v2, vcc_lo, v0, v6
	v_add_co_ci_u32_e64 v3, null, 0, v1, vcc_lo
	v_mul_lo_u32 v6, s7, v2
	v_mad_u64_u32 v[0:1], null, s6, v2, 0
	v_mul_lo_u32 v7, s6, v3
	v_sub_co_u32 v0, vcc_lo, v9, v0
	v_add3_u32 v1, v1, v7, v6
	v_add_co_u32 v7, s0, v2, 2
	v_add_co_ci_u32_e64 v9, null, 0, v3, s0
	v_sub_nc_u32_e32 v6, v10, v1
	v_sub_co_u32 v11, s0, v0, s6
	v_sub_co_ci_u32_e64 v1, null, v10, v1, vcc_lo
	v_subrev_co_ci_u32_e64 v6, null, s7, v6, vcc_lo
	v_cmp_le_u32_e32 vcc_lo, s6, v11
	v_subrev_co_ci_u32_e64 v6, null, 0, v6, s0
	v_cndmask_b32_e64 v10, 0, -1, vcc_lo
	v_cmp_le_u32_e32 vcc_lo, s7, v6
	v_cndmask_b32_e64 v11, 0, -1, vcc_lo
	v_cmp_le_u32_e32 vcc_lo, s6, v0
	;; [unrolled: 2-line block ×3, first 2 shown]
	v_cndmask_b32_e64 v12, 0, -1, vcc_lo
	v_cmp_eq_u32_e32 vcc_lo, s7, v6
	v_cndmask_b32_e32 v6, v11, v10, vcc_lo
	v_add_co_u32 v10, vcc_lo, v2, 1
	v_add_co_ci_u32_e64 v11, null, 0, v3, vcc_lo
	v_cmp_eq_u32_e32 vcc_lo, s7, v1
	v_cndmask_b32_e32 v0, v12, v0, vcc_lo
	v_cmp_ne_u32_e32 vcc_lo, 0, v6
	v_cmp_ne_u32_e64 s0, 0, v0
	v_cndmask_b32_e32 v0, v10, v7, vcc_lo
	v_cndmask_b32_e32 v1, v11, v9, vcc_lo
	v_xor_b32_e32 v7, s2, v8
	v_cndmask_b32_e64 v0, v2, v0, s0
	v_cndmask_b32_e64 v1, v3, v1, s0
	v_xor_b32_e32 v0, v0, v7
	v_xor_b32_e32 v1, v1, v7
	v_sub_co_u32 v6, vcc_lo, v0, v7
	v_sub_co_ci_u32_e64 v7, null, v1, v7, vcc_lo
.LBB7_3:
	s_andn2_saveexec_b32 s0, s1
	s_cbranch_execz .LBB7_5
; %bb.4:
	v_cvt_f32_u32_e32 v0, s26
	s_sub_i32 s1, 0, s26
	v_mov_b32_e32 v7, 0
	v_rcp_iflag_f32_e32 v0, v0
	v_mul_f32_e32 v0, 0x4f7ffffe, v0
	v_cvt_u32_f32_e32 v0, v0
	v_mul_lo_u32 v1, s1, v0
	v_mul_hi_u32 v1, v0, v1
	v_add_nc_u32_e32 v0, v0, v1
	v_mul_hi_u32 v0, v4, v0
	v_mul_lo_u32 v1, v0, s26
	v_add_nc_u32_e32 v2, 1, v0
	v_sub_nc_u32_e32 v1, v4, v1
	v_subrev_nc_u32_e32 v3, s26, v1
	v_cmp_le_u32_e32 vcc_lo, s26, v1
	v_cndmask_b32_e32 v1, v1, v3, vcc_lo
	v_cndmask_b32_e32 v0, v0, v2, vcc_lo
	v_cmp_le_u32_e32 vcc_lo, s26, v1
	v_add_nc_u32_e32 v2, 1, v0
	v_cndmask_b32_e32 v6, v0, v2, vcc_lo
.LBB7_5:
	s_or_b32 exec_lo, exec_lo, s0
	v_or_b32_e32 v1, s21, v7
	v_mov_b32_e32 v0, 0
                                        ; implicit-def: $vgpr8_vgpr9
	s_mov_b32 s0, exec_lo
	v_cmpx_ne_u64_e32 0, v[0:1]
	s_xor_b32 s1, exec_lo, s0
	s_cbranch_execz .LBB7_7
; %bb.6:
	s_ashr_i32 s2, s21, 31
	v_ashrrev_i32_e32 v10, 31, v7
	s_add_u32 s6, s20, s2
	s_mov_b32 s3, s2
	s_addc_u32 s7, s21, s2
	s_xor_b64 s[6:7], s[6:7], s[2:3]
	v_add_co_u32 v2, vcc_lo, v6, v10
	v_cvt_f32_u32_e32 v0, s6
	v_cvt_f32_u32_e32 v1, s7
	s_sub_u32 s24, 0, s6
	s_subb_u32 s25, 0, s7
	v_add_co_ci_u32_e64 v3, null, v7, v10, vcc_lo
	v_fmamk_f32 v0, v1, 0x4f800000, v0
	v_xor_b32_e32 v11, v2, v10
	v_xor_b32_e32 v12, v3, v10
	v_rcp_f32_e32 v0, v0
	v_mul_f32_e32 v0, 0x5f7ffffc, v0
	v_mul_f32_e32 v1, 0x2f800000, v0
	v_trunc_f32_e32 v1, v1
	v_fmamk_f32 v0, v1, 0xcf800000, v0
	v_cvt_u32_f32_e32 v1, v1
	v_cvt_u32_f32_e32 v0, v0
	v_readfirstlane_b32 s0, v1
	v_readfirstlane_b32 s3, v0
	s_mul_i32 s33, s24, s0
	s_mul_hi_u32 s35, s24, s3
	s_mul_i32 s34, s25, s3
	s_add_i32 s33, s35, s33
	s_mul_i32 s36, s24, s3
	s_add_i32 s33, s33, s34
	s_mul_hi_u32 s35, s3, s36
	s_mul_i32 s38, s3, s33
	s_mul_hi_u32 s37, s0, s36
	s_mul_i32 s34, s0, s36
	s_mul_hi_u32 s36, s3, s33
	s_add_u32 s35, s35, s38
	s_addc_u32 s36, 0, s36
	s_mul_hi_u32 s39, s0, s33
	s_add_u32 s34, s35, s34
	s_mul_i32 s33, s0, s33
	s_addc_u32 s34, s36, s37
	s_addc_u32 s35, s39, 0
	s_add_u32 s33, s34, s33
	s_addc_u32 s34, 0, s35
	s_add_u32 s3, s3, s33
	s_cselect_b32 s33, -1, 0
	s_mul_hi_u32 s35, s24, s3
	s_cmp_lg_u32 s33, 0
	s_mul_i32 s33, s24, s3
	s_addc_u32 s0, s0, s34
	s_mul_i32 s25, s25, s3
	s_mul_i32 s24, s24, s0
	s_mul_hi_u32 s34, s3, s33
	s_add_i32 s24, s35, s24
	s_mul_hi_u32 s35, s0, s33
	s_add_i32 s24, s24, s25
	s_mul_i32 s25, s0, s33
	s_mul_i32 s37, s3, s24
	s_mul_hi_u32 s36, s3, s24
	s_add_u32 s34, s34, s37
	s_addc_u32 s36, 0, s36
	s_mul_hi_u32 s33, s0, s24
	s_add_u32 s25, s34, s25
	s_mul_i32 s24, s0, s24
	s_addc_u32 s25, s36, s35
	s_addc_u32 s33, s33, 0
	s_add_u32 s24, s25, s24
	s_addc_u32 s25, 0, s33
	s_add_u32 s3, s3, s24
	s_cselect_b32 s24, -1, 0
	v_mul_hi_u32 v13, v11, s3
	s_cmp_lg_u32 s24, 0
	v_mad_u64_u32 v[2:3], null, v12, s3, 0
	s_addc_u32 s0, s0, s25
	v_mad_u64_u32 v[0:1], null, v11, s0, 0
	v_mad_u64_u32 v[8:9], null, v12, s0, 0
	v_add_co_u32 v0, vcc_lo, v13, v0
	v_add_co_ci_u32_e64 v1, null, 0, v1, vcc_lo
	v_add_co_u32 v0, vcc_lo, v0, v2
	v_add_co_ci_u32_e32 v0, vcc_lo, v1, v3, vcc_lo
	v_add_co_ci_u32_e32 v1, vcc_lo, 0, v9, vcc_lo
	v_add_co_u32 v2, vcc_lo, v0, v8
	v_add_co_ci_u32_e64 v3, null, 0, v1, vcc_lo
	v_mul_lo_u32 v8, s7, v2
	v_mad_u64_u32 v[0:1], null, s6, v2, 0
	v_mul_lo_u32 v9, s6, v3
	v_sub_co_u32 v0, vcc_lo, v11, v0
	v_add3_u32 v1, v1, v9, v8
	v_add_co_u32 v9, s0, v2, 2
	v_add_co_ci_u32_e64 v11, null, 0, v3, s0
	v_sub_nc_u32_e32 v8, v12, v1
	v_sub_co_u32 v13, s0, v0, s6
	v_sub_co_ci_u32_e64 v1, null, v12, v1, vcc_lo
	v_subrev_co_ci_u32_e64 v8, null, s7, v8, vcc_lo
	v_cmp_le_u32_e32 vcc_lo, s6, v13
	v_subrev_co_ci_u32_e64 v8, null, 0, v8, s0
	v_cndmask_b32_e64 v12, 0, -1, vcc_lo
	v_cmp_le_u32_e32 vcc_lo, s7, v8
	v_cndmask_b32_e64 v13, 0, -1, vcc_lo
	v_cmp_le_u32_e32 vcc_lo, s6, v0
	;; [unrolled: 2-line block ×3, first 2 shown]
	v_cndmask_b32_e64 v14, 0, -1, vcc_lo
	v_cmp_eq_u32_e32 vcc_lo, s7, v8
	v_cndmask_b32_e32 v8, v13, v12, vcc_lo
	v_add_co_u32 v12, vcc_lo, v2, 1
	v_add_co_ci_u32_e64 v13, null, 0, v3, vcc_lo
	v_cmp_eq_u32_e32 vcc_lo, s7, v1
	v_cndmask_b32_e32 v0, v14, v0, vcc_lo
	v_cmp_ne_u32_e32 vcc_lo, 0, v8
	v_cmp_ne_u32_e64 s0, 0, v0
	v_cndmask_b32_e32 v0, v12, v9, vcc_lo
	v_cndmask_b32_e32 v1, v13, v11, vcc_lo
	v_xor_b32_e32 v9, s2, v10
	v_cndmask_b32_e64 v0, v2, v0, s0
	v_cndmask_b32_e64 v1, v3, v1, s0
	v_xor_b32_e32 v0, v0, v9
	v_xor_b32_e32 v1, v1, v9
	v_sub_co_u32 v8, vcc_lo, v0, v9
	v_sub_co_ci_u32_e64 v9, null, v1, v9, vcc_lo
.LBB7_7:
	s_andn2_saveexec_b32 s0, s1
	s_cbranch_execz .LBB7_9
; %bb.8:
	v_cvt_f32_u32_e32 v0, s20
	s_sub_i32 s1, 0, s20
	v_mov_b32_e32 v9, 0
	v_rcp_iflag_f32_e32 v0, v0
	v_mul_f32_e32 v0, 0x4f7ffffe, v0
	v_cvt_u32_f32_e32 v0, v0
	v_mul_lo_u32 v1, s1, v0
	v_mul_hi_u32 v1, v0, v1
	v_add_nc_u32_e32 v0, v0, v1
	v_mul_hi_u32 v0, v6, v0
	v_mul_lo_u32 v1, v0, s20
	v_add_nc_u32_e32 v2, 1, v0
	v_sub_nc_u32_e32 v1, v6, v1
	v_subrev_nc_u32_e32 v3, s20, v1
	v_cmp_le_u32_e32 vcc_lo, s20, v1
	v_cndmask_b32_e32 v1, v1, v3, vcc_lo
	v_cndmask_b32_e32 v0, v0, v2, vcc_lo
	v_cmp_le_u32_e32 vcc_lo, s20, v1
	v_add_nc_u32_e32 v2, 1, v0
	v_cndmask_b32_e32 v8, v0, v2, vcc_lo
.LBB7_9:
	s_or_b32 exec_lo, exec_lo, s0
	v_mul_lo_u32 v2, v9, s20
	v_mul_lo_u32 v3, v8, s21
	v_mad_u64_u32 v[0:1], null, v8, s20, 0
	v_add3_u32 v3, v1, v3, v2
	v_mul_lo_u32 v10, v0, s23
	v_mad_u64_u32 v[1:2], null, v0, s22, 0
	v_mul_lo_u32 v11, v3, s22
	v_add3_u32 v2, v2, v10, v11
	v_sub_co_u32 v10, vcc_lo, v6, v0
	v_sub_co_ci_u32_e64 v11, null, v7, v3, vcc_lo
	v_lshlrev_b64 v[2:3], 3, v[1:2]
	v_lshlrev_b64 v[0:1], 3, v[10:11]
	v_add_co_u32 v2, vcc_lo, s16, v2
	v_add_co_ci_u32_e64 v3, null, s17, v3, vcc_lo
	v_add_co_u32 v2, vcc_lo, v2, v0
	v_add_co_ci_u32_e64 v3, null, v3, v1, vcc_lo
	global_load_dwordx2 v[14:15], v[2:3], off
	s_waitcnt vmcnt(0)
	v_cmp_ne_u64_e32 vcc_lo, 0, v[14:15]
	s_and_b32 exec_lo, exec_lo, vcc_lo
	s_cbranch_execz .LBB7_75
; %bb.10:
	s_load_dwordx8 s[36:43], s[4:5], 0x70
	s_add_u32 s0, s20, 1
	s_addc_u32 s1, s21, 0
	s_waitcnt lgkmcnt(0)
	s_mul_i32 s1, s40, s1
	s_mul_hi_u32 s2, s40, s0
	s_mul_i32 s3, s41, s0
	s_add_i32 s1, s2, s1
	s_mul_i32 s0, s40, s0
	s_add_i32 s1, s1, s3
	v_mul_lo_u32 v12, s0, v9
	v_mad_u64_u32 v[2:3], null, s0, v8, 0
	v_mul_lo_u32 v13, s1, v8
	v_mad_u64_u32 v[16:17], null, v8, s38, v[10:11]
	v_mul_lo_u32 v18, v8, s39
	v_mul_lo_u32 v19, v9, s38
	s_load_dword s1, s[4:5], 0x0
	v_add3_u32 v3, v3, v12, v13
	v_mul_lo_u32 v12, v7, s26
	v_mul_lo_u32 v13, v6, s27
	v_mad_u64_u32 v[6:7], null, v6, s26, 0
	v_lshlrev_b64 v[2:3], 3, v[2:3]
	v_add3_u32 v17, v19, v17, v18
	v_add3_u32 v7, v7, v13, v12
	v_add_co_u32 v2, vcc_lo, s18, v2
	v_add_co_ci_u32_e64 v3, null, s19, v3, vcc_lo
	v_mul_lo_u32 v17, v17, s36
	v_add_co_u32 v0, vcc_lo, v2, v0
	v_add_co_ci_u32_e64 v1, null, v3, v1, vcc_lo
	v_sub_co_u32 v10, vcc_lo, v4, v6
	v_sub_co_ci_u32_e64 v11, null, v5, v7, vcc_lo
	global_load_dwordx4 v[0:3], v[0:1], off
	s_waitcnt lgkmcnt(0)
	s_and_b32 s0, s1, -3
	v_mad_u64_u32 v[12:13], null, v16, s36, v[10:11]
	v_mul_lo_u32 v16, v16, s37
	s_cmp_lg_u32 s0, 0
	v_add3_u32 v13, v17, v13, v16
	s_cbranch_scc0 .LBB7_25
; %bb.11:
	s_cmp_lt_i32 s1, 3
	s_mov_b32 s0, -1
	s_cbranch_scc1 .LBB7_39
; %bb.12:
	s_cmp_lt_i32 s1, 4
	s_cbranch_scc1 .LBB7_28
; %bb.13:
	s_cmp_eq_u32 s1, 4
	s_cbranch_scc0 .LBB7_27
; %bb.14:
	s_mov_b32 s16, exec_lo
	s_waitcnt vmcnt(0)
	v_cmpx_gt_i64_e64 v[2:3], v[0:1]
	s_cbranch_execz .LBB7_26
; %bb.15:
	v_lshlrev_b64 v[18:19], 1, v[12:13]
	v_mul_lo_u32 v21, s30, v9
	s_load_dword s17, s[4:5], 0x48
	s_lshl_b64 s[2:3], s[28:29], 1
	s_mov_b64 s[4:5], 0
	s_mov_b32 s18, 0
	v_add_co_u32 v16, vcc_lo, s10, v18
	v_add_co_ci_u32_e64 v17, null, s11, v19, vcc_lo
	v_add_co_u32 v18, vcc_lo, s12, v18
	v_add_co_ci_u32_e64 v19, null, s13, v19, vcc_lo
	global_load_ushort v25, v[16:17], off
	global_load_ushort v26, v[18:19], off
	v_mul_lo_u32 v18, s31, v8
	v_mad_u64_u32 v[19:20], null, s30, v8, 0
	v_add3_u32 v20, v20, v21, v18
	v_lshlrev_b64 v[21:22], 1, v[0:1]
	v_mul_lo_u32 v27, v19, s29
	v_lshlrev_b64 v[23:24], 1, v[19:20]
	v_mad_u64_u32 v[18:19], null, v19, s28, v[10:11]
	v_mul_lo_u32 v20, v20, s28
	v_add_co_u32 v23, vcc_lo, v23, v21
	v_add_co_ci_u32_e64 v24, null, v24, v22, vcc_lo
	v_lshlrev_b64 v[21:22], 1, v[4:5]
	v_mul_lo_u32 v29, s29, v23
	v_add3_u32 v19, v20, v19, v27
	v_mul_lo_u32 v28, s28, v24
	v_mad_u64_u32 v[21:22], null, s28, v23, v[21:22]
	v_lshlrev_b64 v[23:24], 1, v[6:7]
	v_add3_u32 v22, v29, v22, v28
	v_sub_co_u32 v20, vcc_lo, v21, v23
	v_sub_co_ci_u32_e64 v21, null, v22, v24, vcc_lo
	v_add_co_u32 v20, vcc_lo, s14, v20
	v_mov_b32_e32 v23, v1
	v_add_co_ci_u32_e64 v21, null, s15, v21, vcc_lo
	v_mov_b32_e32 v22, v0
	s_waitcnt vmcnt(0)
	v_mul_f16_e32 v30, v25, v26
	v_cvt_f32_f16_e32 v31, v30
	s_branch .LBB7_18
.LBB7_16:                               ;   in Loop: Header=BB7_18 Depth=1
	s_or_b32 exec_lo, exec_lo, s20
	global_load_ushort v26, v[16:17], off
	s_waitcnt vmcnt(0)
	v_mul_f16_e32 v26, v26, v32
.LBB7_17:                               ;   in Loop: Header=BB7_18 Depth=1
	s_or_b32 exec_lo, exec_lo, s19
	v_add_co_u32 v22, vcc_lo, v22, 1
	v_add_co_ci_u32_e64 v23, null, 0, v23, vcc_lo
	v_add_co_u32 v24, s0, s8, v24
	v_add_co_ci_u32_e64 v25, null, s9, v25, s0
	v_cmp_ge_i64_e32 vcc_lo, v[22:23], v[2:3]
	s_add_u32 s4, s4, 1
	s_addc_u32 s5, s5, 0
	global_store_short v[24:25], v26, off
	s_or_b32 s18, vcc_lo, s18
	s_andn2_b32 exec_lo, exec_lo, s18
	s_cbranch_execz .LBB7_26
.LBB7_18:                               ; =>This Loop Header: Depth=1
                                        ;     Child Loop BB7_23 Depth 2
	v_mad_u64_u32 v[24:25], null, v22, s28, v[18:19]
	v_mul_lo_u32 v26, v22, s29
	v_mul_lo_u32 v27, v23, s28
	s_mov_b32 s0, exec_lo
	v_add3_u32 v25, v27, v25, v26
	v_lshlrev_b64 v[24:25], 1, v[24:25]
	v_add_co_u32 v26, vcc_lo, s14, v24
	v_add_co_ci_u32_e64 v27, null, s15, v25, vcc_lo
	global_load_ushort v27, v[26:27], off
                                        ; implicit-def: $vgpr26
	s_waitcnt vmcnt(0)
	v_cmpx_lg_f16_e32 0, v27
	s_xor_b32 s0, exec_lo, s0
	s_cbranch_execz .LBB7_20
; %bb.19:                               ;   in Loop: Header=BB7_18 Depth=1
	v_cvt_f32_f16_e32 v26, v27
	v_rcp_f32_e32 v26, v26
	v_mul_f32_e32 v28, v31, v26
	v_fma_mix_f32 v29, -v27, v28, v30 op_sel_hi:[1,0,1]
	v_fmac_f32_e32 v28, v29, v26
	v_fma_mix_f32 v29, -v27, v28, v30 op_sel_hi:[1,0,1]
	v_mul_f32_e32 v26, v29, v26
	v_and_b32_e32 v26, 0xff800000, v26
	v_add_f32_e32 v26, v26, v28
	v_cvt_f16_f32_e32 v26, v26
	v_div_fixup_f16 v26, v26, v27, v30
.LBB7_20:                               ;   in Loop: Header=BB7_18 Depth=1
	s_andn2_saveexec_b32 s19, s0
	s_cbranch_execz .LBB7_17
; %bb.21:                               ;   in Loop: Header=BB7_18 Depth=1
	v_mov_b32_e32 v27, v21
	v_mov_b32_e32 v29, v1
	s_waitcnt lgkmcnt(0)
	v_mov_b32_e32 v32, s17
	v_mov_b32_e32 v26, v20
	;; [unrolled: 1-line block ×3, first 2 shown]
	s_mov_b32 s20, 0
	s_mov_b64 s[6:7], s[4:5]
	s_branch .LBB7_23
	.p2align	6
.LBB7_22:                               ;   in Loop: Header=BB7_23 Depth=2
	v_add_co_u32 v28, vcc_lo, v28, 1
	v_add_co_ci_u32_e64 v29, null, 0, v29, vcc_lo
	v_add_co_u32 v26, s0, v26, s2
	v_add_co_ci_u32_e64 v27, null, s3, v27, s0
	v_cmp_ge_i64_e32 vcc_lo, v[28:29], v[2:3]
	s_add_u32 s6, s6, -1
	s_addc_u32 s7, s7, -1
	s_or_b32 s20, vcc_lo, s20
	s_andn2_b32 exec_lo, exec_lo, s20
	s_cbranch_execz .LBB7_16
.LBB7_23:                               ;   Parent Loop BB7_18 Depth=1
                                        ; =>  This Inner Loop Header: Depth=2
	s_cmp_eq_u64 s[6:7], 0
	s_cbranch_scc1 .LBB7_22
; %bb.24:                               ;   in Loop: Header=BB7_23 Depth=2
	global_load_ushort v33, v[26:27], off
	s_waitcnt vmcnt(0)
	v_mul_f16_e32 v32, v33, v32
	s_branch .LBB7_22
.LBB7_25:
	s_cbranch_execnz .LBB7_51
	s_branch .LBB7_75
.LBB7_26:
	s_or_b32 exec_lo, exec_lo, s16
.LBB7_27:
	s_mov_b32 s0, 0
.LBB7_28:
	s_andn2_b32 vcc_lo, exec_lo, s0
	s_cbranch_vccnz .LBB7_38
; %bb.29:
	s_mov_b32 s4, exec_lo
	s_waitcnt vmcnt(0)
	v_cmpx_gt_i64_e64 v[2:3], v[0:1]
	s_cbranch_execz .LBB7_37
; %bb.30:
	v_lshlrev_b64 v[16:17], 1, v[12:13]
	v_mul_lo_u32 v20, s31, v8
	v_mul_lo_u32 v21, s30, v9
	s_cmp_eq_u64 s[28:29], 1
	s_cselect_b32 s0, -1, 0
	v_add_co_u32 v16, vcc_lo, s10, v16
	v_add_co_ci_u32_e64 v17, null, s11, v17, vcc_lo
	v_sub_co_u32 v18, vcc_lo, v2, v0
	v_sub_co_ci_u32_e64 v19, null, v3, v1, vcc_lo
	global_load_ushort v26, v[16:17], off
	v_mad_u64_u32 v[16:17], null, s30, v8, 0
	v_cmp_lt_u64_e32 vcc_lo, 1, v[18:19]
	v_add3_u32 v17, v17, v21, v20
	v_mov_b32_e32 v21, v1
	v_mov_b32_e32 v20, v0
	s_and_b32 s3, vcc_lo, s0
	s_mov_b32 s0, -1
	s_and_saveexec_b32 s2, s3
	s_cbranch_execz .LBB7_34
; %bb.31:
	v_mul_lo_u32 v22, v17, s28
	v_mul_lo_u32 v23, v16, s29
	v_mad_u64_u32 v[20:21], null, v16, s28, 0
	v_lshlrev_b64 v[24:25], 1, v[10:11]
	s_mov_b32 s3, 0
	v_add3_u32 v21, v21, v23, v22
	v_lshlrev_b64 v[22:23], 1, v[20:21]
	v_mov_b32_e32 v21, v19
	v_and_b32_e32 v20, -2, v18
	v_add_co_u32 v27, vcc_lo, s8, v22
	v_add_co_ci_u32_e64 v28, null, s9, v23, vcc_lo
	v_lshlrev_b64 v[22:23], 1, v[0:1]
	v_add_co_u32 v24, vcc_lo, v27, v24
	v_add_co_ci_u32_e64 v25, null, v28, v25, vcc_lo
	s_waitcnt vmcnt(0)
	v_perm_b32 v27, v26, v26, 0x5040100
	v_add_co_u32 v22, vcc_lo, v24, v22
	v_add_co_ci_u32_e64 v23, null, v25, v23, vcc_lo
	v_mov_b32_e32 v25, v21
	v_mov_b32_e32 v24, v20
.LBB7_32:                               ; =>This Inner Loop Header: Depth=1
	v_add_co_u32 v24, vcc_lo, v24, -2
	v_add_co_ci_u32_e64 v25, null, -1, v25, vcc_lo
	global_store_dword v[22:23], v27, off
	v_add_co_u32 v22, s0, v22, 4
	v_cmp_eq_u64_e32 vcc_lo, 0, v[24:25]
	v_add_co_ci_u32_e64 v23, null, 0, v23, s0
	s_or_b32 s3, vcc_lo, s3
	s_andn2_b32 exec_lo, exec_lo, s3
	s_cbranch_execnz .LBB7_32
; %bb.33:
	s_or_b32 exec_lo, exec_lo, s3
	v_cmp_ne_u64_e32 vcc_lo, v[18:19], v[20:21]
	v_add_co_u32 v20, s0, v0, v20
	v_add_co_ci_u32_e64 v21, null, v1, v21, s0
	s_orn2_b32 s0, vcc_lo, exec_lo
.LBB7_34:
	s_or_b32 exec_lo, exec_lo, s2
	s_and_b32 exec_lo, exec_lo, s0
	s_cbranch_execz .LBB7_37
; %bb.35:
	v_lshlrev_b64 v[16:17], 1, v[16:17]
	v_lshlrev_b64 v[18:19], 1, v[20:21]
	s_lshl_b64 s[2:3], s[28:29], 1
	s_mov_b32 s5, 0
	v_add_co_u32 v18, vcc_lo, v16, v18
	v_add_co_ci_u32_e64 v19, null, v17, v19, vcc_lo
	v_lshlrev_b64 v[16:17], 1, v[4:5]
	v_mul_lo_u32 v23, s29, v18
	v_mul_lo_u32 v22, s28, v19
	v_mad_u64_u32 v[16:17], null, s28, v18, v[16:17]
	v_lshlrev_b64 v[18:19], 1, v[6:7]
	v_add3_u32 v17, v23, v17, v22
	v_sub_co_u32 v16, vcc_lo, v16, v18
	v_sub_co_ci_u32_e64 v17, null, v17, v19, vcc_lo
	v_add_co_u32 v16, vcc_lo, s8, v16
	v_add_co_ci_u32_e64 v17, null, s9, v17, vcc_lo
.LBB7_36:                               ; =>This Inner Loop Header: Depth=1
	v_add_co_u32 v20, vcc_lo, v20, 1
	v_add_co_ci_u32_e64 v21, null, 0, v21, vcc_lo
	s_waitcnt vmcnt(0)
	global_store_short v[16:17], v26, off
	v_add_co_u32 v16, s0, v16, s2
	v_cmp_ge_i64_e32 vcc_lo, v[20:21], v[2:3]
	v_add_co_ci_u32_e64 v17, null, s3, v17, s0
	s_or_b32 s5, vcc_lo, s5
	s_andn2_b32 exec_lo, exec_lo, s5
	s_cbranch_execnz .LBB7_36
.LBB7_37:
	s_or_b32 exec_lo, exec_lo, s4
.LBB7_38:
	s_mov_b32 s0, 0
.LBB7_39:
	s_andn2_b32 vcc_lo, exec_lo, s0
	s_cbranch_vccnz .LBB7_50
; %bb.40:
	s_cmp_lg_u32 s1, 1
	s_cbranch_scc1 .LBB7_50
; %bb.41:
	s_mov_b32 s1, exec_lo
	s_waitcnt vmcnt(0)
	v_cmpx_gt_i64_e64 v[2:3], v[0:1]
	s_cbranch_execz .LBB7_49
; %bb.42:
	v_lshlrev_b64 v[16:17], 1, v[12:13]
	v_mul_lo_u32 v20, s31, v8
	v_mul_lo_u32 v21, s30, v9
	s_cmp_eq_u64 s[28:29], 1
	s_mov_b32 s0, -1
	s_cselect_b32 s2, -1, 0
	v_add_co_u32 v16, vcc_lo, s10, v16
	v_add_co_ci_u32_e64 v17, null, s11, v17, vcc_lo
	global_load_ushort v18, v[16:17], off
	v_xor_b32_e32 v16, v14, v15
	v_ffbh_i32_e32 v17, v15
	v_ashrrev_i32_e32 v16, 31, v16
	v_add_nc_u32_e32 v17, -1, v17
	v_add_nc_u32_e32 v16, 32, v16
	v_min_u32_e32 v16, v17, v16
	v_lshlrev_b64 v[14:15], v16, v[14:15]
	v_min_u32_e32 v14, 1, v14
	v_or_b32_e32 v14, v15, v14
	v_sub_nc_u32_e32 v15, 32, v16
	v_cvt_f32_i32_e32 v14, v14
	v_ldexp_f32 v14, v14, v15
	v_cvt_f16_f32_e32 v19, v14
	v_cvt_f32_f16_e32 v14, v19
	v_rcp_f32_e32 v14, v14
	s_waitcnt vmcnt(0)
	v_cvt_f32_f16_e32 v15, v18
	v_mul_f32_e32 v16, v15, v14
	v_fma_mix_f32 v15, -v19, v16, v18 op_sel_hi:[1,0,1]
	v_fmac_f32_e32 v16, v15, v14
	v_fma_mix_f32 v15, -v19, v16, v18 op_sel_hi:[1,0,1]
	v_mul_f32_e32 v14, v15, v14
	v_and_b32_e32 v17, 0xff800000, v14
	v_mad_u64_u32 v[14:15], null, s30, v8, 0
	v_add_f32_e32 v22, v17, v16
	v_sub_co_u32 v16, vcc_lo, v2, v0
	v_sub_co_ci_u32_e64 v17, null, v3, v1, vcc_lo
	v_cvt_f16_f32_e32 v22, v22
	v_add3_u32 v15, v15, v21, v20
	v_cmp_lt_u64_e32 vcc_lo, 1, v[16:17]
	v_div_fixup_f16 v24, v22, v19, v18
	v_mov_b32_e32 v19, v1
	v_mov_b32_e32 v18, v0
	s_and_b32 s3, vcc_lo, s2
	s_and_saveexec_b32 s2, s3
	s_cbranch_execz .LBB7_46
; %bb.43:
	v_mul_lo_u32 v20, v15, s28
	v_mul_lo_u32 v21, v14, s29
	v_mad_u64_u32 v[18:19], null, v14, s28, 0
	v_lshlrev_b64 v[22:23], 1, v[10:11]
	s_mov_b32 s3, 0
	v_add3_u32 v19, v19, v21, v20
	v_lshlrev_b64 v[20:21], 1, v[18:19]
	v_mov_b32_e32 v19, v17
	v_and_b32_e32 v18, -2, v16
	v_add_co_u32 v25, vcc_lo, s8, v20
	v_add_co_ci_u32_e64 v26, null, s9, v21, vcc_lo
	v_lshlrev_b64 v[20:21], 1, v[0:1]
	v_add_co_u32 v22, vcc_lo, v25, v22
	v_add_co_ci_u32_e64 v23, null, v26, v23, vcc_lo
	v_perm_b32 v25, v24, v24, 0x5040100
	v_add_co_u32 v20, vcc_lo, v22, v20
	v_add_co_ci_u32_e64 v21, null, v23, v21, vcc_lo
	v_mov_b32_e32 v23, v19
	v_mov_b32_e32 v22, v18
.LBB7_44:                               ; =>This Inner Loop Header: Depth=1
	v_add_co_u32 v22, vcc_lo, v22, -2
	v_add_co_ci_u32_e64 v23, null, -1, v23, vcc_lo
	global_store_dword v[20:21], v25, off
	v_add_co_u32 v20, s0, v20, 4
	v_cmp_eq_u64_e32 vcc_lo, 0, v[22:23]
	v_add_co_ci_u32_e64 v21, null, 0, v21, s0
	s_or_b32 s3, vcc_lo, s3
	s_andn2_b32 exec_lo, exec_lo, s3
	s_cbranch_execnz .LBB7_44
; %bb.45:
	s_or_b32 exec_lo, exec_lo, s3
	v_cmp_ne_u64_e32 vcc_lo, v[16:17], v[18:19]
	v_add_co_u32 v18, s0, v0, v18
	v_add_co_ci_u32_e64 v19, null, v1, v19, s0
	s_orn2_b32 s0, vcc_lo, exec_lo
.LBB7_46:
	s_or_b32 exec_lo, exec_lo, s2
	s_and_b32 exec_lo, exec_lo, s0
	s_cbranch_execz .LBB7_49
; %bb.47:
	v_lshlrev_b64 v[14:15], 1, v[14:15]
	v_lshlrev_b64 v[16:17], 1, v[18:19]
	s_lshl_b64 s[2:3], s[28:29], 1
	s_mov_b32 s4, 0
	v_add_co_u32 v16, vcc_lo, v14, v16
	v_add_co_ci_u32_e64 v17, null, v15, v17, vcc_lo
	v_lshlrev_b64 v[14:15], 1, v[4:5]
	v_mul_lo_u32 v21, s29, v16
	v_mul_lo_u32 v20, s28, v17
	v_mad_u64_u32 v[14:15], null, s28, v16, v[14:15]
	v_lshlrev_b64 v[16:17], 1, v[6:7]
	v_add3_u32 v15, v21, v15, v20
	v_sub_co_u32 v14, vcc_lo, v14, v16
	v_sub_co_ci_u32_e64 v15, null, v15, v17, vcc_lo
	v_add_co_u32 v14, vcc_lo, s8, v14
	v_add_co_ci_u32_e64 v15, null, s9, v15, vcc_lo
.LBB7_48:                               ; =>This Inner Loop Header: Depth=1
	v_add_co_u32 v18, vcc_lo, v18, 1
	v_add_co_ci_u32_e64 v19, null, 0, v19, vcc_lo
	global_store_short v[14:15], v24, off
	v_add_co_u32 v14, s0, v14, s2
	v_cmp_ge_i64_e32 vcc_lo, v[18:19], v[2:3]
	v_add_co_ci_u32_e64 v15, null, s3, v15, s0
	s_or_b32 s4, vcc_lo, s4
	s_andn2_b32 exec_lo, exec_lo, s4
	s_cbranch_execnz .LBB7_48
.LBB7_49:
	s_or_b32 exec_lo, exec_lo, s1
.LBB7_50:
	s_branch .LBB7_75
.LBB7_51:
	v_mov_b32_e32 v14, 0
	v_mov_b32_e32 v15, 0
	s_mov_b32 s4, exec_lo
	s_waitcnt vmcnt(0)
	v_cmp_le_i64_e32 vcc_lo, v[2:3], v[0:1]
	v_cmpx_gt_i64_e64 v[2:3], v[0:1]
	s_cbranch_execz .LBB7_59
; %bb.52:
	v_mad_u64_u32 v[14:15], null, v8, s30, v[0:1]
	v_mul_lo_u32 v16, v8, s31
	v_mul_lo_u32 v17, v9, s30
	v_mov_b32_e32 v21, v1
	v_mov_b32_e32 v20, v0
	s_lshl_b64 s[2:3], s[28:29], 1
	s_mov_b32 s5, 0
	v_mul_lo_u32 v18, s29, v14
	v_add3_u32 v16, v17, v15, v16
	v_mad_u64_u32 v[14:15], null, s28, v14, v[4:5]
	v_mul_lo_u32 v19, s28, v16
	v_lshlrev_b64 v[16:17], 1, v[12:13]
	v_add_co_u32 v12, s0, s12, v16
	v_add3_u32 v15, v18, v15, v19
	v_add_co_ci_u32_e64 v13, null, s13, v17, s0
	v_sub_co_u32 v14, s0, v14, v6
	v_sub_co_ci_u32_e64 v15, null, v15, v7, s0
	v_add_co_u32 v16, s0, s10, v16
	v_add_co_ci_u32_e64 v17, null, s11, v17, s0
	v_lshlrev_b64 v[18:19], 1, v[14:15]
	v_mov_b32_e32 v14, 0
	v_mov_b32_e32 v15, 0
	s_inst_prefetch 0x1
	s_branch .LBB7_54
	.p2align	6
.LBB7_53:                               ;   in Loop: Header=BB7_54 Depth=1
	s_or_b32 exec_lo, exec_lo, s1
	v_add_co_u32 v20, s0, v20, 1
	v_add_co_ci_u32_e64 v21, null, 0, v21, s0
	v_add_co_u32 v18, s1, v18, s2
	v_add_co_ci_u32_e64 v19, null, s3, v19, s1
	v_cmp_ge_i64_e64 s0, v[20:21], v[2:3]
	s_or_b32 s5, s0, s5
	s_andn2_b32 exec_lo, exec_lo, s5
	s_cbranch_execz .LBB7_58
.LBB7_54:                               ; =>This Inner Loop Header: Depth=1
	v_add_co_u32 v22, s0, s14, v18
	v_add_co_ci_u32_e64 v23, null, s15, v19, s0
	s_mov_b32 s1, exec_lo
	global_load_ushort v22, v[22:23], off
	s_waitcnt vmcnt(0)
	v_cmp_u_f16_e64 s6, v22, v22
	v_cmpx_o_f16_e32 v22, v22
	s_cbranch_execz .LBB7_56
; %bb.55:                               ;   in Loop: Header=BB7_54 Depth=1
	global_load_ushort v23, v[12:13], off
	s_andn2_b32 s6, s6, exec_lo
	s_waitcnt vmcnt(0)
	v_cmp_eq_f16_e64 s0, v22, v23
	s_and_b32 s0, s0, exec_lo
	s_or_b32 s6, s6, s0
.LBB7_56:                               ;   in Loop: Header=BB7_54 Depth=1
	s_or_b32 exec_lo, exec_lo, s1
	s_and_saveexec_b32 s1, s6
	s_cbranch_execz .LBB7_53
; %bb.57:                               ;   in Loop: Header=BB7_54 Depth=1
	global_load_ushort v24, v[16:17], off
	v_add_co_u32 v22, s0, s8, v18
	v_add_co_ci_u32_e64 v23, null, s9, v19, s0
	v_add_co_u32 v14, s0, v14, 1
	v_add_co_ci_u32_e64 v15, null, 0, v15, s0
	s_waitcnt vmcnt(0)
	global_store_short v[22:23], v24, off
	s_branch .LBB7_53
.LBB7_58:
	s_inst_prefetch 0x2
	s_or_b32 exec_lo, exec_lo, s5
.LBB7_59:
	s_or_b32 exec_lo, exec_lo, s4
	v_cmp_lt_i64_e64 s0, 1, v[14:15]
	s_xor_b32 s1, vcc_lo, -1
	s_and_b32 s0, s0, s1
	s_and_b32 exec_lo, exec_lo, s0
	s_cbranch_execz .LBB7_75
; %bb.60:
	v_ffbh_u32_e32 v12, v15
	s_mov_b32 s2, exec_lo
	v_min_u32_e32 v16, 32, v12
	v_lshlrev_b64 v[12:13], v16, v[14:15]
	v_sub_nc_u32_e32 v16, 32, v16
	v_mul_lo_u32 v14, s31, v8
	v_mul_lo_u32 v15, s30, v9
	v_mad_u64_u32 v[8:9], null, s30, v8, 0
	v_min_u32_e32 v12, 1, v12
	v_or_b32_e32 v12, v13, v12
	v_add3_u32 v9, v9, v15, v14
	v_cvt_f32_u32_e32 v17, v12
	v_sub_co_u32 v12, vcc_lo, v2, v0
	v_sub_co_ci_u32_e64 v13, null, v3, v1, vcc_lo
	v_ldexp_f32 v16, v17, v16
	v_cmp_gt_u64_e64 s1, 16, v[12:13]
	v_cvt_f16_f32_e32 v18, v16
	v_cmpx_lt_u64_e32 15, v[12:13]
	s_cbranch_execz .LBB7_70
; %bb.61:
	v_add_co_u32 v14, vcc_lo, v8, v0
	v_add_co_ci_u32_e64 v16, null, v9, v1, vcc_lo
	v_not_b32_e32 v17, v0
	v_add_co_u32 v10, vcc_lo, v14, v10
	v_not_b32_e32 v15, v1
	v_add_co_ci_u32_e64 v11, null, v16, v11, vcc_lo
	v_add_co_u32 v14, vcc_lo, v2, v17
	v_add_co_ci_u32_e64 v15, null, v3, v15, vcc_lo
	v_lshlrev_b64 v[10:11], 1, v[10:11]
	s_cmp_eq_u64 s[28:29], 1
	v_lshlrev_b64 v[16:17], 1, v[14:15]
	s_cselect_b32 s3, -1, 0
	v_add_co_u32 v10, vcc_lo, s8, v10
	v_add_co_ci_u32_e64 v11, null, s9, v11, vcc_lo
	v_add_co_u32 v16, vcc_lo, v10, v16
	v_add_co_ci_u32_e64 v17, null, v11, v17, vcc_lo
	v_cmp_lt_i64_e32 vcc_lo, -1, v[14:15]
	v_cmp_ge_u64_e64 s0, v[16:17], v[10:11]
	s_and_b32 s0, s0, vcc_lo
	s_and_b32 s4, s3, s0
	s_mov_b32 s0, -1
	s_and_saveexec_b32 s3, s4
	s_cbranch_execz .LBB7_69
; %bb.62:
	v_lshlrev_b64 v[14:15], 1, v[8:9]
	v_lshlrev_b64 v[16:17], 1, v[4:5]
	;; [unrolled: 1-line block ×3, first 2 shown]
	v_and_b32_e32 v10, -2, v12
	s_mov_b32 s4, 0
	v_add_co_u32 v11, vcc_lo, v14, v16
	v_add_co_ci_u32_e64 v16, null, v15, v17, vcc_lo
	v_lshlrev_b64 v[14:15], 1, v[6:7]
	v_add_co_u32 v17, vcc_lo, v11, v19
	v_add_co_ci_u32_e64 v16, null, v16, v20, vcc_lo
	v_mov_b32_e32 v11, v13
	v_sub_co_u32 v14, vcc_lo, v17, v14
	v_sub_co_ci_u32_e64 v15, null, v16, v15, vcc_lo
	v_cvt_f32_f16_e32 v16, v18
	v_add_co_u32 v14, vcc_lo, s8, v14
	v_add_co_ci_u32_e64 v15, null, s9, v15, vcc_lo
	v_rcp_f32_e32 v19, v16
	v_add_co_u32 v14, vcc_lo, v14, 2
	v_mov_b32_e32 v17, v11
	v_add_co_ci_u32_e64 v15, null, 0, v15, vcc_lo
	v_mov_b32_e32 v16, v10
	s_branch .LBB7_64
.LBB7_63:                               ;   in Loop: Header=BB7_64 Depth=1
	s_or_b32 exec_lo, exec_lo, s0
	v_add_co_u32 v16, vcc_lo, v16, -2
	v_add_co_ci_u32_e64 v17, null, -1, v17, vcc_lo
	v_add_co_u32 v14, s0, v14, 4
	v_add_co_ci_u32_e64 v15, null, 0, v15, s0
	v_cmp_eq_u64_e32 vcc_lo, 0, v[16:17]
	s_or_b32 s4, vcc_lo, s4
	s_andn2_b32 exec_lo, exec_lo, s4
	s_cbranch_execz .LBB7_68
.LBB7_64:                               ; =>This Inner Loop Header: Depth=1
	global_load_dword v21, v[14:15], off offset:-2
	s_mov_b32 s5, exec_lo
	s_waitcnt vmcnt(0)
	v_lshrrev_b32_e32 v20, 16, v21
	v_cmp_lt_f16_e32 vcc_lo, 0, v20
	v_cmpx_lt_f16_e32 0, v21
	s_cbranch_execz .LBB7_66
; %bb.65:                               ;   in Loop: Header=BB7_64 Depth=1
	v_cvt_f32_f16_e32 v22, v21
	v_mul_f32_e32 v22, v22, v19
	v_fma_mix_f32 v23, -v18, v22, v21 op_sel_hi:[1,0,1]
	v_fmac_f32_e32 v22, v23, v19
	v_fma_mix_f32 v23, -v18, v22, v21 op_sel_hi:[1,0,1]
	v_mul_f32_e32 v23, v23, v19
	v_and_b32_e32 v23, 0xff800000, v23
	v_add_f32_e32 v22, v23, v22
	v_cvt_f16_f32_e32 v22, v22
	v_div_fixup_f16 v22, v22, v18, v21
	global_store_short v[14:15], v22, off offset:-2
.LBB7_66:                               ;   in Loop: Header=BB7_64 Depth=1
	s_or_b32 exec_lo, exec_lo, s5
	s_and_saveexec_b32 s0, vcc_lo
	s_cbranch_execz .LBB7_63
; %bb.67:                               ;   in Loop: Header=BB7_64 Depth=1
	v_cvt_f32_f16_e32 v22, v20
	v_mul_f32_e32 v22, v22, v19
	v_fma_mix_f32 v23, -v18, v22, v21 op_sel:[0,0,1] op_sel_hi:[1,0,1]
	v_fmac_f32_e32 v22, v23, v19
	v_fma_mix_f32 v21, -v18, v22, v21 op_sel:[0,0,1] op_sel_hi:[1,0,1]
	v_mul_f32_e32 v21, v21, v19
	v_and_b32_e32 v21, 0xff800000, v21
	v_add_f32_e32 v21, v21, v22
	v_cvt_f16_f32_e32 v21, v21
	v_div_fixup_f16 v20, v21, v18, v20
	global_store_short v[14:15], v20, off
	s_branch .LBB7_63
.LBB7_68:
	s_or_b32 exec_lo, exec_lo, s4
	v_cmp_ne_u64_e32 vcc_lo, v[12:13], v[10:11]
	v_add_co_u32 v0, s0, v0, v10
	v_add_co_ci_u32_e64 v1, null, v1, v11, s0
	s_orn2_b32 s0, vcc_lo, exec_lo
.LBB7_69:
	s_or_b32 exec_lo, exec_lo, s3
	s_andn2_b32 s1, s1, exec_lo
	s_and_b32 s0, s0, exec_lo
	s_or_b32 s1, s1, s0
.LBB7_70:
	s_or_b32 exec_lo, exec_lo, s2
	s_and_b32 exec_lo, exec_lo, s1
	s_cbranch_execz .LBB7_75
; %bb.71:
	v_lshlrev_b64 v[8:9], 1, v[8:9]
	v_lshlrev_b64 v[10:11], 1, v[0:1]
	;; [unrolled: 1-line block ×4, first 2 shown]
	s_lshl_b64 s[2:3], s[28:29], 1
	s_mov_b32 s1, 0
	v_add_co_u32 v8, vcc_lo, v8, v10
	v_add_co_ci_u32_e64 v9, null, v9, v11, vcc_lo
	v_mul_lo_u32 v10, s29, v8
	v_mad_u64_u32 v[4:5], null, s28, v8, v[4:5]
	v_mul_lo_u32 v9, s28, v9
	v_cvt_f32_f16_e32 v8, v18
	v_sub_co_u32 v4, vcc_lo, v4, v6
	v_add3_u32 v5, v10, v5, v9
	v_rcp_f32_e32 v6, v8
	v_sub_co_ci_u32_e64 v5, null, v5, v7, vcc_lo
	v_add_co_u32 v4, vcc_lo, s8, v4
	v_add_co_ci_u32_e64 v5, null, s9, v5, vcc_lo
	s_inst_prefetch 0x1
	s_branch .LBB7_73
	.p2align	6
.LBB7_72:                               ;   in Loop: Header=BB7_73 Depth=1
	s_or_b32 exec_lo, exec_lo, s0
	v_add_co_u32 v0, vcc_lo, v0, 1
	v_add_co_ci_u32_e64 v1, null, 0, v1, vcc_lo
	v_add_co_u32 v4, s0, v4, s2
	v_add_co_ci_u32_e64 v5, null, s3, v5, s0
	v_cmp_ge_i64_e32 vcc_lo, v[0:1], v[2:3]
	s_or_b32 s1, vcc_lo, s1
	s_andn2_b32 exec_lo, exec_lo, s1
	s_cbranch_execz .LBB7_75
.LBB7_73:                               ; =>This Inner Loop Header: Depth=1
	global_load_ushort v7, v[4:5], off
	s_mov_b32 s0, exec_lo
	s_waitcnt vmcnt(0)
	v_cmpx_lt_f16_e32 0, v7
	s_cbranch_execz .LBB7_72
; %bb.74:                               ;   in Loop: Header=BB7_73 Depth=1
	v_cvt_f32_f16_e32 v8, v7
	v_mul_f32_e32 v8, v8, v6
	v_fma_mix_f32 v9, -v18, v8, v7 op_sel_hi:[1,0,1]
	v_fmac_f32_e32 v8, v9, v6
	v_fma_mix_f32 v9, -v18, v8, v7 op_sel_hi:[1,0,1]
	v_mul_f32_e32 v9, v9, v6
	v_and_b32_e32 v9, 0xff800000, v9
	v_add_f32_e32 v8, v9, v8
	v_cvt_f16_f32_e32 v8, v8
	v_div_fixup_f16 v7, v8, v18, v7
	global_store_short v[4:5], v7, off
	s_branch .LBB7_72
.LBB7_75:
	s_inst_prefetch 0x2
	s_endpgm
	.section	.rodata,"a",@progbits
	.p2align	6, 0x0
	.amdhsa_kernel _ZN2at6native12_GLOBAL__N_130segment_reduce_backward_kernelIN3c104HalfElEEvNS0_13ReductionTypeEPT_PKS6_S9_S9_PKT0_SC_llS6_lllllll
		.amdhsa_group_segment_fixed_size 0
		.amdhsa_private_segment_fixed_size 0
		.amdhsa_kernarg_size 392
		.amdhsa_user_sgpr_count 6
		.amdhsa_user_sgpr_private_segment_buffer 1
		.amdhsa_user_sgpr_dispatch_ptr 0
		.amdhsa_user_sgpr_queue_ptr 0
		.amdhsa_user_sgpr_kernarg_segment_ptr 1
		.amdhsa_user_sgpr_dispatch_id 0
		.amdhsa_user_sgpr_flat_scratch_init 0
		.amdhsa_user_sgpr_private_segment_size 0
		.amdhsa_wavefront_size32 1
		.amdhsa_uses_dynamic_stack 0
		.amdhsa_system_sgpr_private_segment_wavefront_offset 0
		.amdhsa_system_sgpr_workgroup_id_x 1
		.amdhsa_system_sgpr_workgroup_id_y 0
		.amdhsa_system_sgpr_workgroup_id_z 0
		.amdhsa_system_sgpr_workgroup_info 0
		.amdhsa_system_vgpr_workitem_id 0
		.amdhsa_next_free_vgpr 34
		.amdhsa_next_free_sgpr 44
		.amdhsa_reserve_vcc 1
		.amdhsa_reserve_flat_scratch 0
		.amdhsa_float_round_mode_32 0
		.amdhsa_float_round_mode_16_64 0
		.amdhsa_float_denorm_mode_32 3
		.amdhsa_float_denorm_mode_16_64 3
		.amdhsa_dx10_clamp 1
		.amdhsa_ieee_mode 1
		.amdhsa_fp16_overflow 0
		.amdhsa_workgroup_processor_mode 1
		.amdhsa_memory_ordered 1
		.amdhsa_forward_progress 1
		.amdhsa_shared_vgpr_count 0
		.amdhsa_exception_fp_ieee_invalid_op 0
		.amdhsa_exception_fp_denorm_src 0
		.amdhsa_exception_fp_ieee_div_zero 0
		.amdhsa_exception_fp_ieee_overflow 0
		.amdhsa_exception_fp_ieee_underflow 0
		.amdhsa_exception_fp_ieee_inexact 0
		.amdhsa_exception_int_div_zero 0
	.end_amdhsa_kernel
	.section	.text._ZN2at6native12_GLOBAL__N_130segment_reduce_backward_kernelIN3c104HalfElEEvNS0_13ReductionTypeEPT_PKS6_S9_S9_PKT0_SC_llS6_lllllll,"axG",@progbits,_ZN2at6native12_GLOBAL__N_130segment_reduce_backward_kernelIN3c104HalfElEEvNS0_13ReductionTypeEPT_PKS6_S9_S9_PKT0_SC_llS6_lllllll,comdat
.Lfunc_end7:
	.size	_ZN2at6native12_GLOBAL__N_130segment_reduce_backward_kernelIN3c104HalfElEEvNS0_13ReductionTypeEPT_PKS6_S9_S9_PKT0_SC_llS6_lllllll, .Lfunc_end7-_ZN2at6native12_GLOBAL__N_130segment_reduce_backward_kernelIN3c104HalfElEEvNS0_13ReductionTypeEPT_PKS6_S9_S9_PKT0_SC_llS6_lllllll
                                        ; -- End function
	.set _ZN2at6native12_GLOBAL__N_130segment_reduce_backward_kernelIN3c104HalfElEEvNS0_13ReductionTypeEPT_PKS6_S9_S9_PKT0_SC_llS6_lllllll.num_vgpr, 34
	.set _ZN2at6native12_GLOBAL__N_130segment_reduce_backward_kernelIN3c104HalfElEEvNS0_13ReductionTypeEPT_PKS6_S9_S9_PKT0_SC_llS6_lllllll.num_agpr, 0
	.set _ZN2at6native12_GLOBAL__N_130segment_reduce_backward_kernelIN3c104HalfElEEvNS0_13ReductionTypeEPT_PKS6_S9_S9_PKT0_SC_llS6_lllllll.numbered_sgpr, 44
	.set _ZN2at6native12_GLOBAL__N_130segment_reduce_backward_kernelIN3c104HalfElEEvNS0_13ReductionTypeEPT_PKS6_S9_S9_PKT0_SC_llS6_lllllll.num_named_barrier, 0
	.set _ZN2at6native12_GLOBAL__N_130segment_reduce_backward_kernelIN3c104HalfElEEvNS0_13ReductionTypeEPT_PKS6_S9_S9_PKT0_SC_llS6_lllllll.private_seg_size, 0
	.set _ZN2at6native12_GLOBAL__N_130segment_reduce_backward_kernelIN3c104HalfElEEvNS0_13ReductionTypeEPT_PKS6_S9_S9_PKT0_SC_llS6_lllllll.uses_vcc, 1
	.set _ZN2at6native12_GLOBAL__N_130segment_reduce_backward_kernelIN3c104HalfElEEvNS0_13ReductionTypeEPT_PKS6_S9_S9_PKT0_SC_llS6_lllllll.uses_flat_scratch, 0
	.set _ZN2at6native12_GLOBAL__N_130segment_reduce_backward_kernelIN3c104HalfElEEvNS0_13ReductionTypeEPT_PKS6_S9_S9_PKT0_SC_llS6_lllllll.has_dyn_sized_stack, 0
	.set _ZN2at6native12_GLOBAL__N_130segment_reduce_backward_kernelIN3c104HalfElEEvNS0_13ReductionTypeEPT_PKS6_S9_S9_PKT0_SC_llS6_lllllll.has_recursion, 0
	.set _ZN2at6native12_GLOBAL__N_130segment_reduce_backward_kernelIN3c104HalfElEEvNS0_13ReductionTypeEPT_PKS6_S9_S9_PKT0_SC_llS6_lllllll.has_indirect_call, 0
	.section	.AMDGPU.csdata,"",@progbits
; Kernel info:
; codeLenInByte = 5528
; TotalNumSgprs: 46
; NumVgprs: 34
; ScratchSize: 0
; MemoryBound: 0
; FloatMode: 240
; IeeeMode: 1
; LDSByteSize: 0 bytes/workgroup (compile time only)
; SGPRBlocks: 0
; VGPRBlocks: 4
; NumSGPRsForWavesPerEU: 46
; NumVGPRsForWavesPerEU: 34
; Occupancy: 16
; WaveLimiterHint : 1
; COMPUTE_PGM_RSRC2:SCRATCH_EN: 0
; COMPUTE_PGM_RSRC2:USER_SGPR: 6
; COMPUTE_PGM_RSRC2:TRAP_HANDLER: 0
; COMPUTE_PGM_RSRC2:TGID_X_EN: 1
; COMPUTE_PGM_RSRC2:TGID_Y_EN: 0
; COMPUTE_PGM_RSRC2:TGID_Z_EN: 0
; COMPUTE_PGM_RSRC2:TIDIG_COMP_CNT: 0
	.section	.text._ZN2at6native12_GLOBAL__N_129segment_reduce_forward_kernelIdiEEvNS0_13ReductionTypeEPT_PKS4_PKT0_SA_llbS4_lllllll,"axG",@progbits,_ZN2at6native12_GLOBAL__N_129segment_reduce_forward_kernelIdiEEvNS0_13ReductionTypeEPT_PKS4_PKT0_SA_llbS4_lllllll,comdat
	.globl	_ZN2at6native12_GLOBAL__N_129segment_reduce_forward_kernelIdiEEvNS0_13ReductionTypeEPT_PKS4_PKT0_SA_llbS4_lllllll ; -- Begin function _ZN2at6native12_GLOBAL__N_129segment_reduce_forward_kernelIdiEEvNS0_13ReductionTypeEPT_PKS4_PKT0_SA_llbS4_lllllll
	.p2align	8
	.type	_ZN2at6native12_GLOBAL__N_129segment_reduce_forward_kernelIdiEEvNS0_13ReductionTypeEPT_PKS4_PKT0_SA_llbS4_lllllll,@function
_ZN2at6native12_GLOBAL__N_129segment_reduce_forward_kernelIdiEEvNS0_13ReductionTypeEPT_PKS4_PKT0_SA_llbS4_lllllll: ; @_ZN2at6native12_GLOBAL__N_129segment_reduce_forward_kernelIdiEEvNS0_13ReductionTypeEPT_PKS4_PKT0_SA_llbS4_lllllll
; %bb.0:
	s_clause 0x2
	s_load_dwordx4 s[36:39], s[4:5], 0x28
	s_load_dword s0, s[4:5], 0x8c
	s_load_dwordx16 s[8:23], s[4:5], 0x40
	v_mov_b32_e32 v2, 0
	v_mov_b32_e32 v1, v2
	s_waitcnt lgkmcnt(0)
	s_and_b32 s0, s0, 0xffff
	s_mul_i32 s1, s10, s37
	s_mul_hi_u32 s2, s10, s36
	s_mul_i32 s3, s11, s36
	s_mul_i32 s7, s10, s36
	v_mad_u64_u32 v[0:1], null, s0, s6, v[0:1]
	s_add_i32 s0, s2, s1
	s_mul_i32 s1, s7, s13
	s_mul_hi_u32 s2, s7, s12
	s_add_i32 s0, s0, s3
	s_add_i32 s1, s2, s1
	s_mul_i32 s0, s0, s12
	s_add_i32 s1, s1, s0
	s_mul_i32 s0, s7, s12
	v_cmp_gt_i64_e32 vcc_lo, s[0:1], v[0:1]
	s_and_saveexec_b32 s0, vcc_lo
	s_cbranch_execz .LBB8_35
; %bb.1:
	v_or_b32_e32 v3, s13, v1
                                        ; implicit-def: $vgpr4_vgpr5
	s_mov_b32 s0, exec_lo
	v_cmpx_ne_u64_e32 0, v[2:3]
	s_xor_b32 s1, exec_lo, s0
	s_cbranch_execz .LBB8_3
; %bb.2:
	s_ashr_i32 s2, s13, 31
	v_ashrrev_i32_e32 v8, 31, v1
	s_add_u32 s6, s12, s2
	s_mov_b32 s3, s2
	s_addc_u32 s7, s13, s2
	s_xor_b64 s[6:7], s[6:7], s[2:3]
	v_add_co_u32 v4, vcc_lo, v0, v8
	v_cvt_f32_u32_e32 v2, s6
	v_cvt_f32_u32_e32 v3, s7
	s_sub_u32 s10, 0, s6
	s_subb_u32 s11, 0, s7
	v_add_co_ci_u32_e64 v5, null, v1, v8, vcc_lo
	v_fmamk_f32 v2, v3, 0x4f800000, v2
	v_xor_b32_e32 v9, v4, v8
	v_xor_b32_e32 v10, v5, v8
	v_rcp_f32_e32 v2, v2
	v_mul_f32_e32 v2, 0x5f7ffffc, v2
	v_mul_f32_e32 v3, 0x2f800000, v2
	v_trunc_f32_e32 v3, v3
	v_fmamk_f32 v2, v3, 0xcf800000, v2
	v_cvt_u32_f32_e32 v3, v3
	v_cvt_u32_f32_e32 v2, v2
	v_readfirstlane_b32 s0, v3
	v_readfirstlane_b32 s3, v2
	s_mul_i32 s24, s10, s0
	s_mul_hi_u32 s26, s10, s3
	s_mul_i32 s25, s11, s3
	s_add_i32 s24, s26, s24
	s_mul_i32 s27, s10, s3
	s_add_i32 s24, s24, s25
	s_mul_hi_u32 s26, s3, s27
	s_mul_i32 s29, s3, s24
	s_mul_hi_u32 s28, s0, s27
	s_mul_i32 s25, s0, s27
	s_mul_hi_u32 s27, s3, s24
	s_add_u32 s26, s26, s29
	s_addc_u32 s27, 0, s27
	s_mul_hi_u32 s30, s0, s24
	s_add_u32 s25, s26, s25
	s_mul_i32 s24, s0, s24
	s_addc_u32 s25, s27, s28
	s_addc_u32 s26, s30, 0
	s_add_u32 s24, s25, s24
	s_addc_u32 s25, 0, s26
	s_add_u32 s3, s3, s24
	s_cselect_b32 s24, -1, 0
	s_mul_hi_u32 s26, s10, s3
	s_cmp_lg_u32 s24, 0
	s_mul_i32 s24, s10, s3
	s_addc_u32 s0, s0, s25
	s_mul_i32 s11, s11, s3
	s_mul_i32 s10, s10, s0
	s_mul_hi_u32 s25, s3, s24
	s_add_i32 s10, s26, s10
	s_mul_hi_u32 s26, s0, s24
	s_add_i32 s10, s10, s11
	s_mul_i32 s11, s0, s24
	s_mul_i32 s28, s3, s10
	s_mul_hi_u32 s27, s3, s10
	s_add_u32 s25, s25, s28
	s_addc_u32 s27, 0, s27
	s_mul_hi_u32 s24, s0, s10
	s_add_u32 s11, s25, s11
	s_mul_i32 s10, s0, s10
	s_addc_u32 s11, s27, s26
	s_addc_u32 s24, s24, 0
	s_add_u32 s10, s11, s10
	s_addc_u32 s11, 0, s24
	s_add_u32 s3, s3, s10
	s_cselect_b32 s10, -1, 0
	v_mul_hi_u32 v11, v9, s3
	s_cmp_lg_u32 s10, 0
	v_mad_u64_u32 v[4:5], null, v10, s3, 0
	s_addc_u32 s0, s0, s11
	v_mad_u64_u32 v[2:3], null, v9, s0, 0
	v_mad_u64_u32 v[6:7], null, v10, s0, 0
	v_add_co_u32 v2, vcc_lo, v11, v2
	v_add_co_ci_u32_e64 v3, null, 0, v3, vcc_lo
	v_add_co_u32 v2, vcc_lo, v2, v4
	v_add_co_ci_u32_e32 v2, vcc_lo, v3, v5, vcc_lo
	v_add_co_ci_u32_e32 v3, vcc_lo, 0, v7, vcc_lo
	v_add_co_u32 v4, vcc_lo, v2, v6
	v_add_co_ci_u32_e64 v5, null, 0, v3, vcc_lo
	v_mul_lo_u32 v6, s7, v4
	v_mad_u64_u32 v[2:3], null, s6, v4, 0
	v_mul_lo_u32 v7, s6, v5
	v_sub_co_u32 v2, vcc_lo, v9, v2
	v_add3_u32 v3, v3, v7, v6
	v_add_co_u32 v7, s0, v4, 2
	v_add_co_ci_u32_e64 v9, null, 0, v5, s0
	v_sub_nc_u32_e32 v6, v10, v3
	v_sub_co_u32 v11, s0, v2, s6
	v_sub_co_ci_u32_e64 v3, null, v10, v3, vcc_lo
	v_subrev_co_ci_u32_e64 v6, null, s7, v6, vcc_lo
	v_cmp_le_u32_e32 vcc_lo, s6, v11
	v_subrev_co_ci_u32_e64 v6, null, 0, v6, s0
	v_cndmask_b32_e64 v10, 0, -1, vcc_lo
	v_cmp_le_u32_e32 vcc_lo, s7, v6
	v_cndmask_b32_e64 v11, 0, -1, vcc_lo
	v_cmp_le_u32_e32 vcc_lo, s6, v2
	;; [unrolled: 2-line block ×3, first 2 shown]
	v_cndmask_b32_e64 v12, 0, -1, vcc_lo
	v_cmp_eq_u32_e32 vcc_lo, s7, v6
	v_cndmask_b32_e32 v6, v11, v10, vcc_lo
	v_add_co_u32 v10, vcc_lo, v4, 1
	v_add_co_ci_u32_e64 v11, null, 0, v5, vcc_lo
	v_cmp_eq_u32_e32 vcc_lo, s7, v3
	v_cndmask_b32_e32 v2, v12, v2, vcc_lo
	v_cmp_ne_u32_e32 vcc_lo, 0, v6
	v_xor_b32_e32 v6, s2, v8
	v_cmp_ne_u32_e64 s0, 0, v2
	v_cndmask_b32_e32 v2, v10, v7, vcc_lo
	v_cndmask_b32_e32 v3, v11, v9, vcc_lo
	v_cndmask_b32_e64 v2, v4, v2, s0
	v_cndmask_b32_e64 v3, v5, v3, s0
	v_xor_b32_e32 v2, v2, v6
	v_xor_b32_e32 v3, v3, v6
	v_sub_co_u32 v4, vcc_lo, v2, v6
	v_sub_co_ci_u32_e64 v5, null, v3, v6, vcc_lo
.LBB8_3:
	s_or_saveexec_b32 s0, s1
	s_load_dwordx8 s[24:31], s[4:5], 0x8
	s_xor_b32 exec_lo, exec_lo, s0
	s_cbranch_execz .LBB8_5
; %bb.4:
	v_cvt_f32_u32_e32 v2, s12
	s_sub_i32 s1, 0, s12
	v_rcp_iflag_f32_e32 v2, v2
	v_mul_f32_e32 v2, 0x4f7ffffe, v2
	v_cvt_u32_f32_e32 v2, v2
	v_mul_lo_u32 v3, s1, v2
	v_mul_hi_u32 v3, v2, v3
	v_add_nc_u32_e32 v2, v2, v3
	v_mul_hi_u32 v2, v0, v2
	v_mul_lo_u32 v3, v2, s12
	v_add_nc_u32_e32 v4, 1, v2
	v_sub_nc_u32_e32 v3, v0, v3
	v_subrev_nc_u32_e32 v5, s12, v3
	v_cmp_le_u32_e32 vcc_lo, s12, v3
	v_cndmask_b32_e32 v3, v3, v5, vcc_lo
	v_cndmask_b32_e32 v2, v2, v4, vcc_lo
	v_mov_b32_e32 v5, 0
	v_cmp_le_u32_e32 vcc_lo, s12, v3
	v_add_nc_u32_e32 v4, 1, v2
	v_cndmask_b32_e32 v4, v2, v4, vcc_lo
.LBB8_5:
	s_or_b32 exec_lo, exec_lo, s0
	v_or_b32_e32 v3, s37, v5
	v_mov_b32_e32 v2, 0
	v_cmp_ne_u64_e32 vcc_lo, 0, v[2:3]
                                        ; implicit-def: $vgpr2_vgpr3
	s_and_saveexec_b32 s0, vcc_lo
	s_xor_b32 s1, exec_lo, s0
	s_cbranch_execz .LBB8_7
; %bb.6:
	s_ashr_i32 s2, s37, 31
	v_ashrrev_i32_e32 v10, 31, v5
	s_add_u32 s6, s36, s2
	s_mov_b32 s3, s2
	s_addc_u32 s7, s37, s2
	s_xor_b64 s[6:7], s[6:7], s[2:3]
	v_add_co_u32 v6, vcc_lo, v4, v10
	v_cvt_f32_u32_e32 v2, s6
	v_cvt_f32_u32_e32 v3, s7
	s_sub_u32 s10, 0, s6
	s_subb_u32 s11, 0, s7
	v_add_co_ci_u32_e64 v7, null, v5, v10, vcc_lo
	v_fmamk_f32 v2, v3, 0x4f800000, v2
	v_xor_b32_e32 v11, v6, v10
	v_xor_b32_e32 v12, v7, v10
	v_rcp_f32_e32 v2, v2
	v_mul_f32_e32 v2, 0x5f7ffffc, v2
	v_mul_f32_e32 v3, 0x2f800000, v2
	v_trunc_f32_e32 v3, v3
	v_fmamk_f32 v2, v3, 0xcf800000, v2
	v_cvt_u32_f32_e32 v3, v3
	v_cvt_u32_f32_e32 v2, v2
	v_readfirstlane_b32 s0, v3
	v_readfirstlane_b32 s3, v2
	s_mul_i32 s33, s10, s0
	s_mul_hi_u32 s35, s10, s3
	s_mul_i32 s34, s11, s3
	s_add_i32 s33, s35, s33
	s_mul_i32 s40, s10, s3
	s_add_i32 s33, s33, s34
	s_mul_hi_u32 s35, s3, s40
	s_mul_i32 s42, s3, s33
	s_mul_hi_u32 s41, s0, s40
	s_mul_i32 s34, s0, s40
	s_mul_hi_u32 s40, s3, s33
	s_add_u32 s35, s35, s42
	s_addc_u32 s40, 0, s40
	s_mul_hi_u32 s43, s0, s33
	s_add_u32 s34, s35, s34
	s_mul_i32 s33, s0, s33
	s_addc_u32 s34, s40, s41
	s_addc_u32 s35, s43, 0
	s_add_u32 s33, s34, s33
	s_addc_u32 s34, 0, s35
	s_add_u32 s3, s3, s33
	s_cselect_b32 s33, -1, 0
	s_mul_hi_u32 s35, s10, s3
	s_cmp_lg_u32 s33, 0
	s_mul_i32 s33, s10, s3
	s_addc_u32 s0, s0, s34
	s_mul_i32 s11, s11, s3
	s_mul_i32 s10, s10, s0
	s_mul_hi_u32 s34, s3, s33
	s_add_i32 s10, s35, s10
	s_mul_hi_u32 s35, s0, s33
	s_add_i32 s10, s10, s11
	s_mul_i32 s11, s0, s33
	s_mul_i32 s41, s3, s10
	s_mul_hi_u32 s40, s3, s10
	s_add_u32 s34, s34, s41
	s_addc_u32 s40, 0, s40
	s_mul_hi_u32 s33, s0, s10
	s_add_u32 s11, s34, s11
	s_mul_i32 s10, s0, s10
	s_addc_u32 s11, s40, s35
	s_addc_u32 s33, s33, 0
	s_add_u32 s10, s11, s10
	s_addc_u32 s11, 0, s33
	s_add_u32 s3, s3, s10
	s_cselect_b32 s10, -1, 0
	v_mul_hi_u32 v13, v11, s3
	s_cmp_lg_u32 s10, 0
	v_mad_u64_u32 v[6:7], null, v12, s3, 0
	s_addc_u32 s0, s0, s11
	v_mad_u64_u32 v[2:3], null, v11, s0, 0
	v_mad_u64_u32 v[8:9], null, v12, s0, 0
	v_add_co_u32 v2, vcc_lo, v13, v2
	v_add_co_ci_u32_e64 v3, null, 0, v3, vcc_lo
	v_add_co_u32 v2, vcc_lo, v2, v6
	v_add_co_ci_u32_e32 v2, vcc_lo, v3, v7, vcc_lo
	v_add_co_ci_u32_e32 v3, vcc_lo, 0, v9, vcc_lo
	v_add_co_u32 v6, vcc_lo, v2, v8
	v_add_co_ci_u32_e64 v7, null, 0, v3, vcc_lo
	v_mul_lo_u32 v8, s7, v6
	v_mad_u64_u32 v[2:3], null, s6, v6, 0
	v_mul_lo_u32 v9, s6, v7
	v_sub_co_u32 v2, vcc_lo, v11, v2
	v_add3_u32 v3, v3, v9, v8
	v_add_co_u32 v9, s0, v6, 2
	v_add_co_ci_u32_e64 v11, null, 0, v7, s0
	v_sub_nc_u32_e32 v8, v12, v3
	v_sub_co_u32 v13, s0, v2, s6
	v_sub_co_ci_u32_e64 v3, null, v12, v3, vcc_lo
	v_subrev_co_ci_u32_e64 v8, null, s7, v8, vcc_lo
	v_cmp_le_u32_e32 vcc_lo, s6, v13
	v_subrev_co_ci_u32_e64 v8, null, 0, v8, s0
	v_cndmask_b32_e64 v12, 0, -1, vcc_lo
	v_cmp_le_u32_e32 vcc_lo, s7, v8
	v_cndmask_b32_e64 v13, 0, -1, vcc_lo
	v_cmp_le_u32_e32 vcc_lo, s6, v2
	v_cndmask_b32_e64 v2, 0, -1, vcc_lo
	v_cmp_le_u32_e32 vcc_lo, s7, v3
	v_cndmask_b32_e64 v14, 0, -1, vcc_lo
	v_cmp_eq_u32_e32 vcc_lo, s7, v8
	v_cndmask_b32_e32 v8, v13, v12, vcc_lo
	v_add_co_u32 v12, vcc_lo, v6, 1
	v_add_co_ci_u32_e64 v13, null, 0, v7, vcc_lo
	v_cmp_eq_u32_e32 vcc_lo, s7, v3
	v_cndmask_b32_e32 v2, v14, v2, vcc_lo
	v_cmp_ne_u32_e32 vcc_lo, 0, v8
	v_xor_b32_e32 v8, s2, v10
	v_cmp_ne_u32_e64 s0, 0, v2
	v_cndmask_b32_e32 v2, v12, v9, vcc_lo
	v_cndmask_b32_e32 v3, v13, v11, vcc_lo
	v_cndmask_b32_e64 v2, v6, v2, s0
	v_cndmask_b32_e64 v3, v7, v3, s0
	v_xor_b32_e32 v2, v2, v8
	v_xor_b32_e32 v3, v3, v8
	v_sub_co_u32 v2, vcc_lo, v2, v8
	v_sub_co_ci_u32_e64 v3, null, v3, v8, vcc_lo
.LBB8_7:
	s_andn2_saveexec_b32 s0, s1
	s_cbranch_execz .LBB8_9
; %bb.8:
	v_cvt_f32_u32_e32 v2, s36
	s_sub_i32 s1, 0, s36
	v_rcp_iflag_f32_e32 v2, v2
	v_mul_f32_e32 v2, 0x4f7ffffe, v2
	v_cvt_u32_f32_e32 v2, v2
	v_mul_lo_u32 v3, s1, v2
	v_mul_hi_u32 v3, v2, v3
	v_add_nc_u32_e32 v2, v2, v3
	v_mul_hi_u32 v2, v4, v2
	v_mul_lo_u32 v3, v2, s36
	v_add_nc_u32_e32 v6, 1, v2
	v_sub_nc_u32_e32 v3, v4, v3
	v_subrev_nc_u32_e32 v7, s36, v3
	v_cmp_le_u32_e32 vcc_lo, s36, v3
	v_cndmask_b32_e32 v3, v3, v7, vcc_lo
	v_cndmask_b32_e32 v2, v2, v6, vcc_lo
	v_cmp_le_u32_e32 vcc_lo, s36, v3
	v_add_nc_u32_e32 v6, 1, v2
	v_mov_b32_e32 v3, 0
	v_cndmask_b32_e32 v2, v2, v6, vcc_lo
.LBB8_9:
	s_or_b32 exec_lo, exec_lo, s0
	s_add_u32 s0, s36, 1
	s_addc_u32 s1, s37, 0
	s_mul_hi_u32 s2, s22, s0
	s_mul_i32 s1, s22, s1
	v_mul_lo_u32 v6, v3, s36
	s_add_i32 s1, s2, s1
	s_mul_i32 s2, s23, s0
	s_mul_i32 s0, s22, s0
	s_add_i32 s1, s1, s2
	v_mul_lo_u32 v7, v2, s37
	v_mad_u64_u32 v[8:9], null, v2, s36, 0
	v_mul_lo_u32 v12, s0, v3
	v_mad_u64_u32 v[10:11], null, s0, v2, 0
	v_mul_lo_u32 v13, s1, v2
	s_load_dword s1, s[4:5], 0x0
	v_mul_lo_u32 v14, v5, s12
	v_add3_u32 v9, v9, v7, v6
	v_sub_co_u32 v6, vcc_lo, v4, v8
	v_mul_lo_u32 v15, v4, s13
	s_mov_b32 s6, exec_lo
	v_add3_u32 v11, v11, v12, v13
	v_sub_co_ci_u32_e64 v7, null, v5, v9, vcc_lo
	v_mad_u64_u32 v[4:5], null, v4, s12, 0
	v_lshlrev_b64 v[12:13], 2, v[10:11]
	v_lshlrev_b64 v[10:11], 2, v[6:7]
	s_waitcnt lgkmcnt(0)
	v_add_co_u32 v12, vcc_lo, s30, v12
	v_add_co_ci_u32_e64 v13, null, s31, v13, vcc_lo
	v_add3_u32 v5, v5, v15, v14
	v_add_co_u32 v12, vcc_lo, v12, v10
	v_add_co_ci_u32_e64 v13, null, v13, v11, vcc_lo
	v_mov_b32_e32 v15, s9
	v_mov_b32_e32 v14, s8
	global_load_dwordx2 v[12:13], v[12:13], off
	s_waitcnt vmcnt(0)
	v_cmpx_lt_i32_e64 v12, v13
	s_cbranch_execz .LBB8_28
; %bb.10:
	v_mul_lo_u32 v18, v3, s16
	v_mul_lo_u32 v19, v2, s17
	v_mad_u64_u32 v[14:15], null, v2, s16, 0
	v_ashrrev_i32_e32 v17, 31, v12
	v_mov_b32_e32 v16, v12
	s_cmp_lg_u32 s1, 0
	s_cselect_b32 s7, -1, 0
	s_and_b32 s0, s1, -3
	v_add3_u32 v15, v15, v19, v18
	v_lshlrev_b64 v[16:17], 3, v[16:17]
	s_cmp_lg_u32 s0, 1
	v_lshlrev_b64 v[14:15], 3, v[14:15]
	v_add_co_u32 v16, vcc_lo, v14, v16
	v_add_co_ci_u32_e64 v17, null, v15, v17, vcc_lo
	v_lshlrev_b64 v[14:15], 3, v[0:1]
	v_mul_lo_u32 v19, s15, v16
	v_mul_lo_u32 v18, s14, v17
	v_mad_u64_u32 v[14:15], null, s14, v16, v[14:15]
	v_lshlrev_b64 v[16:17], 3, v[4:5]
	v_add3_u32 v15, v19, v15, v18
	v_sub_co_u32 v14, vcc_lo, v14, v16
	v_mov_b32_e32 v19, s9
	v_mov_b32_e32 v18, s8
	v_sub_co_ci_u32_e64 v15, null, v15, v17, vcc_lo
	v_add_co_u32 v16, vcc_lo, s26, v14
	s_mov_b32 s8, 0
	v_add_co_ci_u32_e64 v17, null, s27, v15, vcc_lo
	s_cselect_b32 s9, -1, 0
	s_lshl_b64 s[2:3], s[14:15], 3
	s_branch .LBB8_12
.LBB8_11:                               ;   in Loop: Header=BB8_12 Depth=1
	v_add_nc_u32_e32 v12, 1, v12
	v_add_co_u32 v16, s0, v16, s2
	v_mov_b32_e32 v19, v15
	v_add_co_ci_u32_e64 v17, null, s3, v17, s0
	v_cmp_ge_i32_e32 vcc_lo, v12, v13
	v_mov_b32_e32 v18, v14
	s_or_b32 s8, vcc_lo, s8
	s_andn2_b32 exec_lo, exec_lo, s8
	s_cbranch_execz .LBB8_27
.LBB8_12:                               ; =>This Inner Loop Header: Depth=1
	global_load_dwordx2 v[20:21], v[16:17], off
	s_and_b32 vcc_lo, exec_lo, s7
	s_cbranch_vccz .LBB8_25
; %bb.13:                               ;   in Loop: Header=BB8_12 Depth=1
	s_and_b32 vcc_lo, exec_lo, s9
	s_mov_b32 s0, -1
                                        ; implicit-def: $vgpr14_vgpr15
	s_cbranch_vccz .LBB8_22
; %bb.14:                               ;   in Loop: Header=BB8_12 Depth=1
	s_cmp_lt_i32 s1, 4
                                        ; implicit-def: $vgpr14_vgpr15
	s_cbranch_scc1 .LBB8_18
; %bb.15:                               ;   in Loop: Header=BB8_12 Depth=1
	v_mov_b32_e32 v14, v18
	v_mov_b32_e32 v15, v19
	s_cmp_eq_u32 s1, 4
	s_cbranch_scc0 .LBB8_17
; %bb.16:                               ;   in Loop: Header=BB8_12 Depth=1
	s_waitcnt vmcnt(0)
	v_mul_f64 v[14:15], v[20:21], v[18:19]
.LBB8_17:                               ;   in Loop: Header=BB8_12 Depth=1
	s_mov_b32 s0, 0
.LBB8_18:                               ;   in Loop: Header=BB8_12 Depth=1
	s_andn2_b32 vcc_lo, exec_lo, s0
	s_cbranch_vccnz .LBB8_21
; %bb.19:                               ;   in Loop: Header=BB8_12 Depth=1
	v_mov_b32_e32 v14, v18
	v_mov_b32_e32 v15, v19
	s_cmp_lg_u32 s1, 2
	s_cbranch_scc1 .LBB8_21
; %bb.20:                               ;   in Loop: Header=BB8_12 Depth=1
	s_waitcnt vmcnt(0)
	v_cmp_u_f64_e32 vcc_lo, v[20:21], v[20:21]
	v_cmp_lt_f64_e64 s0, v[20:21], v[18:19]
	s_or_b32 vcc_lo, vcc_lo, s0
	v_cndmask_b32_e32 v15, v19, v21, vcc_lo
	v_cndmask_b32_e32 v14, v18, v20, vcc_lo
.LBB8_21:                               ;   in Loop: Header=BB8_12 Depth=1
	s_mov_b32 s0, 0
.LBB8_22:                               ;   in Loop: Header=BB8_12 Depth=1
	s_and_b32 vcc_lo, exec_lo, s0
	s_cbranch_vccz .LBB8_24
; %bb.23:                               ;   in Loop: Header=BB8_12 Depth=1
	s_waitcnt vmcnt(0)
	v_add_f64 v[14:15], v[20:21], v[18:19]
.LBB8_24:                               ;   in Loop: Header=BB8_12 Depth=1
	s_cbranch_execnz .LBB8_11
	s_branch .LBB8_26
.LBB8_25:                               ;   in Loop: Header=BB8_12 Depth=1
                                        ; implicit-def: $vgpr14_vgpr15
.LBB8_26:                               ;   in Loop: Header=BB8_12 Depth=1
	s_waitcnt vmcnt(0)
	v_cmp_u_f64_e32 vcc_lo, v[20:21], v[20:21]
	v_cmp_lt_f64_e64 s0, v[18:19], v[20:21]
	s_or_b32 vcc_lo, vcc_lo, s0
	v_cndmask_b32_e32 v15, v19, v21, vcc_lo
	v_cndmask_b32_e32 v14, v18, v20, vcc_lo
	s_branch .LBB8_11
.LBB8_27:
	s_or_b32 exec_lo, exec_lo, s8
.LBB8_28:
	s_or_b32 exec_lo, exec_lo, s6
	v_mul_lo_u32 v12, v9, s38
	v_mul_lo_u32 v13, v8, s39
	v_mad_u64_u32 v[8:9], null, v8, s38, 0
	s_mov_b32 s0, exec_lo
	v_add3_u32 v9, v9, v13, v12
	v_lshlrev_b64 v[8:9], 2, v[8:9]
	v_add_co_u32 v8, vcc_lo, s28, v8
	v_add_co_ci_u32_e64 v9, null, s29, v9, vcc_lo
	v_add_co_u32 v8, vcc_lo, v8, v10
	v_add_co_ci_u32_e64 v9, null, v9, v11, vcc_lo
	global_load_dword v10, v[8:9], off
	s_waitcnt vmcnt(0)
	v_cmpx_lt_i32_e32 -1, v10
	s_xor_b32 s2, exec_lo, s0
	s_cbranch_execz .LBB8_34
; %bb.29:
	s_load_dword s0, s[4:5], 0x38
	v_cmp_ne_u32_e32 vcc_lo, 0, v10
	v_mov_b32_e32 v8, 0
	v_mov_b32_e32 v9, 0x7ff80000
	s_waitcnt lgkmcnt(0)
	s_bitcmp1_b32 s0, 0
	s_cselect_b32 s0, -1, 0
	s_or_b32 s0, s0, vcc_lo
	s_cmp_lg_u32 s1, 1
	s_cselect_b32 s3, -1, 0
	s_or_b32 s0, s3, s0
	s_and_saveexec_b32 s1, s0
	s_cbranch_execz .LBB8_33
; %bb.30:
	v_cmp_o_f64_e32 vcc_lo, v[14:15], v[14:15]
	v_cmp_ne_u32_e64 s0, 0, v10
	s_xor_b32 s3, s3, -1
	s_and_b32 s0, s3, s0
	s_and_b32 s3, s0, vcc_lo
	s_and_saveexec_b32 s0, s3
	s_cbranch_execz .LBB8_32
; %bb.31:
	v_cvt_f64_u32_e32 v[8:9], v10
	v_div_scale_f64 v[10:11], null, v[8:9], v[8:9], v[14:15]
	v_rcp_f64_e32 v[12:13], v[10:11]
	v_fma_f64 v[16:17], -v[10:11], v[12:13], 1.0
	v_fma_f64 v[12:13], v[12:13], v[16:17], v[12:13]
	v_fma_f64 v[16:17], -v[10:11], v[12:13], 1.0
	v_fma_f64 v[12:13], v[12:13], v[16:17], v[12:13]
	v_div_scale_f64 v[16:17], vcc_lo, v[14:15], v[8:9], v[14:15]
	v_mul_f64 v[18:19], v[16:17], v[12:13]
	v_fma_f64 v[10:11], -v[10:11], v[18:19], v[16:17]
	v_div_fmas_f64 v[10:11], v[10:11], v[12:13], v[18:19]
	v_div_fixup_f64 v[14:15], v[10:11], v[8:9], v[14:15]
.LBB8_32:
	s_or_b32 exec_lo, exec_lo, s0
	v_mov_b32_e32 v8, v14
	v_mov_b32_e32 v9, v15
.LBB8_33:
	s_or_b32 exec_lo, exec_lo, s1
	s_mul_i32 s0, s20, s19
	s_mul_hi_u32 s1, s20, s18
	s_mul_i32 s3, s21, s18
	s_add_i32 s0, s1, s0
	s_mul_i32 s1, s20, s18
	s_add_i32 s0, s0, s3
	v_mul_lo_u32 v11, s1, v3
	v_mul_lo_u32 v10, s0, v2
	v_mad_u64_u32 v[2:3], null, s1, v2, 0
	v_mul_lo_u32 v12, v7, s18
	v_mul_lo_u32 v13, v6, s19
	v_mad_u64_u32 v[6:7], null, v6, s18, 0
	v_sub_co_u32 v0, vcc_lo, v0, v4
	v_add3_u32 v3, v3, v11, v10
	v_sub_co_ci_u32_e64 v1, null, v1, v5, vcc_lo
	v_add3_u32 v7, v7, v13, v12
	v_lshlrev_b64 v[2:3], 3, v[2:3]
	v_lshlrev_b64 v[0:1], 3, v[0:1]
	;; [unrolled: 1-line block ×3, first 2 shown]
	v_add_co_u32 v2, vcc_lo, s24, v2
	v_add_co_ci_u32_e64 v3, null, s25, v3, vcc_lo
	v_add_co_u32 v2, vcc_lo, v2, v4
	v_add_co_ci_u32_e64 v3, null, v3, v5, vcc_lo
	;; [unrolled: 2-line block ×3, first 2 shown]
	global_store_dwordx2 v[0:1], v[8:9], off
.LBB8_34:
	s_andn2_saveexec_b32 s0, s2
	s_cbranch_execnz .LBB8_36
.LBB8_35:
	s_endpgm
.LBB8_36:
	s_trap 2
	; divergent unreachable
	s_endpgm
	.section	.rodata,"a",@progbits
	.p2align	6, 0x0
	.amdhsa_kernel _ZN2at6native12_GLOBAL__N_129segment_reduce_forward_kernelIdiEEvNS0_13ReductionTypeEPT_PKS4_PKT0_SA_llbS4_lllllll
		.amdhsa_group_segment_fixed_size 0
		.amdhsa_private_segment_fixed_size 0
		.amdhsa_kernarg_size 384
		.amdhsa_user_sgpr_count 6
		.amdhsa_user_sgpr_private_segment_buffer 1
		.amdhsa_user_sgpr_dispatch_ptr 0
		.amdhsa_user_sgpr_queue_ptr 0
		.amdhsa_user_sgpr_kernarg_segment_ptr 1
		.amdhsa_user_sgpr_dispatch_id 0
		.amdhsa_user_sgpr_flat_scratch_init 0
		.amdhsa_user_sgpr_private_segment_size 0
		.amdhsa_wavefront_size32 1
		.amdhsa_uses_dynamic_stack 0
		.amdhsa_system_sgpr_private_segment_wavefront_offset 0
		.amdhsa_system_sgpr_workgroup_id_x 1
		.amdhsa_system_sgpr_workgroup_id_y 0
		.amdhsa_system_sgpr_workgroup_id_z 0
		.amdhsa_system_sgpr_workgroup_info 0
		.amdhsa_system_vgpr_workitem_id 0
		.amdhsa_next_free_vgpr 22
		.amdhsa_next_free_sgpr 44
		.amdhsa_reserve_vcc 1
		.amdhsa_reserve_flat_scratch 0
		.amdhsa_float_round_mode_32 0
		.amdhsa_float_round_mode_16_64 0
		.amdhsa_float_denorm_mode_32 3
		.amdhsa_float_denorm_mode_16_64 3
		.amdhsa_dx10_clamp 1
		.amdhsa_ieee_mode 1
		.amdhsa_fp16_overflow 0
		.amdhsa_workgroup_processor_mode 1
		.amdhsa_memory_ordered 1
		.amdhsa_forward_progress 1
		.amdhsa_shared_vgpr_count 0
		.amdhsa_exception_fp_ieee_invalid_op 0
		.amdhsa_exception_fp_denorm_src 0
		.amdhsa_exception_fp_ieee_div_zero 0
		.amdhsa_exception_fp_ieee_overflow 0
		.amdhsa_exception_fp_ieee_underflow 0
		.amdhsa_exception_fp_ieee_inexact 0
		.amdhsa_exception_int_div_zero 0
	.end_amdhsa_kernel
	.section	.text._ZN2at6native12_GLOBAL__N_129segment_reduce_forward_kernelIdiEEvNS0_13ReductionTypeEPT_PKS4_PKT0_SA_llbS4_lllllll,"axG",@progbits,_ZN2at6native12_GLOBAL__N_129segment_reduce_forward_kernelIdiEEvNS0_13ReductionTypeEPT_PKS4_PKT0_SA_llbS4_lllllll,comdat
.Lfunc_end8:
	.size	_ZN2at6native12_GLOBAL__N_129segment_reduce_forward_kernelIdiEEvNS0_13ReductionTypeEPT_PKS4_PKT0_SA_llbS4_lllllll, .Lfunc_end8-_ZN2at6native12_GLOBAL__N_129segment_reduce_forward_kernelIdiEEvNS0_13ReductionTypeEPT_PKS4_PKT0_SA_llbS4_lllllll
                                        ; -- End function
	.set _ZN2at6native12_GLOBAL__N_129segment_reduce_forward_kernelIdiEEvNS0_13ReductionTypeEPT_PKS4_PKT0_SA_llbS4_lllllll.num_vgpr, 22
	.set _ZN2at6native12_GLOBAL__N_129segment_reduce_forward_kernelIdiEEvNS0_13ReductionTypeEPT_PKS4_PKT0_SA_llbS4_lllllll.num_agpr, 0
	.set _ZN2at6native12_GLOBAL__N_129segment_reduce_forward_kernelIdiEEvNS0_13ReductionTypeEPT_PKS4_PKT0_SA_llbS4_lllllll.numbered_sgpr, 44
	.set _ZN2at6native12_GLOBAL__N_129segment_reduce_forward_kernelIdiEEvNS0_13ReductionTypeEPT_PKS4_PKT0_SA_llbS4_lllllll.num_named_barrier, 0
	.set _ZN2at6native12_GLOBAL__N_129segment_reduce_forward_kernelIdiEEvNS0_13ReductionTypeEPT_PKS4_PKT0_SA_llbS4_lllllll.private_seg_size, 0
	.set _ZN2at6native12_GLOBAL__N_129segment_reduce_forward_kernelIdiEEvNS0_13ReductionTypeEPT_PKS4_PKT0_SA_llbS4_lllllll.uses_vcc, 1
	.set _ZN2at6native12_GLOBAL__N_129segment_reduce_forward_kernelIdiEEvNS0_13ReductionTypeEPT_PKS4_PKT0_SA_llbS4_lllllll.uses_flat_scratch, 0
	.set _ZN2at6native12_GLOBAL__N_129segment_reduce_forward_kernelIdiEEvNS0_13ReductionTypeEPT_PKS4_PKT0_SA_llbS4_lllllll.has_dyn_sized_stack, 0
	.set _ZN2at6native12_GLOBAL__N_129segment_reduce_forward_kernelIdiEEvNS0_13ReductionTypeEPT_PKS4_PKT0_SA_llbS4_lllllll.has_recursion, 0
	.set _ZN2at6native12_GLOBAL__N_129segment_reduce_forward_kernelIdiEEvNS0_13ReductionTypeEPT_PKS4_PKT0_SA_llbS4_lllllll.has_indirect_call, 0
	.section	.AMDGPU.csdata,"",@progbits
; Kernel info:
; codeLenInByte = 2820
; TotalNumSgprs: 46
; NumVgprs: 22
; ScratchSize: 0
; MemoryBound: 0
; FloatMode: 240
; IeeeMode: 1
; LDSByteSize: 0 bytes/workgroup (compile time only)
; SGPRBlocks: 0
; VGPRBlocks: 2
; NumSGPRsForWavesPerEU: 46
; NumVGPRsForWavesPerEU: 22
; Occupancy: 16
; WaveLimiterHint : 0
; COMPUTE_PGM_RSRC2:SCRATCH_EN: 0
; COMPUTE_PGM_RSRC2:USER_SGPR: 6
; COMPUTE_PGM_RSRC2:TRAP_HANDLER: 0
; COMPUTE_PGM_RSRC2:TGID_X_EN: 1
; COMPUTE_PGM_RSRC2:TGID_Y_EN: 0
; COMPUTE_PGM_RSRC2:TGID_Z_EN: 0
; COMPUTE_PGM_RSRC2:TIDIG_COMP_CNT: 0
	.section	.text._ZN7rocprim17ROCPRIM_400000_NS6detail17trampoline_kernelINS0_14default_configENS1_32segmented_reduce_config_selectorIdEEZNS1_21segmented_reduce_implIS3_PKdPdPKidN6hipcub16HIPCUB_304000_NS6detail27convert_result_type_wrapperIS8_S9_N2at6native12_GLOBAL__N_19CustomMaxEEEEE10hipError_tPvRmT0_T1_jT2_SQ_T4_T3_P12ihipStream_tbEUlT_E_NS1_11comp_targetILNS1_3genE0ELNS1_11target_archE4294967295ELNS1_3gpuE0ELNS1_3repE0EEENS1_30default_config_static_selectorELNS0_4arch9wavefront6targetE0EEEvSP_,"axG",@progbits,_ZN7rocprim17ROCPRIM_400000_NS6detail17trampoline_kernelINS0_14default_configENS1_32segmented_reduce_config_selectorIdEEZNS1_21segmented_reduce_implIS3_PKdPdPKidN6hipcub16HIPCUB_304000_NS6detail27convert_result_type_wrapperIS8_S9_N2at6native12_GLOBAL__N_19CustomMaxEEEEE10hipError_tPvRmT0_T1_jT2_SQ_T4_T3_P12ihipStream_tbEUlT_E_NS1_11comp_targetILNS1_3genE0ELNS1_11target_archE4294967295ELNS1_3gpuE0ELNS1_3repE0EEENS1_30default_config_static_selectorELNS0_4arch9wavefront6targetE0EEEvSP_,comdat
	.globl	_ZN7rocprim17ROCPRIM_400000_NS6detail17trampoline_kernelINS0_14default_configENS1_32segmented_reduce_config_selectorIdEEZNS1_21segmented_reduce_implIS3_PKdPdPKidN6hipcub16HIPCUB_304000_NS6detail27convert_result_type_wrapperIS8_S9_N2at6native12_GLOBAL__N_19CustomMaxEEEEE10hipError_tPvRmT0_T1_jT2_SQ_T4_T3_P12ihipStream_tbEUlT_E_NS1_11comp_targetILNS1_3genE0ELNS1_11target_archE4294967295ELNS1_3gpuE0ELNS1_3repE0EEENS1_30default_config_static_selectorELNS0_4arch9wavefront6targetE0EEEvSP_ ; -- Begin function _ZN7rocprim17ROCPRIM_400000_NS6detail17trampoline_kernelINS0_14default_configENS1_32segmented_reduce_config_selectorIdEEZNS1_21segmented_reduce_implIS3_PKdPdPKidN6hipcub16HIPCUB_304000_NS6detail27convert_result_type_wrapperIS8_S9_N2at6native12_GLOBAL__N_19CustomMaxEEEEE10hipError_tPvRmT0_T1_jT2_SQ_T4_T3_P12ihipStream_tbEUlT_E_NS1_11comp_targetILNS1_3genE0ELNS1_11target_archE4294967295ELNS1_3gpuE0ELNS1_3repE0EEENS1_30default_config_static_selectorELNS0_4arch9wavefront6targetE0EEEvSP_
	.p2align	8
	.type	_ZN7rocprim17ROCPRIM_400000_NS6detail17trampoline_kernelINS0_14default_configENS1_32segmented_reduce_config_selectorIdEEZNS1_21segmented_reduce_implIS3_PKdPdPKidN6hipcub16HIPCUB_304000_NS6detail27convert_result_type_wrapperIS8_S9_N2at6native12_GLOBAL__N_19CustomMaxEEEEE10hipError_tPvRmT0_T1_jT2_SQ_T4_T3_P12ihipStream_tbEUlT_E_NS1_11comp_targetILNS1_3genE0ELNS1_11target_archE4294967295ELNS1_3gpuE0ELNS1_3repE0EEENS1_30default_config_static_selectorELNS0_4arch9wavefront6targetE0EEEvSP_,@function
_ZN7rocprim17ROCPRIM_400000_NS6detail17trampoline_kernelINS0_14default_configENS1_32segmented_reduce_config_selectorIdEEZNS1_21segmented_reduce_implIS3_PKdPdPKidN6hipcub16HIPCUB_304000_NS6detail27convert_result_type_wrapperIS8_S9_N2at6native12_GLOBAL__N_19CustomMaxEEEEE10hipError_tPvRmT0_T1_jT2_SQ_T4_T3_P12ihipStream_tbEUlT_E_NS1_11comp_targetILNS1_3genE0ELNS1_11target_archE4294967295ELNS1_3gpuE0ELNS1_3repE0EEENS1_30default_config_static_selectorELNS0_4arch9wavefront6targetE0EEEvSP_: ; @_ZN7rocprim17ROCPRIM_400000_NS6detail17trampoline_kernelINS0_14default_configENS1_32segmented_reduce_config_selectorIdEEZNS1_21segmented_reduce_implIS3_PKdPdPKidN6hipcub16HIPCUB_304000_NS6detail27convert_result_type_wrapperIS8_S9_N2at6native12_GLOBAL__N_19CustomMaxEEEEE10hipError_tPvRmT0_T1_jT2_SQ_T4_T3_P12ihipStream_tbEUlT_E_NS1_11comp_targetILNS1_3genE0ELNS1_11target_archE4294967295ELNS1_3gpuE0ELNS1_3repE0EEENS1_30default_config_static_selectorELNS0_4arch9wavefront6targetE0EEEvSP_
; %bb.0:
	.section	.rodata,"a",@progbits
	.p2align	6, 0x0
	.amdhsa_kernel _ZN7rocprim17ROCPRIM_400000_NS6detail17trampoline_kernelINS0_14default_configENS1_32segmented_reduce_config_selectorIdEEZNS1_21segmented_reduce_implIS3_PKdPdPKidN6hipcub16HIPCUB_304000_NS6detail27convert_result_type_wrapperIS8_S9_N2at6native12_GLOBAL__N_19CustomMaxEEEEE10hipError_tPvRmT0_T1_jT2_SQ_T4_T3_P12ihipStream_tbEUlT_E_NS1_11comp_targetILNS1_3genE0ELNS1_11target_archE4294967295ELNS1_3gpuE0ELNS1_3repE0EEENS1_30default_config_static_selectorELNS0_4arch9wavefront6targetE0EEEvSP_
		.amdhsa_group_segment_fixed_size 0
		.amdhsa_private_segment_fixed_size 0
		.amdhsa_kernarg_size 56
		.amdhsa_user_sgpr_count 6
		.amdhsa_user_sgpr_private_segment_buffer 1
		.amdhsa_user_sgpr_dispatch_ptr 0
		.amdhsa_user_sgpr_queue_ptr 0
		.amdhsa_user_sgpr_kernarg_segment_ptr 1
		.amdhsa_user_sgpr_dispatch_id 0
		.amdhsa_user_sgpr_flat_scratch_init 0
		.amdhsa_user_sgpr_private_segment_size 0
		.amdhsa_wavefront_size32 1
		.amdhsa_uses_dynamic_stack 0
		.amdhsa_system_sgpr_private_segment_wavefront_offset 0
		.amdhsa_system_sgpr_workgroup_id_x 1
		.amdhsa_system_sgpr_workgroup_id_y 0
		.amdhsa_system_sgpr_workgroup_id_z 0
		.amdhsa_system_sgpr_workgroup_info 0
		.amdhsa_system_vgpr_workitem_id 0
		.amdhsa_next_free_vgpr 1
		.amdhsa_next_free_sgpr 1
		.amdhsa_reserve_vcc 0
		.amdhsa_reserve_flat_scratch 0
		.amdhsa_float_round_mode_32 0
		.amdhsa_float_round_mode_16_64 0
		.amdhsa_float_denorm_mode_32 3
		.amdhsa_float_denorm_mode_16_64 3
		.amdhsa_dx10_clamp 1
		.amdhsa_ieee_mode 1
		.amdhsa_fp16_overflow 0
		.amdhsa_workgroup_processor_mode 1
		.amdhsa_memory_ordered 1
		.amdhsa_forward_progress 1
		.amdhsa_shared_vgpr_count 0
		.amdhsa_exception_fp_ieee_invalid_op 0
		.amdhsa_exception_fp_denorm_src 0
		.amdhsa_exception_fp_ieee_div_zero 0
		.amdhsa_exception_fp_ieee_overflow 0
		.amdhsa_exception_fp_ieee_underflow 0
		.amdhsa_exception_fp_ieee_inexact 0
		.amdhsa_exception_int_div_zero 0
	.end_amdhsa_kernel
	.section	.text._ZN7rocprim17ROCPRIM_400000_NS6detail17trampoline_kernelINS0_14default_configENS1_32segmented_reduce_config_selectorIdEEZNS1_21segmented_reduce_implIS3_PKdPdPKidN6hipcub16HIPCUB_304000_NS6detail27convert_result_type_wrapperIS8_S9_N2at6native12_GLOBAL__N_19CustomMaxEEEEE10hipError_tPvRmT0_T1_jT2_SQ_T4_T3_P12ihipStream_tbEUlT_E_NS1_11comp_targetILNS1_3genE0ELNS1_11target_archE4294967295ELNS1_3gpuE0ELNS1_3repE0EEENS1_30default_config_static_selectorELNS0_4arch9wavefront6targetE0EEEvSP_,"axG",@progbits,_ZN7rocprim17ROCPRIM_400000_NS6detail17trampoline_kernelINS0_14default_configENS1_32segmented_reduce_config_selectorIdEEZNS1_21segmented_reduce_implIS3_PKdPdPKidN6hipcub16HIPCUB_304000_NS6detail27convert_result_type_wrapperIS8_S9_N2at6native12_GLOBAL__N_19CustomMaxEEEEE10hipError_tPvRmT0_T1_jT2_SQ_T4_T3_P12ihipStream_tbEUlT_E_NS1_11comp_targetILNS1_3genE0ELNS1_11target_archE4294967295ELNS1_3gpuE0ELNS1_3repE0EEENS1_30default_config_static_selectorELNS0_4arch9wavefront6targetE0EEEvSP_,comdat
.Lfunc_end9:
	.size	_ZN7rocprim17ROCPRIM_400000_NS6detail17trampoline_kernelINS0_14default_configENS1_32segmented_reduce_config_selectorIdEEZNS1_21segmented_reduce_implIS3_PKdPdPKidN6hipcub16HIPCUB_304000_NS6detail27convert_result_type_wrapperIS8_S9_N2at6native12_GLOBAL__N_19CustomMaxEEEEE10hipError_tPvRmT0_T1_jT2_SQ_T4_T3_P12ihipStream_tbEUlT_E_NS1_11comp_targetILNS1_3genE0ELNS1_11target_archE4294967295ELNS1_3gpuE0ELNS1_3repE0EEENS1_30default_config_static_selectorELNS0_4arch9wavefront6targetE0EEEvSP_, .Lfunc_end9-_ZN7rocprim17ROCPRIM_400000_NS6detail17trampoline_kernelINS0_14default_configENS1_32segmented_reduce_config_selectorIdEEZNS1_21segmented_reduce_implIS3_PKdPdPKidN6hipcub16HIPCUB_304000_NS6detail27convert_result_type_wrapperIS8_S9_N2at6native12_GLOBAL__N_19CustomMaxEEEEE10hipError_tPvRmT0_T1_jT2_SQ_T4_T3_P12ihipStream_tbEUlT_E_NS1_11comp_targetILNS1_3genE0ELNS1_11target_archE4294967295ELNS1_3gpuE0ELNS1_3repE0EEENS1_30default_config_static_selectorELNS0_4arch9wavefront6targetE0EEEvSP_
                                        ; -- End function
	.set _ZN7rocprim17ROCPRIM_400000_NS6detail17trampoline_kernelINS0_14default_configENS1_32segmented_reduce_config_selectorIdEEZNS1_21segmented_reduce_implIS3_PKdPdPKidN6hipcub16HIPCUB_304000_NS6detail27convert_result_type_wrapperIS8_S9_N2at6native12_GLOBAL__N_19CustomMaxEEEEE10hipError_tPvRmT0_T1_jT2_SQ_T4_T3_P12ihipStream_tbEUlT_E_NS1_11comp_targetILNS1_3genE0ELNS1_11target_archE4294967295ELNS1_3gpuE0ELNS1_3repE0EEENS1_30default_config_static_selectorELNS0_4arch9wavefront6targetE0EEEvSP_.num_vgpr, 0
	.set _ZN7rocprim17ROCPRIM_400000_NS6detail17trampoline_kernelINS0_14default_configENS1_32segmented_reduce_config_selectorIdEEZNS1_21segmented_reduce_implIS3_PKdPdPKidN6hipcub16HIPCUB_304000_NS6detail27convert_result_type_wrapperIS8_S9_N2at6native12_GLOBAL__N_19CustomMaxEEEEE10hipError_tPvRmT0_T1_jT2_SQ_T4_T3_P12ihipStream_tbEUlT_E_NS1_11comp_targetILNS1_3genE0ELNS1_11target_archE4294967295ELNS1_3gpuE0ELNS1_3repE0EEENS1_30default_config_static_selectorELNS0_4arch9wavefront6targetE0EEEvSP_.num_agpr, 0
	.set _ZN7rocprim17ROCPRIM_400000_NS6detail17trampoline_kernelINS0_14default_configENS1_32segmented_reduce_config_selectorIdEEZNS1_21segmented_reduce_implIS3_PKdPdPKidN6hipcub16HIPCUB_304000_NS6detail27convert_result_type_wrapperIS8_S9_N2at6native12_GLOBAL__N_19CustomMaxEEEEE10hipError_tPvRmT0_T1_jT2_SQ_T4_T3_P12ihipStream_tbEUlT_E_NS1_11comp_targetILNS1_3genE0ELNS1_11target_archE4294967295ELNS1_3gpuE0ELNS1_3repE0EEENS1_30default_config_static_selectorELNS0_4arch9wavefront6targetE0EEEvSP_.numbered_sgpr, 0
	.set _ZN7rocprim17ROCPRIM_400000_NS6detail17trampoline_kernelINS0_14default_configENS1_32segmented_reduce_config_selectorIdEEZNS1_21segmented_reduce_implIS3_PKdPdPKidN6hipcub16HIPCUB_304000_NS6detail27convert_result_type_wrapperIS8_S9_N2at6native12_GLOBAL__N_19CustomMaxEEEEE10hipError_tPvRmT0_T1_jT2_SQ_T4_T3_P12ihipStream_tbEUlT_E_NS1_11comp_targetILNS1_3genE0ELNS1_11target_archE4294967295ELNS1_3gpuE0ELNS1_3repE0EEENS1_30default_config_static_selectorELNS0_4arch9wavefront6targetE0EEEvSP_.num_named_barrier, 0
	.set _ZN7rocprim17ROCPRIM_400000_NS6detail17trampoline_kernelINS0_14default_configENS1_32segmented_reduce_config_selectorIdEEZNS1_21segmented_reduce_implIS3_PKdPdPKidN6hipcub16HIPCUB_304000_NS6detail27convert_result_type_wrapperIS8_S9_N2at6native12_GLOBAL__N_19CustomMaxEEEEE10hipError_tPvRmT0_T1_jT2_SQ_T4_T3_P12ihipStream_tbEUlT_E_NS1_11comp_targetILNS1_3genE0ELNS1_11target_archE4294967295ELNS1_3gpuE0ELNS1_3repE0EEENS1_30default_config_static_selectorELNS0_4arch9wavefront6targetE0EEEvSP_.private_seg_size, 0
	.set _ZN7rocprim17ROCPRIM_400000_NS6detail17trampoline_kernelINS0_14default_configENS1_32segmented_reduce_config_selectorIdEEZNS1_21segmented_reduce_implIS3_PKdPdPKidN6hipcub16HIPCUB_304000_NS6detail27convert_result_type_wrapperIS8_S9_N2at6native12_GLOBAL__N_19CustomMaxEEEEE10hipError_tPvRmT0_T1_jT2_SQ_T4_T3_P12ihipStream_tbEUlT_E_NS1_11comp_targetILNS1_3genE0ELNS1_11target_archE4294967295ELNS1_3gpuE0ELNS1_3repE0EEENS1_30default_config_static_selectorELNS0_4arch9wavefront6targetE0EEEvSP_.uses_vcc, 0
	.set _ZN7rocprim17ROCPRIM_400000_NS6detail17trampoline_kernelINS0_14default_configENS1_32segmented_reduce_config_selectorIdEEZNS1_21segmented_reduce_implIS3_PKdPdPKidN6hipcub16HIPCUB_304000_NS6detail27convert_result_type_wrapperIS8_S9_N2at6native12_GLOBAL__N_19CustomMaxEEEEE10hipError_tPvRmT0_T1_jT2_SQ_T4_T3_P12ihipStream_tbEUlT_E_NS1_11comp_targetILNS1_3genE0ELNS1_11target_archE4294967295ELNS1_3gpuE0ELNS1_3repE0EEENS1_30default_config_static_selectorELNS0_4arch9wavefront6targetE0EEEvSP_.uses_flat_scratch, 0
	.set _ZN7rocprim17ROCPRIM_400000_NS6detail17trampoline_kernelINS0_14default_configENS1_32segmented_reduce_config_selectorIdEEZNS1_21segmented_reduce_implIS3_PKdPdPKidN6hipcub16HIPCUB_304000_NS6detail27convert_result_type_wrapperIS8_S9_N2at6native12_GLOBAL__N_19CustomMaxEEEEE10hipError_tPvRmT0_T1_jT2_SQ_T4_T3_P12ihipStream_tbEUlT_E_NS1_11comp_targetILNS1_3genE0ELNS1_11target_archE4294967295ELNS1_3gpuE0ELNS1_3repE0EEENS1_30default_config_static_selectorELNS0_4arch9wavefront6targetE0EEEvSP_.has_dyn_sized_stack, 0
	.set _ZN7rocprim17ROCPRIM_400000_NS6detail17trampoline_kernelINS0_14default_configENS1_32segmented_reduce_config_selectorIdEEZNS1_21segmented_reduce_implIS3_PKdPdPKidN6hipcub16HIPCUB_304000_NS6detail27convert_result_type_wrapperIS8_S9_N2at6native12_GLOBAL__N_19CustomMaxEEEEE10hipError_tPvRmT0_T1_jT2_SQ_T4_T3_P12ihipStream_tbEUlT_E_NS1_11comp_targetILNS1_3genE0ELNS1_11target_archE4294967295ELNS1_3gpuE0ELNS1_3repE0EEENS1_30default_config_static_selectorELNS0_4arch9wavefront6targetE0EEEvSP_.has_recursion, 0
	.set _ZN7rocprim17ROCPRIM_400000_NS6detail17trampoline_kernelINS0_14default_configENS1_32segmented_reduce_config_selectorIdEEZNS1_21segmented_reduce_implIS3_PKdPdPKidN6hipcub16HIPCUB_304000_NS6detail27convert_result_type_wrapperIS8_S9_N2at6native12_GLOBAL__N_19CustomMaxEEEEE10hipError_tPvRmT0_T1_jT2_SQ_T4_T3_P12ihipStream_tbEUlT_E_NS1_11comp_targetILNS1_3genE0ELNS1_11target_archE4294967295ELNS1_3gpuE0ELNS1_3repE0EEENS1_30default_config_static_selectorELNS0_4arch9wavefront6targetE0EEEvSP_.has_indirect_call, 0
	.section	.AMDGPU.csdata,"",@progbits
; Kernel info:
; codeLenInByte = 0
; TotalNumSgprs: 0
; NumVgprs: 0
; ScratchSize: 0
; MemoryBound: 0
; FloatMode: 240
; IeeeMode: 1
; LDSByteSize: 0 bytes/workgroup (compile time only)
; SGPRBlocks: 0
; VGPRBlocks: 0
; NumSGPRsForWavesPerEU: 1
; NumVGPRsForWavesPerEU: 1
; Occupancy: 16
; WaveLimiterHint : 0
; COMPUTE_PGM_RSRC2:SCRATCH_EN: 0
; COMPUTE_PGM_RSRC2:USER_SGPR: 6
; COMPUTE_PGM_RSRC2:TRAP_HANDLER: 0
; COMPUTE_PGM_RSRC2:TGID_X_EN: 1
; COMPUTE_PGM_RSRC2:TGID_Y_EN: 0
; COMPUTE_PGM_RSRC2:TGID_Z_EN: 0
; COMPUTE_PGM_RSRC2:TIDIG_COMP_CNT: 0
	.section	.text._ZN7rocprim17ROCPRIM_400000_NS6detail17trampoline_kernelINS0_14default_configENS1_32segmented_reduce_config_selectorIdEEZNS1_21segmented_reduce_implIS3_PKdPdPKidN6hipcub16HIPCUB_304000_NS6detail27convert_result_type_wrapperIS8_S9_N2at6native12_GLOBAL__N_19CustomMaxEEEEE10hipError_tPvRmT0_T1_jT2_SQ_T4_T3_P12ihipStream_tbEUlT_E_NS1_11comp_targetILNS1_3genE5ELNS1_11target_archE942ELNS1_3gpuE9ELNS1_3repE0EEENS1_30default_config_static_selectorELNS0_4arch9wavefront6targetE0EEEvSP_,"axG",@progbits,_ZN7rocprim17ROCPRIM_400000_NS6detail17trampoline_kernelINS0_14default_configENS1_32segmented_reduce_config_selectorIdEEZNS1_21segmented_reduce_implIS3_PKdPdPKidN6hipcub16HIPCUB_304000_NS6detail27convert_result_type_wrapperIS8_S9_N2at6native12_GLOBAL__N_19CustomMaxEEEEE10hipError_tPvRmT0_T1_jT2_SQ_T4_T3_P12ihipStream_tbEUlT_E_NS1_11comp_targetILNS1_3genE5ELNS1_11target_archE942ELNS1_3gpuE9ELNS1_3repE0EEENS1_30default_config_static_selectorELNS0_4arch9wavefront6targetE0EEEvSP_,comdat
	.globl	_ZN7rocprim17ROCPRIM_400000_NS6detail17trampoline_kernelINS0_14default_configENS1_32segmented_reduce_config_selectorIdEEZNS1_21segmented_reduce_implIS3_PKdPdPKidN6hipcub16HIPCUB_304000_NS6detail27convert_result_type_wrapperIS8_S9_N2at6native12_GLOBAL__N_19CustomMaxEEEEE10hipError_tPvRmT0_T1_jT2_SQ_T4_T3_P12ihipStream_tbEUlT_E_NS1_11comp_targetILNS1_3genE5ELNS1_11target_archE942ELNS1_3gpuE9ELNS1_3repE0EEENS1_30default_config_static_selectorELNS0_4arch9wavefront6targetE0EEEvSP_ ; -- Begin function _ZN7rocprim17ROCPRIM_400000_NS6detail17trampoline_kernelINS0_14default_configENS1_32segmented_reduce_config_selectorIdEEZNS1_21segmented_reduce_implIS3_PKdPdPKidN6hipcub16HIPCUB_304000_NS6detail27convert_result_type_wrapperIS8_S9_N2at6native12_GLOBAL__N_19CustomMaxEEEEE10hipError_tPvRmT0_T1_jT2_SQ_T4_T3_P12ihipStream_tbEUlT_E_NS1_11comp_targetILNS1_3genE5ELNS1_11target_archE942ELNS1_3gpuE9ELNS1_3repE0EEENS1_30default_config_static_selectorELNS0_4arch9wavefront6targetE0EEEvSP_
	.p2align	8
	.type	_ZN7rocprim17ROCPRIM_400000_NS6detail17trampoline_kernelINS0_14default_configENS1_32segmented_reduce_config_selectorIdEEZNS1_21segmented_reduce_implIS3_PKdPdPKidN6hipcub16HIPCUB_304000_NS6detail27convert_result_type_wrapperIS8_S9_N2at6native12_GLOBAL__N_19CustomMaxEEEEE10hipError_tPvRmT0_T1_jT2_SQ_T4_T3_P12ihipStream_tbEUlT_E_NS1_11comp_targetILNS1_3genE5ELNS1_11target_archE942ELNS1_3gpuE9ELNS1_3repE0EEENS1_30default_config_static_selectorELNS0_4arch9wavefront6targetE0EEEvSP_,@function
_ZN7rocprim17ROCPRIM_400000_NS6detail17trampoline_kernelINS0_14default_configENS1_32segmented_reduce_config_selectorIdEEZNS1_21segmented_reduce_implIS3_PKdPdPKidN6hipcub16HIPCUB_304000_NS6detail27convert_result_type_wrapperIS8_S9_N2at6native12_GLOBAL__N_19CustomMaxEEEEE10hipError_tPvRmT0_T1_jT2_SQ_T4_T3_P12ihipStream_tbEUlT_E_NS1_11comp_targetILNS1_3genE5ELNS1_11target_archE942ELNS1_3gpuE9ELNS1_3repE0EEENS1_30default_config_static_selectorELNS0_4arch9wavefront6targetE0EEEvSP_: ; @_ZN7rocprim17ROCPRIM_400000_NS6detail17trampoline_kernelINS0_14default_configENS1_32segmented_reduce_config_selectorIdEEZNS1_21segmented_reduce_implIS3_PKdPdPKidN6hipcub16HIPCUB_304000_NS6detail27convert_result_type_wrapperIS8_S9_N2at6native12_GLOBAL__N_19CustomMaxEEEEE10hipError_tPvRmT0_T1_jT2_SQ_T4_T3_P12ihipStream_tbEUlT_E_NS1_11comp_targetILNS1_3genE5ELNS1_11target_archE942ELNS1_3gpuE9ELNS1_3repE0EEENS1_30default_config_static_selectorELNS0_4arch9wavefront6targetE0EEEvSP_
; %bb.0:
	.section	.rodata,"a",@progbits
	.p2align	6, 0x0
	.amdhsa_kernel _ZN7rocprim17ROCPRIM_400000_NS6detail17trampoline_kernelINS0_14default_configENS1_32segmented_reduce_config_selectorIdEEZNS1_21segmented_reduce_implIS3_PKdPdPKidN6hipcub16HIPCUB_304000_NS6detail27convert_result_type_wrapperIS8_S9_N2at6native12_GLOBAL__N_19CustomMaxEEEEE10hipError_tPvRmT0_T1_jT2_SQ_T4_T3_P12ihipStream_tbEUlT_E_NS1_11comp_targetILNS1_3genE5ELNS1_11target_archE942ELNS1_3gpuE9ELNS1_3repE0EEENS1_30default_config_static_selectorELNS0_4arch9wavefront6targetE0EEEvSP_
		.amdhsa_group_segment_fixed_size 0
		.amdhsa_private_segment_fixed_size 0
		.amdhsa_kernarg_size 56
		.amdhsa_user_sgpr_count 6
		.amdhsa_user_sgpr_private_segment_buffer 1
		.amdhsa_user_sgpr_dispatch_ptr 0
		.amdhsa_user_sgpr_queue_ptr 0
		.amdhsa_user_sgpr_kernarg_segment_ptr 1
		.amdhsa_user_sgpr_dispatch_id 0
		.amdhsa_user_sgpr_flat_scratch_init 0
		.amdhsa_user_sgpr_private_segment_size 0
		.amdhsa_wavefront_size32 1
		.amdhsa_uses_dynamic_stack 0
		.amdhsa_system_sgpr_private_segment_wavefront_offset 0
		.amdhsa_system_sgpr_workgroup_id_x 1
		.amdhsa_system_sgpr_workgroup_id_y 0
		.amdhsa_system_sgpr_workgroup_id_z 0
		.amdhsa_system_sgpr_workgroup_info 0
		.amdhsa_system_vgpr_workitem_id 0
		.amdhsa_next_free_vgpr 1
		.amdhsa_next_free_sgpr 1
		.amdhsa_reserve_vcc 0
		.amdhsa_reserve_flat_scratch 0
		.amdhsa_float_round_mode_32 0
		.amdhsa_float_round_mode_16_64 0
		.amdhsa_float_denorm_mode_32 3
		.amdhsa_float_denorm_mode_16_64 3
		.amdhsa_dx10_clamp 1
		.amdhsa_ieee_mode 1
		.amdhsa_fp16_overflow 0
		.amdhsa_workgroup_processor_mode 1
		.amdhsa_memory_ordered 1
		.amdhsa_forward_progress 1
		.amdhsa_shared_vgpr_count 0
		.amdhsa_exception_fp_ieee_invalid_op 0
		.amdhsa_exception_fp_denorm_src 0
		.amdhsa_exception_fp_ieee_div_zero 0
		.amdhsa_exception_fp_ieee_overflow 0
		.amdhsa_exception_fp_ieee_underflow 0
		.amdhsa_exception_fp_ieee_inexact 0
		.amdhsa_exception_int_div_zero 0
	.end_amdhsa_kernel
	.section	.text._ZN7rocprim17ROCPRIM_400000_NS6detail17trampoline_kernelINS0_14default_configENS1_32segmented_reduce_config_selectorIdEEZNS1_21segmented_reduce_implIS3_PKdPdPKidN6hipcub16HIPCUB_304000_NS6detail27convert_result_type_wrapperIS8_S9_N2at6native12_GLOBAL__N_19CustomMaxEEEEE10hipError_tPvRmT0_T1_jT2_SQ_T4_T3_P12ihipStream_tbEUlT_E_NS1_11comp_targetILNS1_3genE5ELNS1_11target_archE942ELNS1_3gpuE9ELNS1_3repE0EEENS1_30default_config_static_selectorELNS0_4arch9wavefront6targetE0EEEvSP_,"axG",@progbits,_ZN7rocprim17ROCPRIM_400000_NS6detail17trampoline_kernelINS0_14default_configENS1_32segmented_reduce_config_selectorIdEEZNS1_21segmented_reduce_implIS3_PKdPdPKidN6hipcub16HIPCUB_304000_NS6detail27convert_result_type_wrapperIS8_S9_N2at6native12_GLOBAL__N_19CustomMaxEEEEE10hipError_tPvRmT0_T1_jT2_SQ_T4_T3_P12ihipStream_tbEUlT_E_NS1_11comp_targetILNS1_3genE5ELNS1_11target_archE942ELNS1_3gpuE9ELNS1_3repE0EEENS1_30default_config_static_selectorELNS0_4arch9wavefront6targetE0EEEvSP_,comdat
.Lfunc_end10:
	.size	_ZN7rocprim17ROCPRIM_400000_NS6detail17trampoline_kernelINS0_14default_configENS1_32segmented_reduce_config_selectorIdEEZNS1_21segmented_reduce_implIS3_PKdPdPKidN6hipcub16HIPCUB_304000_NS6detail27convert_result_type_wrapperIS8_S9_N2at6native12_GLOBAL__N_19CustomMaxEEEEE10hipError_tPvRmT0_T1_jT2_SQ_T4_T3_P12ihipStream_tbEUlT_E_NS1_11comp_targetILNS1_3genE5ELNS1_11target_archE942ELNS1_3gpuE9ELNS1_3repE0EEENS1_30default_config_static_selectorELNS0_4arch9wavefront6targetE0EEEvSP_, .Lfunc_end10-_ZN7rocprim17ROCPRIM_400000_NS6detail17trampoline_kernelINS0_14default_configENS1_32segmented_reduce_config_selectorIdEEZNS1_21segmented_reduce_implIS3_PKdPdPKidN6hipcub16HIPCUB_304000_NS6detail27convert_result_type_wrapperIS8_S9_N2at6native12_GLOBAL__N_19CustomMaxEEEEE10hipError_tPvRmT0_T1_jT2_SQ_T4_T3_P12ihipStream_tbEUlT_E_NS1_11comp_targetILNS1_3genE5ELNS1_11target_archE942ELNS1_3gpuE9ELNS1_3repE0EEENS1_30default_config_static_selectorELNS0_4arch9wavefront6targetE0EEEvSP_
                                        ; -- End function
	.set _ZN7rocprim17ROCPRIM_400000_NS6detail17trampoline_kernelINS0_14default_configENS1_32segmented_reduce_config_selectorIdEEZNS1_21segmented_reduce_implIS3_PKdPdPKidN6hipcub16HIPCUB_304000_NS6detail27convert_result_type_wrapperIS8_S9_N2at6native12_GLOBAL__N_19CustomMaxEEEEE10hipError_tPvRmT0_T1_jT2_SQ_T4_T3_P12ihipStream_tbEUlT_E_NS1_11comp_targetILNS1_3genE5ELNS1_11target_archE942ELNS1_3gpuE9ELNS1_3repE0EEENS1_30default_config_static_selectorELNS0_4arch9wavefront6targetE0EEEvSP_.num_vgpr, 0
	.set _ZN7rocprim17ROCPRIM_400000_NS6detail17trampoline_kernelINS0_14default_configENS1_32segmented_reduce_config_selectorIdEEZNS1_21segmented_reduce_implIS3_PKdPdPKidN6hipcub16HIPCUB_304000_NS6detail27convert_result_type_wrapperIS8_S9_N2at6native12_GLOBAL__N_19CustomMaxEEEEE10hipError_tPvRmT0_T1_jT2_SQ_T4_T3_P12ihipStream_tbEUlT_E_NS1_11comp_targetILNS1_3genE5ELNS1_11target_archE942ELNS1_3gpuE9ELNS1_3repE0EEENS1_30default_config_static_selectorELNS0_4arch9wavefront6targetE0EEEvSP_.num_agpr, 0
	.set _ZN7rocprim17ROCPRIM_400000_NS6detail17trampoline_kernelINS0_14default_configENS1_32segmented_reduce_config_selectorIdEEZNS1_21segmented_reduce_implIS3_PKdPdPKidN6hipcub16HIPCUB_304000_NS6detail27convert_result_type_wrapperIS8_S9_N2at6native12_GLOBAL__N_19CustomMaxEEEEE10hipError_tPvRmT0_T1_jT2_SQ_T4_T3_P12ihipStream_tbEUlT_E_NS1_11comp_targetILNS1_3genE5ELNS1_11target_archE942ELNS1_3gpuE9ELNS1_3repE0EEENS1_30default_config_static_selectorELNS0_4arch9wavefront6targetE0EEEvSP_.numbered_sgpr, 0
	.set _ZN7rocprim17ROCPRIM_400000_NS6detail17trampoline_kernelINS0_14default_configENS1_32segmented_reduce_config_selectorIdEEZNS1_21segmented_reduce_implIS3_PKdPdPKidN6hipcub16HIPCUB_304000_NS6detail27convert_result_type_wrapperIS8_S9_N2at6native12_GLOBAL__N_19CustomMaxEEEEE10hipError_tPvRmT0_T1_jT2_SQ_T4_T3_P12ihipStream_tbEUlT_E_NS1_11comp_targetILNS1_3genE5ELNS1_11target_archE942ELNS1_3gpuE9ELNS1_3repE0EEENS1_30default_config_static_selectorELNS0_4arch9wavefront6targetE0EEEvSP_.num_named_barrier, 0
	.set _ZN7rocprim17ROCPRIM_400000_NS6detail17trampoline_kernelINS0_14default_configENS1_32segmented_reduce_config_selectorIdEEZNS1_21segmented_reduce_implIS3_PKdPdPKidN6hipcub16HIPCUB_304000_NS6detail27convert_result_type_wrapperIS8_S9_N2at6native12_GLOBAL__N_19CustomMaxEEEEE10hipError_tPvRmT0_T1_jT2_SQ_T4_T3_P12ihipStream_tbEUlT_E_NS1_11comp_targetILNS1_3genE5ELNS1_11target_archE942ELNS1_3gpuE9ELNS1_3repE0EEENS1_30default_config_static_selectorELNS0_4arch9wavefront6targetE0EEEvSP_.private_seg_size, 0
	.set _ZN7rocprim17ROCPRIM_400000_NS6detail17trampoline_kernelINS0_14default_configENS1_32segmented_reduce_config_selectorIdEEZNS1_21segmented_reduce_implIS3_PKdPdPKidN6hipcub16HIPCUB_304000_NS6detail27convert_result_type_wrapperIS8_S9_N2at6native12_GLOBAL__N_19CustomMaxEEEEE10hipError_tPvRmT0_T1_jT2_SQ_T4_T3_P12ihipStream_tbEUlT_E_NS1_11comp_targetILNS1_3genE5ELNS1_11target_archE942ELNS1_3gpuE9ELNS1_3repE0EEENS1_30default_config_static_selectorELNS0_4arch9wavefront6targetE0EEEvSP_.uses_vcc, 0
	.set _ZN7rocprim17ROCPRIM_400000_NS6detail17trampoline_kernelINS0_14default_configENS1_32segmented_reduce_config_selectorIdEEZNS1_21segmented_reduce_implIS3_PKdPdPKidN6hipcub16HIPCUB_304000_NS6detail27convert_result_type_wrapperIS8_S9_N2at6native12_GLOBAL__N_19CustomMaxEEEEE10hipError_tPvRmT0_T1_jT2_SQ_T4_T3_P12ihipStream_tbEUlT_E_NS1_11comp_targetILNS1_3genE5ELNS1_11target_archE942ELNS1_3gpuE9ELNS1_3repE0EEENS1_30default_config_static_selectorELNS0_4arch9wavefront6targetE0EEEvSP_.uses_flat_scratch, 0
	.set _ZN7rocprim17ROCPRIM_400000_NS6detail17trampoline_kernelINS0_14default_configENS1_32segmented_reduce_config_selectorIdEEZNS1_21segmented_reduce_implIS3_PKdPdPKidN6hipcub16HIPCUB_304000_NS6detail27convert_result_type_wrapperIS8_S9_N2at6native12_GLOBAL__N_19CustomMaxEEEEE10hipError_tPvRmT0_T1_jT2_SQ_T4_T3_P12ihipStream_tbEUlT_E_NS1_11comp_targetILNS1_3genE5ELNS1_11target_archE942ELNS1_3gpuE9ELNS1_3repE0EEENS1_30default_config_static_selectorELNS0_4arch9wavefront6targetE0EEEvSP_.has_dyn_sized_stack, 0
	.set _ZN7rocprim17ROCPRIM_400000_NS6detail17trampoline_kernelINS0_14default_configENS1_32segmented_reduce_config_selectorIdEEZNS1_21segmented_reduce_implIS3_PKdPdPKidN6hipcub16HIPCUB_304000_NS6detail27convert_result_type_wrapperIS8_S9_N2at6native12_GLOBAL__N_19CustomMaxEEEEE10hipError_tPvRmT0_T1_jT2_SQ_T4_T3_P12ihipStream_tbEUlT_E_NS1_11comp_targetILNS1_3genE5ELNS1_11target_archE942ELNS1_3gpuE9ELNS1_3repE0EEENS1_30default_config_static_selectorELNS0_4arch9wavefront6targetE0EEEvSP_.has_recursion, 0
	.set _ZN7rocprim17ROCPRIM_400000_NS6detail17trampoline_kernelINS0_14default_configENS1_32segmented_reduce_config_selectorIdEEZNS1_21segmented_reduce_implIS3_PKdPdPKidN6hipcub16HIPCUB_304000_NS6detail27convert_result_type_wrapperIS8_S9_N2at6native12_GLOBAL__N_19CustomMaxEEEEE10hipError_tPvRmT0_T1_jT2_SQ_T4_T3_P12ihipStream_tbEUlT_E_NS1_11comp_targetILNS1_3genE5ELNS1_11target_archE942ELNS1_3gpuE9ELNS1_3repE0EEENS1_30default_config_static_selectorELNS0_4arch9wavefront6targetE0EEEvSP_.has_indirect_call, 0
	.section	.AMDGPU.csdata,"",@progbits
; Kernel info:
; codeLenInByte = 0
; TotalNumSgprs: 0
; NumVgprs: 0
; ScratchSize: 0
; MemoryBound: 0
; FloatMode: 240
; IeeeMode: 1
; LDSByteSize: 0 bytes/workgroup (compile time only)
; SGPRBlocks: 0
; VGPRBlocks: 0
; NumSGPRsForWavesPerEU: 1
; NumVGPRsForWavesPerEU: 1
; Occupancy: 16
; WaveLimiterHint : 0
; COMPUTE_PGM_RSRC2:SCRATCH_EN: 0
; COMPUTE_PGM_RSRC2:USER_SGPR: 6
; COMPUTE_PGM_RSRC2:TRAP_HANDLER: 0
; COMPUTE_PGM_RSRC2:TGID_X_EN: 1
; COMPUTE_PGM_RSRC2:TGID_Y_EN: 0
; COMPUTE_PGM_RSRC2:TGID_Z_EN: 0
; COMPUTE_PGM_RSRC2:TIDIG_COMP_CNT: 0
	.section	.text._ZN7rocprim17ROCPRIM_400000_NS6detail17trampoline_kernelINS0_14default_configENS1_32segmented_reduce_config_selectorIdEEZNS1_21segmented_reduce_implIS3_PKdPdPKidN6hipcub16HIPCUB_304000_NS6detail27convert_result_type_wrapperIS8_S9_N2at6native12_GLOBAL__N_19CustomMaxEEEEE10hipError_tPvRmT0_T1_jT2_SQ_T4_T3_P12ihipStream_tbEUlT_E_NS1_11comp_targetILNS1_3genE10ELNS1_11target_archE1201ELNS1_3gpuE5ELNS1_3repE0EEENS1_30default_config_static_selectorELNS0_4arch9wavefront6targetE0EEEvSP_,"axG",@progbits,_ZN7rocprim17ROCPRIM_400000_NS6detail17trampoline_kernelINS0_14default_configENS1_32segmented_reduce_config_selectorIdEEZNS1_21segmented_reduce_implIS3_PKdPdPKidN6hipcub16HIPCUB_304000_NS6detail27convert_result_type_wrapperIS8_S9_N2at6native12_GLOBAL__N_19CustomMaxEEEEE10hipError_tPvRmT0_T1_jT2_SQ_T4_T3_P12ihipStream_tbEUlT_E_NS1_11comp_targetILNS1_3genE10ELNS1_11target_archE1201ELNS1_3gpuE5ELNS1_3repE0EEENS1_30default_config_static_selectorELNS0_4arch9wavefront6targetE0EEEvSP_,comdat
	.globl	_ZN7rocprim17ROCPRIM_400000_NS6detail17trampoline_kernelINS0_14default_configENS1_32segmented_reduce_config_selectorIdEEZNS1_21segmented_reduce_implIS3_PKdPdPKidN6hipcub16HIPCUB_304000_NS6detail27convert_result_type_wrapperIS8_S9_N2at6native12_GLOBAL__N_19CustomMaxEEEEE10hipError_tPvRmT0_T1_jT2_SQ_T4_T3_P12ihipStream_tbEUlT_E_NS1_11comp_targetILNS1_3genE10ELNS1_11target_archE1201ELNS1_3gpuE5ELNS1_3repE0EEENS1_30default_config_static_selectorELNS0_4arch9wavefront6targetE0EEEvSP_ ; -- Begin function _ZN7rocprim17ROCPRIM_400000_NS6detail17trampoline_kernelINS0_14default_configENS1_32segmented_reduce_config_selectorIdEEZNS1_21segmented_reduce_implIS3_PKdPdPKidN6hipcub16HIPCUB_304000_NS6detail27convert_result_type_wrapperIS8_S9_N2at6native12_GLOBAL__N_19CustomMaxEEEEE10hipError_tPvRmT0_T1_jT2_SQ_T4_T3_P12ihipStream_tbEUlT_E_NS1_11comp_targetILNS1_3genE10ELNS1_11target_archE1201ELNS1_3gpuE5ELNS1_3repE0EEENS1_30default_config_static_selectorELNS0_4arch9wavefront6targetE0EEEvSP_
	.p2align	8
	.type	_ZN7rocprim17ROCPRIM_400000_NS6detail17trampoline_kernelINS0_14default_configENS1_32segmented_reduce_config_selectorIdEEZNS1_21segmented_reduce_implIS3_PKdPdPKidN6hipcub16HIPCUB_304000_NS6detail27convert_result_type_wrapperIS8_S9_N2at6native12_GLOBAL__N_19CustomMaxEEEEE10hipError_tPvRmT0_T1_jT2_SQ_T4_T3_P12ihipStream_tbEUlT_E_NS1_11comp_targetILNS1_3genE10ELNS1_11target_archE1201ELNS1_3gpuE5ELNS1_3repE0EEENS1_30default_config_static_selectorELNS0_4arch9wavefront6targetE0EEEvSP_,@function
_ZN7rocprim17ROCPRIM_400000_NS6detail17trampoline_kernelINS0_14default_configENS1_32segmented_reduce_config_selectorIdEEZNS1_21segmented_reduce_implIS3_PKdPdPKidN6hipcub16HIPCUB_304000_NS6detail27convert_result_type_wrapperIS8_S9_N2at6native12_GLOBAL__N_19CustomMaxEEEEE10hipError_tPvRmT0_T1_jT2_SQ_T4_T3_P12ihipStream_tbEUlT_E_NS1_11comp_targetILNS1_3genE10ELNS1_11target_archE1201ELNS1_3gpuE5ELNS1_3repE0EEENS1_30default_config_static_selectorELNS0_4arch9wavefront6targetE0EEEvSP_: ; @_ZN7rocprim17ROCPRIM_400000_NS6detail17trampoline_kernelINS0_14default_configENS1_32segmented_reduce_config_selectorIdEEZNS1_21segmented_reduce_implIS3_PKdPdPKidN6hipcub16HIPCUB_304000_NS6detail27convert_result_type_wrapperIS8_S9_N2at6native12_GLOBAL__N_19CustomMaxEEEEE10hipError_tPvRmT0_T1_jT2_SQ_T4_T3_P12ihipStream_tbEUlT_E_NS1_11comp_targetILNS1_3genE10ELNS1_11target_archE1201ELNS1_3gpuE5ELNS1_3repE0EEENS1_30default_config_static_selectorELNS0_4arch9wavefront6targetE0EEEvSP_
; %bb.0:
	.section	.rodata,"a",@progbits
	.p2align	6, 0x0
	.amdhsa_kernel _ZN7rocprim17ROCPRIM_400000_NS6detail17trampoline_kernelINS0_14default_configENS1_32segmented_reduce_config_selectorIdEEZNS1_21segmented_reduce_implIS3_PKdPdPKidN6hipcub16HIPCUB_304000_NS6detail27convert_result_type_wrapperIS8_S9_N2at6native12_GLOBAL__N_19CustomMaxEEEEE10hipError_tPvRmT0_T1_jT2_SQ_T4_T3_P12ihipStream_tbEUlT_E_NS1_11comp_targetILNS1_3genE10ELNS1_11target_archE1201ELNS1_3gpuE5ELNS1_3repE0EEENS1_30default_config_static_selectorELNS0_4arch9wavefront6targetE0EEEvSP_
		.amdhsa_group_segment_fixed_size 0
		.amdhsa_private_segment_fixed_size 0
		.amdhsa_kernarg_size 56
		.amdhsa_user_sgpr_count 6
		.amdhsa_user_sgpr_private_segment_buffer 1
		.amdhsa_user_sgpr_dispatch_ptr 0
		.amdhsa_user_sgpr_queue_ptr 0
		.amdhsa_user_sgpr_kernarg_segment_ptr 1
		.amdhsa_user_sgpr_dispatch_id 0
		.amdhsa_user_sgpr_flat_scratch_init 0
		.amdhsa_user_sgpr_private_segment_size 0
		.amdhsa_wavefront_size32 1
		.amdhsa_uses_dynamic_stack 0
		.amdhsa_system_sgpr_private_segment_wavefront_offset 0
		.amdhsa_system_sgpr_workgroup_id_x 1
		.amdhsa_system_sgpr_workgroup_id_y 0
		.amdhsa_system_sgpr_workgroup_id_z 0
		.amdhsa_system_sgpr_workgroup_info 0
		.amdhsa_system_vgpr_workitem_id 0
		.amdhsa_next_free_vgpr 1
		.amdhsa_next_free_sgpr 1
		.amdhsa_reserve_vcc 0
		.amdhsa_reserve_flat_scratch 0
		.amdhsa_float_round_mode_32 0
		.amdhsa_float_round_mode_16_64 0
		.amdhsa_float_denorm_mode_32 3
		.amdhsa_float_denorm_mode_16_64 3
		.amdhsa_dx10_clamp 1
		.amdhsa_ieee_mode 1
		.amdhsa_fp16_overflow 0
		.amdhsa_workgroup_processor_mode 1
		.amdhsa_memory_ordered 1
		.amdhsa_forward_progress 1
		.amdhsa_shared_vgpr_count 0
		.amdhsa_exception_fp_ieee_invalid_op 0
		.amdhsa_exception_fp_denorm_src 0
		.amdhsa_exception_fp_ieee_div_zero 0
		.amdhsa_exception_fp_ieee_overflow 0
		.amdhsa_exception_fp_ieee_underflow 0
		.amdhsa_exception_fp_ieee_inexact 0
		.amdhsa_exception_int_div_zero 0
	.end_amdhsa_kernel
	.section	.text._ZN7rocprim17ROCPRIM_400000_NS6detail17trampoline_kernelINS0_14default_configENS1_32segmented_reduce_config_selectorIdEEZNS1_21segmented_reduce_implIS3_PKdPdPKidN6hipcub16HIPCUB_304000_NS6detail27convert_result_type_wrapperIS8_S9_N2at6native12_GLOBAL__N_19CustomMaxEEEEE10hipError_tPvRmT0_T1_jT2_SQ_T4_T3_P12ihipStream_tbEUlT_E_NS1_11comp_targetILNS1_3genE10ELNS1_11target_archE1201ELNS1_3gpuE5ELNS1_3repE0EEENS1_30default_config_static_selectorELNS0_4arch9wavefront6targetE0EEEvSP_,"axG",@progbits,_ZN7rocprim17ROCPRIM_400000_NS6detail17trampoline_kernelINS0_14default_configENS1_32segmented_reduce_config_selectorIdEEZNS1_21segmented_reduce_implIS3_PKdPdPKidN6hipcub16HIPCUB_304000_NS6detail27convert_result_type_wrapperIS8_S9_N2at6native12_GLOBAL__N_19CustomMaxEEEEE10hipError_tPvRmT0_T1_jT2_SQ_T4_T3_P12ihipStream_tbEUlT_E_NS1_11comp_targetILNS1_3genE10ELNS1_11target_archE1201ELNS1_3gpuE5ELNS1_3repE0EEENS1_30default_config_static_selectorELNS0_4arch9wavefront6targetE0EEEvSP_,comdat
.Lfunc_end11:
	.size	_ZN7rocprim17ROCPRIM_400000_NS6detail17trampoline_kernelINS0_14default_configENS1_32segmented_reduce_config_selectorIdEEZNS1_21segmented_reduce_implIS3_PKdPdPKidN6hipcub16HIPCUB_304000_NS6detail27convert_result_type_wrapperIS8_S9_N2at6native12_GLOBAL__N_19CustomMaxEEEEE10hipError_tPvRmT0_T1_jT2_SQ_T4_T3_P12ihipStream_tbEUlT_E_NS1_11comp_targetILNS1_3genE10ELNS1_11target_archE1201ELNS1_3gpuE5ELNS1_3repE0EEENS1_30default_config_static_selectorELNS0_4arch9wavefront6targetE0EEEvSP_, .Lfunc_end11-_ZN7rocprim17ROCPRIM_400000_NS6detail17trampoline_kernelINS0_14default_configENS1_32segmented_reduce_config_selectorIdEEZNS1_21segmented_reduce_implIS3_PKdPdPKidN6hipcub16HIPCUB_304000_NS6detail27convert_result_type_wrapperIS8_S9_N2at6native12_GLOBAL__N_19CustomMaxEEEEE10hipError_tPvRmT0_T1_jT2_SQ_T4_T3_P12ihipStream_tbEUlT_E_NS1_11comp_targetILNS1_3genE10ELNS1_11target_archE1201ELNS1_3gpuE5ELNS1_3repE0EEENS1_30default_config_static_selectorELNS0_4arch9wavefront6targetE0EEEvSP_
                                        ; -- End function
	.set _ZN7rocprim17ROCPRIM_400000_NS6detail17trampoline_kernelINS0_14default_configENS1_32segmented_reduce_config_selectorIdEEZNS1_21segmented_reduce_implIS3_PKdPdPKidN6hipcub16HIPCUB_304000_NS6detail27convert_result_type_wrapperIS8_S9_N2at6native12_GLOBAL__N_19CustomMaxEEEEE10hipError_tPvRmT0_T1_jT2_SQ_T4_T3_P12ihipStream_tbEUlT_E_NS1_11comp_targetILNS1_3genE10ELNS1_11target_archE1201ELNS1_3gpuE5ELNS1_3repE0EEENS1_30default_config_static_selectorELNS0_4arch9wavefront6targetE0EEEvSP_.num_vgpr, 0
	.set _ZN7rocprim17ROCPRIM_400000_NS6detail17trampoline_kernelINS0_14default_configENS1_32segmented_reduce_config_selectorIdEEZNS1_21segmented_reduce_implIS3_PKdPdPKidN6hipcub16HIPCUB_304000_NS6detail27convert_result_type_wrapperIS8_S9_N2at6native12_GLOBAL__N_19CustomMaxEEEEE10hipError_tPvRmT0_T1_jT2_SQ_T4_T3_P12ihipStream_tbEUlT_E_NS1_11comp_targetILNS1_3genE10ELNS1_11target_archE1201ELNS1_3gpuE5ELNS1_3repE0EEENS1_30default_config_static_selectorELNS0_4arch9wavefront6targetE0EEEvSP_.num_agpr, 0
	.set _ZN7rocprim17ROCPRIM_400000_NS6detail17trampoline_kernelINS0_14default_configENS1_32segmented_reduce_config_selectorIdEEZNS1_21segmented_reduce_implIS3_PKdPdPKidN6hipcub16HIPCUB_304000_NS6detail27convert_result_type_wrapperIS8_S9_N2at6native12_GLOBAL__N_19CustomMaxEEEEE10hipError_tPvRmT0_T1_jT2_SQ_T4_T3_P12ihipStream_tbEUlT_E_NS1_11comp_targetILNS1_3genE10ELNS1_11target_archE1201ELNS1_3gpuE5ELNS1_3repE0EEENS1_30default_config_static_selectorELNS0_4arch9wavefront6targetE0EEEvSP_.numbered_sgpr, 0
	.set _ZN7rocprim17ROCPRIM_400000_NS6detail17trampoline_kernelINS0_14default_configENS1_32segmented_reduce_config_selectorIdEEZNS1_21segmented_reduce_implIS3_PKdPdPKidN6hipcub16HIPCUB_304000_NS6detail27convert_result_type_wrapperIS8_S9_N2at6native12_GLOBAL__N_19CustomMaxEEEEE10hipError_tPvRmT0_T1_jT2_SQ_T4_T3_P12ihipStream_tbEUlT_E_NS1_11comp_targetILNS1_3genE10ELNS1_11target_archE1201ELNS1_3gpuE5ELNS1_3repE0EEENS1_30default_config_static_selectorELNS0_4arch9wavefront6targetE0EEEvSP_.num_named_barrier, 0
	.set _ZN7rocprim17ROCPRIM_400000_NS6detail17trampoline_kernelINS0_14default_configENS1_32segmented_reduce_config_selectorIdEEZNS1_21segmented_reduce_implIS3_PKdPdPKidN6hipcub16HIPCUB_304000_NS6detail27convert_result_type_wrapperIS8_S9_N2at6native12_GLOBAL__N_19CustomMaxEEEEE10hipError_tPvRmT0_T1_jT2_SQ_T4_T3_P12ihipStream_tbEUlT_E_NS1_11comp_targetILNS1_3genE10ELNS1_11target_archE1201ELNS1_3gpuE5ELNS1_3repE0EEENS1_30default_config_static_selectorELNS0_4arch9wavefront6targetE0EEEvSP_.private_seg_size, 0
	.set _ZN7rocprim17ROCPRIM_400000_NS6detail17trampoline_kernelINS0_14default_configENS1_32segmented_reduce_config_selectorIdEEZNS1_21segmented_reduce_implIS3_PKdPdPKidN6hipcub16HIPCUB_304000_NS6detail27convert_result_type_wrapperIS8_S9_N2at6native12_GLOBAL__N_19CustomMaxEEEEE10hipError_tPvRmT0_T1_jT2_SQ_T4_T3_P12ihipStream_tbEUlT_E_NS1_11comp_targetILNS1_3genE10ELNS1_11target_archE1201ELNS1_3gpuE5ELNS1_3repE0EEENS1_30default_config_static_selectorELNS0_4arch9wavefront6targetE0EEEvSP_.uses_vcc, 0
	.set _ZN7rocprim17ROCPRIM_400000_NS6detail17trampoline_kernelINS0_14default_configENS1_32segmented_reduce_config_selectorIdEEZNS1_21segmented_reduce_implIS3_PKdPdPKidN6hipcub16HIPCUB_304000_NS6detail27convert_result_type_wrapperIS8_S9_N2at6native12_GLOBAL__N_19CustomMaxEEEEE10hipError_tPvRmT0_T1_jT2_SQ_T4_T3_P12ihipStream_tbEUlT_E_NS1_11comp_targetILNS1_3genE10ELNS1_11target_archE1201ELNS1_3gpuE5ELNS1_3repE0EEENS1_30default_config_static_selectorELNS0_4arch9wavefront6targetE0EEEvSP_.uses_flat_scratch, 0
	.set _ZN7rocprim17ROCPRIM_400000_NS6detail17trampoline_kernelINS0_14default_configENS1_32segmented_reduce_config_selectorIdEEZNS1_21segmented_reduce_implIS3_PKdPdPKidN6hipcub16HIPCUB_304000_NS6detail27convert_result_type_wrapperIS8_S9_N2at6native12_GLOBAL__N_19CustomMaxEEEEE10hipError_tPvRmT0_T1_jT2_SQ_T4_T3_P12ihipStream_tbEUlT_E_NS1_11comp_targetILNS1_3genE10ELNS1_11target_archE1201ELNS1_3gpuE5ELNS1_3repE0EEENS1_30default_config_static_selectorELNS0_4arch9wavefront6targetE0EEEvSP_.has_dyn_sized_stack, 0
	.set _ZN7rocprim17ROCPRIM_400000_NS6detail17trampoline_kernelINS0_14default_configENS1_32segmented_reduce_config_selectorIdEEZNS1_21segmented_reduce_implIS3_PKdPdPKidN6hipcub16HIPCUB_304000_NS6detail27convert_result_type_wrapperIS8_S9_N2at6native12_GLOBAL__N_19CustomMaxEEEEE10hipError_tPvRmT0_T1_jT2_SQ_T4_T3_P12ihipStream_tbEUlT_E_NS1_11comp_targetILNS1_3genE10ELNS1_11target_archE1201ELNS1_3gpuE5ELNS1_3repE0EEENS1_30default_config_static_selectorELNS0_4arch9wavefront6targetE0EEEvSP_.has_recursion, 0
	.set _ZN7rocprim17ROCPRIM_400000_NS6detail17trampoline_kernelINS0_14default_configENS1_32segmented_reduce_config_selectorIdEEZNS1_21segmented_reduce_implIS3_PKdPdPKidN6hipcub16HIPCUB_304000_NS6detail27convert_result_type_wrapperIS8_S9_N2at6native12_GLOBAL__N_19CustomMaxEEEEE10hipError_tPvRmT0_T1_jT2_SQ_T4_T3_P12ihipStream_tbEUlT_E_NS1_11comp_targetILNS1_3genE10ELNS1_11target_archE1201ELNS1_3gpuE5ELNS1_3repE0EEENS1_30default_config_static_selectorELNS0_4arch9wavefront6targetE0EEEvSP_.has_indirect_call, 0
	.section	.AMDGPU.csdata,"",@progbits
; Kernel info:
; codeLenInByte = 0
; TotalNumSgprs: 0
; NumVgprs: 0
; ScratchSize: 0
; MemoryBound: 0
; FloatMode: 240
; IeeeMode: 1
; LDSByteSize: 0 bytes/workgroup (compile time only)
; SGPRBlocks: 0
; VGPRBlocks: 0
; NumSGPRsForWavesPerEU: 1
; NumVGPRsForWavesPerEU: 1
; Occupancy: 16
; WaveLimiterHint : 0
; COMPUTE_PGM_RSRC2:SCRATCH_EN: 0
; COMPUTE_PGM_RSRC2:USER_SGPR: 6
; COMPUTE_PGM_RSRC2:TRAP_HANDLER: 0
; COMPUTE_PGM_RSRC2:TGID_X_EN: 1
; COMPUTE_PGM_RSRC2:TGID_Y_EN: 0
; COMPUTE_PGM_RSRC2:TGID_Z_EN: 0
; COMPUTE_PGM_RSRC2:TIDIG_COMP_CNT: 0
	.section	.text._ZN7rocprim17ROCPRIM_400000_NS6detail17trampoline_kernelINS0_14default_configENS1_32segmented_reduce_config_selectorIdEEZNS1_21segmented_reduce_implIS3_PKdPdPKidN6hipcub16HIPCUB_304000_NS6detail27convert_result_type_wrapperIS8_S9_N2at6native12_GLOBAL__N_19CustomMaxEEEEE10hipError_tPvRmT0_T1_jT2_SQ_T4_T3_P12ihipStream_tbEUlT_E_NS1_11comp_targetILNS1_3genE4ELNS1_11target_archE910ELNS1_3gpuE8ELNS1_3repE0EEENS1_30default_config_static_selectorELNS0_4arch9wavefront6targetE0EEEvSP_,"axG",@progbits,_ZN7rocprim17ROCPRIM_400000_NS6detail17trampoline_kernelINS0_14default_configENS1_32segmented_reduce_config_selectorIdEEZNS1_21segmented_reduce_implIS3_PKdPdPKidN6hipcub16HIPCUB_304000_NS6detail27convert_result_type_wrapperIS8_S9_N2at6native12_GLOBAL__N_19CustomMaxEEEEE10hipError_tPvRmT0_T1_jT2_SQ_T4_T3_P12ihipStream_tbEUlT_E_NS1_11comp_targetILNS1_3genE4ELNS1_11target_archE910ELNS1_3gpuE8ELNS1_3repE0EEENS1_30default_config_static_selectorELNS0_4arch9wavefront6targetE0EEEvSP_,comdat
	.globl	_ZN7rocprim17ROCPRIM_400000_NS6detail17trampoline_kernelINS0_14default_configENS1_32segmented_reduce_config_selectorIdEEZNS1_21segmented_reduce_implIS3_PKdPdPKidN6hipcub16HIPCUB_304000_NS6detail27convert_result_type_wrapperIS8_S9_N2at6native12_GLOBAL__N_19CustomMaxEEEEE10hipError_tPvRmT0_T1_jT2_SQ_T4_T3_P12ihipStream_tbEUlT_E_NS1_11comp_targetILNS1_3genE4ELNS1_11target_archE910ELNS1_3gpuE8ELNS1_3repE0EEENS1_30default_config_static_selectorELNS0_4arch9wavefront6targetE0EEEvSP_ ; -- Begin function _ZN7rocprim17ROCPRIM_400000_NS6detail17trampoline_kernelINS0_14default_configENS1_32segmented_reduce_config_selectorIdEEZNS1_21segmented_reduce_implIS3_PKdPdPKidN6hipcub16HIPCUB_304000_NS6detail27convert_result_type_wrapperIS8_S9_N2at6native12_GLOBAL__N_19CustomMaxEEEEE10hipError_tPvRmT0_T1_jT2_SQ_T4_T3_P12ihipStream_tbEUlT_E_NS1_11comp_targetILNS1_3genE4ELNS1_11target_archE910ELNS1_3gpuE8ELNS1_3repE0EEENS1_30default_config_static_selectorELNS0_4arch9wavefront6targetE0EEEvSP_
	.p2align	8
	.type	_ZN7rocprim17ROCPRIM_400000_NS6detail17trampoline_kernelINS0_14default_configENS1_32segmented_reduce_config_selectorIdEEZNS1_21segmented_reduce_implIS3_PKdPdPKidN6hipcub16HIPCUB_304000_NS6detail27convert_result_type_wrapperIS8_S9_N2at6native12_GLOBAL__N_19CustomMaxEEEEE10hipError_tPvRmT0_T1_jT2_SQ_T4_T3_P12ihipStream_tbEUlT_E_NS1_11comp_targetILNS1_3genE4ELNS1_11target_archE910ELNS1_3gpuE8ELNS1_3repE0EEENS1_30default_config_static_selectorELNS0_4arch9wavefront6targetE0EEEvSP_,@function
_ZN7rocprim17ROCPRIM_400000_NS6detail17trampoline_kernelINS0_14default_configENS1_32segmented_reduce_config_selectorIdEEZNS1_21segmented_reduce_implIS3_PKdPdPKidN6hipcub16HIPCUB_304000_NS6detail27convert_result_type_wrapperIS8_S9_N2at6native12_GLOBAL__N_19CustomMaxEEEEE10hipError_tPvRmT0_T1_jT2_SQ_T4_T3_P12ihipStream_tbEUlT_E_NS1_11comp_targetILNS1_3genE4ELNS1_11target_archE910ELNS1_3gpuE8ELNS1_3repE0EEENS1_30default_config_static_selectorELNS0_4arch9wavefront6targetE0EEEvSP_: ; @_ZN7rocprim17ROCPRIM_400000_NS6detail17trampoline_kernelINS0_14default_configENS1_32segmented_reduce_config_selectorIdEEZNS1_21segmented_reduce_implIS3_PKdPdPKidN6hipcub16HIPCUB_304000_NS6detail27convert_result_type_wrapperIS8_S9_N2at6native12_GLOBAL__N_19CustomMaxEEEEE10hipError_tPvRmT0_T1_jT2_SQ_T4_T3_P12ihipStream_tbEUlT_E_NS1_11comp_targetILNS1_3genE4ELNS1_11target_archE910ELNS1_3gpuE8ELNS1_3repE0EEENS1_30default_config_static_selectorELNS0_4arch9wavefront6targetE0EEEvSP_
; %bb.0:
	.section	.rodata,"a",@progbits
	.p2align	6, 0x0
	.amdhsa_kernel _ZN7rocprim17ROCPRIM_400000_NS6detail17trampoline_kernelINS0_14default_configENS1_32segmented_reduce_config_selectorIdEEZNS1_21segmented_reduce_implIS3_PKdPdPKidN6hipcub16HIPCUB_304000_NS6detail27convert_result_type_wrapperIS8_S9_N2at6native12_GLOBAL__N_19CustomMaxEEEEE10hipError_tPvRmT0_T1_jT2_SQ_T4_T3_P12ihipStream_tbEUlT_E_NS1_11comp_targetILNS1_3genE4ELNS1_11target_archE910ELNS1_3gpuE8ELNS1_3repE0EEENS1_30default_config_static_selectorELNS0_4arch9wavefront6targetE0EEEvSP_
		.amdhsa_group_segment_fixed_size 0
		.amdhsa_private_segment_fixed_size 0
		.amdhsa_kernarg_size 56
		.amdhsa_user_sgpr_count 6
		.amdhsa_user_sgpr_private_segment_buffer 1
		.amdhsa_user_sgpr_dispatch_ptr 0
		.amdhsa_user_sgpr_queue_ptr 0
		.amdhsa_user_sgpr_kernarg_segment_ptr 1
		.amdhsa_user_sgpr_dispatch_id 0
		.amdhsa_user_sgpr_flat_scratch_init 0
		.amdhsa_user_sgpr_private_segment_size 0
		.amdhsa_wavefront_size32 1
		.amdhsa_uses_dynamic_stack 0
		.amdhsa_system_sgpr_private_segment_wavefront_offset 0
		.amdhsa_system_sgpr_workgroup_id_x 1
		.amdhsa_system_sgpr_workgroup_id_y 0
		.amdhsa_system_sgpr_workgroup_id_z 0
		.amdhsa_system_sgpr_workgroup_info 0
		.amdhsa_system_vgpr_workitem_id 0
		.amdhsa_next_free_vgpr 1
		.amdhsa_next_free_sgpr 1
		.amdhsa_reserve_vcc 0
		.amdhsa_reserve_flat_scratch 0
		.amdhsa_float_round_mode_32 0
		.amdhsa_float_round_mode_16_64 0
		.amdhsa_float_denorm_mode_32 3
		.amdhsa_float_denorm_mode_16_64 3
		.amdhsa_dx10_clamp 1
		.amdhsa_ieee_mode 1
		.amdhsa_fp16_overflow 0
		.amdhsa_workgroup_processor_mode 1
		.amdhsa_memory_ordered 1
		.amdhsa_forward_progress 1
		.amdhsa_shared_vgpr_count 0
		.amdhsa_exception_fp_ieee_invalid_op 0
		.amdhsa_exception_fp_denorm_src 0
		.amdhsa_exception_fp_ieee_div_zero 0
		.amdhsa_exception_fp_ieee_overflow 0
		.amdhsa_exception_fp_ieee_underflow 0
		.amdhsa_exception_fp_ieee_inexact 0
		.amdhsa_exception_int_div_zero 0
	.end_amdhsa_kernel
	.section	.text._ZN7rocprim17ROCPRIM_400000_NS6detail17trampoline_kernelINS0_14default_configENS1_32segmented_reduce_config_selectorIdEEZNS1_21segmented_reduce_implIS3_PKdPdPKidN6hipcub16HIPCUB_304000_NS6detail27convert_result_type_wrapperIS8_S9_N2at6native12_GLOBAL__N_19CustomMaxEEEEE10hipError_tPvRmT0_T1_jT2_SQ_T4_T3_P12ihipStream_tbEUlT_E_NS1_11comp_targetILNS1_3genE4ELNS1_11target_archE910ELNS1_3gpuE8ELNS1_3repE0EEENS1_30default_config_static_selectorELNS0_4arch9wavefront6targetE0EEEvSP_,"axG",@progbits,_ZN7rocprim17ROCPRIM_400000_NS6detail17trampoline_kernelINS0_14default_configENS1_32segmented_reduce_config_selectorIdEEZNS1_21segmented_reduce_implIS3_PKdPdPKidN6hipcub16HIPCUB_304000_NS6detail27convert_result_type_wrapperIS8_S9_N2at6native12_GLOBAL__N_19CustomMaxEEEEE10hipError_tPvRmT0_T1_jT2_SQ_T4_T3_P12ihipStream_tbEUlT_E_NS1_11comp_targetILNS1_3genE4ELNS1_11target_archE910ELNS1_3gpuE8ELNS1_3repE0EEENS1_30default_config_static_selectorELNS0_4arch9wavefront6targetE0EEEvSP_,comdat
.Lfunc_end12:
	.size	_ZN7rocprim17ROCPRIM_400000_NS6detail17trampoline_kernelINS0_14default_configENS1_32segmented_reduce_config_selectorIdEEZNS1_21segmented_reduce_implIS3_PKdPdPKidN6hipcub16HIPCUB_304000_NS6detail27convert_result_type_wrapperIS8_S9_N2at6native12_GLOBAL__N_19CustomMaxEEEEE10hipError_tPvRmT0_T1_jT2_SQ_T4_T3_P12ihipStream_tbEUlT_E_NS1_11comp_targetILNS1_3genE4ELNS1_11target_archE910ELNS1_3gpuE8ELNS1_3repE0EEENS1_30default_config_static_selectorELNS0_4arch9wavefront6targetE0EEEvSP_, .Lfunc_end12-_ZN7rocprim17ROCPRIM_400000_NS6detail17trampoline_kernelINS0_14default_configENS1_32segmented_reduce_config_selectorIdEEZNS1_21segmented_reduce_implIS3_PKdPdPKidN6hipcub16HIPCUB_304000_NS6detail27convert_result_type_wrapperIS8_S9_N2at6native12_GLOBAL__N_19CustomMaxEEEEE10hipError_tPvRmT0_T1_jT2_SQ_T4_T3_P12ihipStream_tbEUlT_E_NS1_11comp_targetILNS1_3genE4ELNS1_11target_archE910ELNS1_3gpuE8ELNS1_3repE0EEENS1_30default_config_static_selectorELNS0_4arch9wavefront6targetE0EEEvSP_
                                        ; -- End function
	.set _ZN7rocprim17ROCPRIM_400000_NS6detail17trampoline_kernelINS0_14default_configENS1_32segmented_reduce_config_selectorIdEEZNS1_21segmented_reduce_implIS3_PKdPdPKidN6hipcub16HIPCUB_304000_NS6detail27convert_result_type_wrapperIS8_S9_N2at6native12_GLOBAL__N_19CustomMaxEEEEE10hipError_tPvRmT0_T1_jT2_SQ_T4_T3_P12ihipStream_tbEUlT_E_NS1_11comp_targetILNS1_3genE4ELNS1_11target_archE910ELNS1_3gpuE8ELNS1_3repE0EEENS1_30default_config_static_selectorELNS0_4arch9wavefront6targetE0EEEvSP_.num_vgpr, 0
	.set _ZN7rocprim17ROCPRIM_400000_NS6detail17trampoline_kernelINS0_14default_configENS1_32segmented_reduce_config_selectorIdEEZNS1_21segmented_reduce_implIS3_PKdPdPKidN6hipcub16HIPCUB_304000_NS6detail27convert_result_type_wrapperIS8_S9_N2at6native12_GLOBAL__N_19CustomMaxEEEEE10hipError_tPvRmT0_T1_jT2_SQ_T4_T3_P12ihipStream_tbEUlT_E_NS1_11comp_targetILNS1_3genE4ELNS1_11target_archE910ELNS1_3gpuE8ELNS1_3repE0EEENS1_30default_config_static_selectorELNS0_4arch9wavefront6targetE0EEEvSP_.num_agpr, 0
	.set _ZN7rocprim17ROCPRIM_400000_NS6detail17trampoline_kernelINS0_14default_configENS1_32segmented_reduce_config_selectorIdEEZNS1_21segmented_reduce_implIS3_PKdPdPKidN6hipcub16HIPCUB_304000_NS6detail27convert_result_type_wrapperIS8_S9_N2at6native12_GLOBAL__N_19CustomMaxEEEEE10hipError_tPvRmT0_T1_jT2_SQ_T4_T3_P12ihipStream_tbEUlT_E_NS1_11comp_targetILNS1_3genE4ELNS1_11target_archE910ELNS1_3gpuE8ELNS1_3repE0EEENS1_30default_config_static_selectorELNS0_4arch9wavefront6targetE0EEEvSP_.numbered_sgpr, 0
	.set _ZN7rocprim17ROCPRIM_400000_NS6detail17trampoline_kernelINS0_14default_configENS1_32segmented_reduce_config_selectorIdEEZNS1_21segmented_reduce_implIS3_PKdPdPKidN6hipcub16HIPCUB_304000_NS6detail27convert_result_type_wrapperIS8_S9_N2at6native12_GLOBAL__N_19CustomMaxEEEEE10hipError_tPvRmT0_T1_jT2_SQ_T4_T3_P12ihipStream_tbEUlT_E_NS1_11comp_targetILNS1_3genE4ELNS1_11target_archE910ELNS1_3gpuE8ELNS1_3repE0EEENS1_30default_config_static_selectorELNS0_4arch9wavefront6targetE0EEEvSP_.num_named_barrier, 0
	.set _ZN7rocprim17ROCPRIM_400000_NS6detail17trampoline_kernelINS0_14default_configENS1_32segmented_reduce_config_selectorIdEEZNS1_21segmented_reduce_implIS3_PKdPdPKidN6hipcub16HIPCUB_304000_NS6detail27convert_result_type_wrapperIS8_S9_N2at6native12_GLOBAL__N_19CustomMaxEEEEE10hipError_tPvRmT0_T1_jT2_SQ_T4_T3_P12ihipStream_tbEUlT_E_NS1_11comp_targetILNS1_3genE4ELNS1_11target_archE910ELNS1_3gpuE8ELNS1_3repE0EEENS1_30default_config_static_selectorELNS0_4arch9wavefront6targetE0EEEvSP_.private_seg_size, 0
	.set _ZN7rocprim17ROCPRIM_400000_NS6detail17trampoline_kernelINS0_14default_configENS1_32segmented_reduce_config_selectorIdEEZNS1_21segmented_reduce_implIS3_PKdPdPKidN6hipcub16HIPCUB_304000_NS6detail27convert_result_type_wrapperIS8_S9_N2at6native12_GLOBAL__N_19CustomMaxEEEEE10hipError_tPvRmT0_T1_jT2_SQ_T4_T3_P12ihipStream_tbEUlT_E_NS1_11comp_targetILNS1_3genE4ELNS1_11target_archE910ELNS1_3gpuE8ELNS1_3repE0EEENS1_30default_config_static_selectorELNS0_4arch9wavefront6targetE0EEEvSP_.uses_vcc, 0
	.set _ZN7rocprim17ROCPRIM_400000_NS6detail17trampoline_kernelINS0_14default_configENS1_32segmented_reduce_config_selectorIdEEZNS1_21segmented_reduce_implIS3_PKdPdPKidN6hipcub16HIPCUB_304000_NS6detail27convert_result_type_wrapperIS8_S9_N2at6native12_GLOBAL__N_19CustomMaxEEEEE10hipError_tPvRmT0_T1_jT2_SQ_T4_T3_P12ihipStream_tbEUlT_E_NS1_11comp_targetILNS1_3genE4ELNS1_11target_archE910ELNS1_3gpuE8ELNS1_3repE0EEENS1_30default_config_static_selectorELNS0_4arch9wavefront6targetE0EEEvSP_.uses_flat_scratch, 0
	.set _ZN7rocprim17ROCPRIM_400000_NS6detail17trampoline_kernelINS0_14default_configENS1_32segmented_reduce_config_selectorIdEEZNS1_21segmented_reduce_implIS3_PKdPdPKidN6hipcub16HIPCUB_304000_NS6detail27convert_result_type_wrapperIS8_S9_N2at6native12_GLOBAL__N_19CustomMaxEEEEE10hipError_tPvRmT0_T1_jT2_SQ_T4_T3_P12ihipStream_tbEUlT_E_NS1_11comp_targetILNS1_3genE4ELNS1_11target_archE910ELNS1_3gpuE8ELNS1_3repE0EEENS1_30default_config_static_selectorELNS0_4arch9wavefront6targetE0EEEvSP_.has_dyn_sized_stack, 0
	.set _ZN7rocprim17ROCPRIM_400000_NS6detail17trampoline_kernelINS0_14default_configENS1_32segmented_reduce_config_selectorIdEEZNS1_21segmented_reduce_implIS3_PKdPdPKidN6hipcub16HIPCUB_304000_NS6detail27convert_result_type_wrapperIS8_S9_N2at6native12_GLOBAL__N_19CustomMaxEEEEE10hipError_tPvRmT0_T1_jT2_SQ_T4_T3_P12ihipStream_tbEUlT_E_NS1_11comp_targetILNS1_3genE4ELNS1_11target_archE910ELNS1_3gpuE8ELNS1_3repE0EEENS1_30default_config_static_selectorELNS0_4arch9wavefront6targetE0EEEvSP_.has_recursion, 0
	.set _ZN7rocprim17ROCPRIM_400000_NS6detail17trampoline_kernelINS0_14default_configENS1_32segmented_reduce_config_selectorIdEEZNS1_21segmented_reduce_implIS3_PKdPdPKidN6hipcub16HIPCUB_304000_NS6detail27convert_result_type_wrapperIS8_S9_N2at6native12_GLOBAL__N_19CustomMaxEEEEE10hipError_tPvRmT0_T1_jT2_SQ_T4_T3_P12ihipStream_tbEUlT_E_NS1_11comp_targetILNS1_3genE4ELNS1_11target_archE910ELNS1_3gpuE8ELNS1_3repE0EEENS1_30default_config_static_selectorELNS0_4arch9wavefront6targetE0EEEvSP_.has_indirect_call, 0
	.section	.AMDGPU.csdata,"",@progbits
; Kernel info:
; codeLenInByte = 0
; TotalNumSgprs: 0
; NumVgprs: 0
; ScratchSize: 0
; MemoryBound: 0
; FloatMode: 240
; IeeeMode: 1
; LDSByteSize: 0 bytes/workgroup (compile time only)
; SGPRBlocks: 0
; VGPRBlocks: 0
; NumSGPRsForWavesPerEU: 1
; NumVGPRsForWavesPerEU: 1
; Occupancy: 16
; WaveLimiterHint : 0
; COMPUTE_PGM_RSRC2:SCRATCH_EN: 0
; COMPUTE_PGM_RSRC2:USER_SGPR: 6
; COMPUTE_PGM_RSRC2:TRAP_HANDLER: 0
; COMPUTE_PGM_RSRC2:TGID_X_EN: 1
; COMPUTE_PGM_RSRC2:TGID_Y_EN: 0
; COMPUTE_PGM_RSRC2:TGID_Z_EN: 0
; COMPUTE_PGM_RSRC2:TIDIG_COMP_CNT: 0
	.section	.text._ZN7rocprim17ROCPRIM_400000_NS6detail17trampoline_kernelINS0_14default_configENS1_32segmented_reduce_config_selectorIdEEZNS1_21segmented_reduce_implIS3_PKdPdPKidN6hipcub16HIPCUB_304000_NS6detail27convert_result_type_wrapperIS8_S9_N2at6native12_GLOBAL__N_19CustomMaxEEEEE10hipError_tPvRmT0_T1_jT2_SQ_T4_T3_P12ihipStream_tbEUlT_E_NS1_11comp_targetILNS1_3genE3ELNS1_11target_archE908ELNS1_3gpuE7ELNS1_3repE0EEENS1_30default_config_static_selectorELNS0_4arch9wavefront6targetE0EEEvSP_,"axG",@progbits,_ZN7rocprim17ROCPRIM_400000_NS6detail17trampoline_kernelINS0_14default_configENS1_32segmented_reduce_config_selectorIdEEZNS1_21segmented_reduce_implIS3_PKdPdPKidN6hipcub16HIPCUB_304000_NS6detail27convert_result_type_wrapperIS8_S9_N2at6native12_GLOBAL__N_19CustomMaxEEEEE10hipError_tPvRmT0_T1_jT2_SQ_T4_T3_P12ihipStream_tbEUlT_E_NS1_11comp_targetILNS1_3genE3ELNS1_11target_archE908ELNS1_3gpuE7ELNS1_3repE0EEENS1_30default_config_static_selectorELNS0_4arch9wavefront6targetE0EEEvSP_,comdat
	.globl	_ZN7rocprim17ROCPRIM_400000_NS6detail17trampoline_kernelINS0_14default_configENS1_32segmented_reduce_config_selectorIdEEZNS1_21segmented_reduce_implIS3_PKdPdPKidN6hipcub16HIPCUB_304000_NS6detail27convert_result_type_wrapperIS8_S9_N2at6native12_GLOBAL__N_19CustomMaxEEEEE10hipError_tPvRmT0_T1_jT2_SQ_T4_T3_P12ihipStream_tbEUlT_E_NS1_11comp_targetILNS1_3genE3ELNS1_11target_archE908ELNS1_3gpuE7ELNS1_3repE0EEENS1_30default_config_static_selectorELNS0_4arch9wavefront6targetE0EEEvSP_ ; -- Begin function _ZN7rocprim17ROCPRIM_400000_NS6detail17trampoline_kernelINS0_14default_configENS1_32segmented_reduce_config_selectorIdEEZNS1_21segmented_reduce_implIS3_PKdPdPKidN6hipcub16HIPCUB_304000_NS6detail27convert_result_type_wrapperIS8_S9_N2at6native12_GLOBAL__N_19CustomMaxEEEEE10hipError_tPvRmT0_T1_jT2_SQ_T4_T3_P12ihipStream_tbEUlT_E_NS1_11comp_targetILNS1_3genE3ELNS1_11target_archE908ELNS1_3gpuE7ELNS1_3repE0EEENS1_30default_config_static_selectorELNS0_4arch9wavefront6targetE0EEEvSP_
	.p2align	8
	.type	_ZN7rocprim17ROCPRIM_400000_NS6detail17trampoline_kernelINS0_14default_configENS1_32segmented_reduce_config_selectorIdEEZNS1_21segmented_reduce_implIS3_PKdPdPKidN6hipcub16HIPCUB_304000_NS6detail27convert_result_type_wrapperIS8_S9_N2at6native12_GLOBAL__N_19CustomMaxEEEEE10hipError_tPvRmT0_T1_jT2_SQ_T4_T3_P12ihipStream_tbEUlT_E_NS1_11comp_targetILNS1_3genE3ELNS1_11target_archE908ELNS1_3gpuE7ELNS1_3repE0EEENS1_30default_config_static_selectorELNS0_4arch9wavefront6targetE0EEEvSP_,@function
_ZN7rocprim17ROCPRIM_400000_NS6detail17trampoline_kernelINS0_14default_configENS1_32segmented_reduce_config_selectorIdEEZNS1_21segmented_reduce_implIS3_PKdPdPKidN6hipcub16HIPCUB_304000_NS6detail27convert_result_type_wrapperIS8_S9_N2at6native12_GLOBAL__N_19CustomMaxEEEEE10hipError_tPvRmT0_T1_jT2_SQ_T4_T3_P12ihipStream_tbEUlT_E_NS1_11comp_targetILNS1_3genE3ELNS1_11target_archE908ELNS1_3gpuE7ELNS1_3repE0EEENS1_30default_config_static_selectorELNS0_4arch9wavefront6targetE0EEEvSP_: ; @_ZN7rocprim17ROCPRIM_400000_NS6detail17trampoline_kernelINS0_14default_configENS1_32segmented_reduce_config_selectorIdEEZNS1_21segmented_reduce_implIS3_PKdPdPKidN6hipcub16HIPCUB_304000_NS6detail27convert_result_type_wrapperIS8_S9_N2at6native12_GLOBAL__N_19CustomMaxEEEEE10hipError_tPvRmT0_T1_jT2_SQ_T4_T3_P12ihipStream_tbEUlT_E_NS1_11comp_targetILNS1_3genE3ELNS1_11target_archE908ELNS1_3gpuE7ELNS1_3repE0EEENS1_30default_config_static_selectorELNS0_4arch9wavefront6targetE0EEEvSP_
; %bb.0:
	.section	.rodata,"a",@progbits
	.p2align	6, 0x0
	.amdhsa_kernel _ZN7rocprim17ROCPRIM_400000_NS6detail17trampoline_kernelINS0_14default_configENS1_32segmented_reduce_config_selectorIdEEZNS1_21segmented_reduce_implIS3_PKdPdPKidN6hipcub16HIPCUB_304000_NS6detail27convert_result_type_wrapperIS8_S9_N2at6native12_GLOBAL__N_19CustomMaxEEEEE10hipError_tPvRmT0_T1_jT2_SQ_T4_T3_P12ihipStream_tbEUlT_E_NS1_11comp_targetILNS1_3genE3ELNS1_11target_archE908ELNS1_3gpuE7ELNS1_3repE0EEENS1_30default_config_static_selectorELNS0_4arch9wavefront6targetE0EEEvSP_
		.amdhsa_group_segment_fixed_size 0
		.amdhsa_private_segment_fixed_size 0
		.amdhsa_kernarg_size 56
		.amdhsa_user_sgpr_count 6
		.amdhsa_user_sgpr_private_segment_buffer 1
		.amdhsa_user_sgpr_dispatch_ptr 0
		.amdhsa_user_sgpr_queue_ptr 0
		.amdhsa_user_sgpr_kernarg_segment_ptr 1
		.amdhsa_user_sgpr_dispatch_id 0
		.amdhsa_user_sgpr_flat_scratch_init 0
		.amdhsa_user_sgpr_private_segment_size 0
		.amdhsa_wavefront_size32 1
		.amdhsa_uses_dynamic_stack 0
		.amdhsa_system_sgpr_private_segment_wavefront_offset 0
		.amdhsa_system_sgpr_workgroup_id_x 1
		.amdhsa_system_sgpr_workgroup_id_y 0
		.amdhsa_system_sgpr_workgroup_id_z 0
		.amdhsa_system_sgpr_workgroup_info 0
		.amdhsa_system_vgpr_workitem_id 0
		.amdhsa_next_free_vgpr 1
		.amdhsa_next_free_sgpr 1
		.amdhsa_reserve_vcc 0
		.amdhsa_reserve_flat_scratch 0
		.amdhsa_float_round_mode_32 0
		.amdhsa_float_round_mode_16_64 0
		.amdhsa_float_denorm_mode_32 3
		.amdhsa_float_denorm_mode_16_64 3
		.amdhsa_dx10_clamp 1
		.amdhsa_ieee_mode 1
		.amdhsa_fp16_overflow 0
		.amdhsa_workgroup_processor_mode 1
		.amdhsa_memory_ordered 1
		.amdhsa_forward_progress 1
		.amdhsa_shared_vgpr_count 0
		.amdhsa_exception_fp_ieee_invalid_op 0
		.amdhsa_exception_fp_denorm_src 0
		.amdhsa_exception_fp_ieee_div_zero 0
		.amdhsa_exception_fp_ieee_overflow 0
		.amdhsa_exception_fp_ieee_underflow 0
		.amdhsa_exception_fp_ieee_inexact 0
		.amdhsa_exception_int_div_zero 0
	.end_amdhsa_kernel
	.section	.text._ZN7rocprim17ROCPRIM_400000_NS6detail17trampoline_kernelINS0_14default_configENS1_32segmented_reduce_config_selectorIdEEZNS1_21segmented_reduce_implIS3_PKdPdPKidN6hipcub16HIPCUB_304000_NS6detail27convert_result_type_wrapperIS8_S9_N2at6native12_GLOBAL__N_19CustomMaxEEEEE10hipError_tPvRmT0_T1_jT2_SQ_T4_T3_P12ihipStream_tbEUlT_E_NS1_11comp_targetILNS1_3genE3ELNS1_11target_archE908ELNS1_3gpuE7ELNS1_3repE0EEENS1_30default_config_static_selectorELNS0_4arch9wavefront6targetE0EEEvSP_,"axG",@progbits,_ZN7rocprim17ROCPRIM_400000_NS6detail17trampoline_kernelINS0_14default_configENS1_32segmented_reduce_config_selectorIdEEZNS1_21segmented_reduce_implIS3_PKdPdPKidN6hipcub16HIPCUB_304000_NS6detail27convert_result_type_wrapperIS8_S9_N2at6native12_GLOBAL__N_19CustomMaxEEEEE10hipError_tPvRmT0_T1_jT2_SQ_T4_T3_P12ihipStream_tbEUlT_E_NS1_11comp_targetILNS1_3genE3ELNS1_11target_archE908ELNS1_3gpuE7ELNS1_3repE0EEENS1_30default_config_static_selectorELNS0_4arch9wavefront6targetE0EEEvSP_,comdat
.Lfunc_end13:
	.size	_ZN7rocprim17ROCPRIM_400000_NS6detail17trampoline_kernelINS0_14default_configENS1_32segmented_reduce_config_selectorIdEEZNS1_21segmented_reduce_implIS3_PKdPdPKidN6hipcub16HIPCUB_304000_NS6detail27convert_result_type_wrapperIS8_S9_N2at6native12_GLOBAL__N_19CustomMaxEEEEE10hipError_tPvRmT0_T1_jT2_SQ_T4_T3_P12ihipStream_tbEUlT_E_NS1_11comp_targetILNS1_3genE3ELNS1_11target_archE908ELNS1_3gpuE7ELNS1_3repE0EEENS1_30default_config_static_selectorELNS0_4arch9wavefront6targetE0EEEvSP_, .Lfunc_end13-_ZN7rocprim17ROCPRIM_400000_NS6detail17trampoline_kernelINS0_14default_configENS1_32segmented_reduce_config_selectorIdEEZNS1_21segmented_reduce_implIS3_PKdPdPKidN6hipcub16HIPCUB_304000_NS6detail27convert_result_type_wrapperIS8_S9_N2at6native12_GLOBAL__N_19CustomMaxEEEEE10hipError_tPvRmT0_T1_jT2_SQ_T4_T3_P12ihipStream_tbEUlT_E_NS1_11comp_targetILNS1_3genE3ELNS1_11target_archE908ELNS1_3gpuE7ELNS1_3repE0EEENS1_30default_config_static_selectorELNS0_4arch9wavefront6targetE0EEEvSP_
                                        ; -- End function
	.set _ZN7rocprim17ROCPRIM_400000_NS6detail17trampoline_kernelINS0_14default_configENS1_32segmented_reduce_config_selectorIdEEZNS1_21segmented_reduce_implIS3_PKdPdPKidN6hipcub16HIPCUB_304000_NS6detail27convert_result_type_wrapperIS8_S9_N2at6native12_GLOBAL__N_19CustomMaxEEEEE10hipError_tPvRmT0_T1_jT2_SQ_T4_T3_P12ihipStream_tbEUlT_E_NS1_11comp_targetILNS1_3genE3ELNS1_11target_archE908ELNS1_3gpuE7ELNS1_3repE0EEENS1_30default_config_static_selectorELNS0_4arch9wavefront6targetE0EEEvSP_.num_vgpr, 0
	.set _ZN7rocprim17ROCPRIM_400000_NS6detail17trampoline_kernelINS0_14default_configENS1_32segmented_reduce_config_selectorIdEEZNS1_21segmented_reduce_implIS3_PKdPdPKidN6hipcub16HIPCUB_304000_NS6detail27convert_result_type_wrapperIS8_S9_N2at6native12_GLOBAL__N_19CustomMaxEEEEE10hipError_tPvRmT0_T1_jT2_SQ_T4_T3_P12ihipStream_tbEUlT_E_NS1_11comp_targetILNS1_3genE3ELNS1_11target_archE908ELNS1_3gpuE7ELNS1_3repE0EEENS1_30default_config_static_selectorELNS0_4arch9wavefront6targetE0EEEvSP_.num_agpr, 0
	.set _ZN7rocprim17ROCPRIM_400000_NS6detail17trampoline_kernelINS0_14default_configENS1_32segmented_reduce_config_selectorIdEEZNS1_21segmented_reduce_implIS3_PKdPdPKidN6hipcub16HIPCUB_304000_NS6detail27convert_result_type_wrapperIS8_S9_N2at6native12_GLOBAL__N_19CustomMaxEEEEE10hipError_tPvRmT0_T1_jT2_SQ_T4_T3_P12ihipStream_tbEUlT_E_NS1_11comp_targetILNS1_3genE3ELNS1_11target_archE908ELNS1_3gpuE7ELNS1_3repE0EEENS1_30default_config_static_selectorELNS0_4arch9wavefront6targetE0EEEvSP_.numbered_sgpr, 0
	.set _ZN7rocprim17ROCPRIM_400000_NS6detail17trampoline_kernelINS0_14default_configENS1_32segmented_reduce_config_selectorIdEEZNS1_21segmented_reduce_implIS3_PKdPdPKidN6hipcub16HIPCUB_304000_NS6detail27convert_result_type_wrapperIS8_S9_N2at6native12_GLOBAL__N_19CustomMaxEEEEE10hipError_tPvRmT0_T1_jT2_SQ_T4_T3_P12ihipStream_tbEUlT_E_NS1_11comp_targetILNS1_3genE3ELNS1_11target_archE908ELNS1_3gpuE7ELNS1_3repE0EEENS1_30default_config_static_selectorELNS0_4arch9wavefront6targetE0EEEvSP_.num_named_barrier, 0
	.set _ZN7rocprim17ROCPRIM_400000_NS6detail17trampoline_kernelINS0_14default_configENS1_32segmented_reduce_config_selectorIdEEZNS1_21segmented_reduce_implIS3_PKdPdPKidN6hipcub16HIPCUB_304000_NS6detail27convert_result_type_wrapperIS8_S9_N2at6native12_GLOBAL__N_19CustomMaxEEEEE10hipError_tPvRmT0_T1_jT2_SQ_T4_T3_P12ihipStream_tbEUlT_E_NS1_11comp_targetILNS1_3genE3ELNS1_11target_archE908ELNS1_3gpuE7ELNS1_3repE0EEENS1_30default_config_static_selectorELNS0_4arch9wavefront6targetE0EEEvSP_.private_seg_size, 0
	.set _ZN7rocprim17ROCPRIM_400000_NS6detail17trampoline_kernelINS0_14default_configENS1_32segmented_reduce_config_selectorIdEEZNS1_21segmented_reduce_implIS3_PKdPdPKidN6hipcub16HIPCUB_304000_NS6detail27convert_result_type_wrapperIS8_S9_N2at6native12_GLOBAL__N_19CustomMaxEEEEE10hipError_tPvRmT0_T1_jT2_SQ_T4_T3_P12ihipStream_tbEUlT_E_NS1_11comp_targetILNS1_3genE3ELNS1_11target_archE908ELNS1_3gpuE7ELNS1_3repE0EEENS1_30default_config_static_selectorELNS0_4arch9wavefront6targetE0EEEvSP_.uses_vcc, 0
	.set _ZN7rocprim17ROCPRIM_400000_NS6detail17trampoline_kernelINS0_14default_configENS1_32segmented_reduce_config_selectorIdEEZNS1_21segmented_reduce_implIS3_PKdPdPKidN6hipcub16HIPCUB_304000_NS6detail27convert_result_type_wrapperIS8_S9_N2at6native12_GLOBAL__N_19CustomMaxEEEEE10hipError_tPvRmT0_T1_jT2_SQ_T4_T3_P12ihipStream_tbEUlT_E_NS1_11comp_targetILNS1_3genE3ELNS1_11target_archE908ELNS1_3gpuE7ELNS1_3repE0EEENS1_30default_config_static_selectorELNS0_4arch9wavefront6targetE0EEEvSP_.uses_flat_scratch, 0
	.set _ZN7rocprim17ROCPRIM_400000_NS6detail17trampoline_kernelINS0_14default_configENS1_32segmented_reduce_config_selectorIdEEZNS1_21segmented_reduce_implIS3_PKdPdPKidN6hipcub16HIPCUB_304000_NS6detail27convert_result_type_wrapperIS8_S9_N2at6native12_GLOBAL__N_19CustomMaxEEEEE10hipError_tPvRmT0_T1_jT2_SQ_T4_T3_P12ihipStream_tbEUlT_E_NS1_11comp_targetILNS1_3genE3ELNS1_11target_archE908ELNS1_3gpuE7ELNS1_3repE0EEENS1_30default_config_static_selectorELNS0_4arch9wavefront6targetE0EEEvSP_.has_dyn_sized_stack, 0
	.set _ZN7rocprim17ROCPRIM_400000_NS6detail17trampoline_kernelINS0_14default_configENS1_32segmented_reduce_config_selectorIdEEZNS1_21segmented_reduce_implIS3_PKdPdPKidN6hipcub16HIPCUB_304000_NS6detail27convert_result_type_wrapperIS8_S9_N2at6native12_GLOBAL__N_19CustomMaxEEEEE10hipError_tPvRmT0_T1_jT2_SQ_T4_T3_P12ihipStream_tbEUlT_E_NS1_11comp_targetILNS1_3genE3ELNS1_11target_archE908ELNS1_3gpuE7ELNS1_3repE0EEENS1_30default_config_static_selectorELNS0_4arch9wavefront6targetE0EEEvSP_.has_recursion, 0
	.set _ZN7rocprim17ROCPRIM_400000_NS6detail17trampoline_kernelINS0_14default_configENS1_32segmented_reduce_config_selectorIdEEZNS1_21segmented_reduce_implIS3_PKdPdPKidN6hipcub16HIPCUB_304000_NS6detail27convert_result_type_wrapperIS8_S9_N2at6native12_GLOBAL__N_19CustomMaxEEEEE10hipError_tPvRmT0_T1_jT2_SQ_T4_T3_P12ihipStream_tbEUlT_E_NS1_11comp_targetILNS1_3genE3ELNS1_11target_archE908ELNS1_3gpuE7ELNS1_3repE0EEENS1_30default_config_static_selectorELNS0_4arch9wavefront6targetE0EEEvSP_.has_indirect_call, 0
	.section	.AMDGPU.csdata,"",@progbits
; Kernel info:
; codeLenInByte = 0
; TotalNumSgprs: 0
; NumVgprs: 0
; ScratchSize: 0
; MemoryBound: 0
; FloatMode: 240
; IeeeMode: 1
; LDSByteSize: 0 bytes/workgroup (compile time only)
; SGPRBlocks: 0
; VGPRBlocks: 0
; NumSGPRsForWavesPerEU: 1
; NumVGPRsForWavesPerEU: 1
; Occupancy: 16
; WaveLimiterHint : 0
; COMPUTE_PGM_RSRC2:SCRATCH_EN: 0
; COMPUTE_PGM_RSRC2:USER_SGPR: 6
; COMPUTE_PGM_RSRC2:TRAP_HANDLER: 0
; COMPUTE_PGM_RSRC2:TGID_X_EN: 1
; COMPUTE_PGM_RSRC2:TGID_Y_EN: 0
; COMPUTE_PGM_RSRC2:TGID_Z_EN: 0
; COMPUTE_PGM_RSRC2:TIDIG_COMP_CNT: 0
	.section	.text._ZN7rocprim17ROCPRIM_400000_NS6detail17trampoline_kernelINS0_14default_configENS1_32segmented_reduce_config_selectorIdEEZNS1_21segmented_reduce_implIS3_PKdPdPKidN6hipcub16HIPCUB_304000_NS6detail27convert_result_type_wrapperIS8_S9_N2at6native12_GLOBAL__N_19CustomMaxEEEEE10hipError_tPvRmT0_T1_jT2_SQ_T4_T3_P12ihipStream_tbEUlT_E_NS1_11comp_targetILNS1_3genE2ELNS1_11target_archE906ELNS1_3gpuE6ELNS1_3repE0EEENS1_30default_config_static_selectorELNS0_4arch9wavefront6targetE0EEEvSP_,"axG",@progbits,_ZN7rocprim17ROCPRIM_400000_NS6detail17trampoline_kernelINS0_14default_configENS1_32segmented_reduce_config_selectorIdEEZNS1_21segmented_reduce_implIS3_PKdPdPKidN6hipcub16HIPCUB_304000_NS6detail27convert_result_type_wrapperIS8_S9_N2at6native12_GLOBAL__N_19CustomMaxEEEEE10hipError_tPvRmT0_T1_jT2_SQ_T4_T3_P12ihipStream_tbEUlT_E_NS1_11comp_targetILNS1_3genE2ELNS1_11target_archE906ELNS1_3gpuE6ELNS1_3repE0EEENS1_30default_config_static_selectorELNS0_4arch9wavefront6targetE0EEEvSP_,comdat
	.globl	_ZN7rocprim17ROCPRIM_400000_NS6detail17trampoline_kernelINS0_14default_configENS1_32segmented_reduce_config_selectorIdEEZNS1_21segmented_reduce_implIS3_PKdPdPKidN6hipcub16HIPCUB_304000_NS6detail27convert_result_type_wrapperIS8_S9_N2at6native12_GLOBAL__N_19CustomMaxEEEEE10hipError_tPvRmT0_T1_jT2_SQ_T4_T3_P12ihipStream_tbEUlT_E_NS1_11comp_targetILNS1_3genE2ELNS1_11target_archE906ELNS1_3gpuE6ELNS1_3repE0EEENS1_30default_config_static_selectorELNS0_4arch9wavefront6targetE0EEEvSP_ ; -- Begin function _ZN7rocprim17ROCPRIM_400000_NS6detail17trampoline_kernelINS0_14default_configENS1_32segmented_reduce_config_selectorIdEEZNS1_21segmented_reduce_implIS3_PKdPdPKidN6hipcub16HIPCUB_304000_NS6detail27convert_result_type_wrapperIS8_S9_N2at6native12_GLOBAL__N_19CustomMaxEEEEE10hipError_tPvRmT0_T1_jT2_SQ_T4_T3_P12ihipStream_tbEUlT_E_NS1_11comp_targetILNS1_3genE2ELNS1_11target_archE906ELNS1_3gpuE6ELNS1_3repE0EEENS1_30default_config_static_selectorELNS0_4arch9wavefront6targetE0EEEvSP_
	.p2align	8
	.type	_ZN7rocprim17ROCPRIM_400000_NS6detail17trampoline_kernelINS0_14default_configENS1_32segmented_reduce_config_selectorIdEEZNS1_21segmented_reduce_implIS3_PKdPdPKidN6hipcub16HIPCUB_304000_NS6detail27convert_result_type_wrapperIS8_S9_N2at6native12_GLOBAL__N_19CustomMaxEEEEE10hipError_tPvRmT0_T1_jT2_SQ_T4_T3_P12ihipStream_tbEUlT_E_NS1_11comp_targetILNS1_3genE2ELNS1_11target_archE906ELNS1_3gpuE6ELNS1_3repE0EEENS1_30default_config_static_selectorELNS0_4arch9wavefront6targetE0EEEvSP_,@function
_ZN7rocprim17ROCPRIM_400000_NS6detail17trampoline_kernelINS0_14default_configENS1_32segmented_reduce_config_selectorIdEEZNS1_21segmented_reduce_implIS3_PKdPdPKidN6hipcub16HIPCUB_304000_NS6detail27convert_result_type_wrapperIS8_S9_N2at6native12_GLOBAL__N_19CustomMaxEEEEE10hipError_tPvRmT0_T1_jT2_SQ_T4_T3_P12ihipStream_tbEUlT_E_NS1_11comp_targetILNS1_3genE2ELNS1_11target_archE906ELNS1_3gpuE6ELNS1_3repE0EEENS1_30default_config_static_selectorELNS0_4arch9wavefront6targetE0EEEvSP_: ; @_ZN7rocprim17ROCPRIM_400000_NS6detail17trampoline_kernelINS0_14default_configENS1_32segmented_reduce_config_selectorIdEEZNS1_21segmented_reduce_implIS3_PKdPdPKidN6hipcub16HIPCUB_304000_NS6detail27convert_result_type_wrapperIS8_S9_N2at6native12_GLOBAL__N_19CustomMaxEEEEE10hipError_tPvRmT0_T1_jT2_SQ_T4_T3_P12ihipStream_tbEUlT_E_NS1_11comp_targetILNS1_3genE2ELNS1_11target_archE906ELNS1_3gpuE6ELNS1_3repE0EEENS1_30default_config_static_selectorELNS0_4arch9wavefront6targetE0EEEvSP_
; %bb.0:
	.section	.rodata,"a",@progbits
	.p2align	6, 0x0
	.amdhsa_kernel _ZN7rocprim17ROCPRIM_400000_NS6detail17trampoline_kernelINS0_14default_configENS1_32segmented_reduce_config_selectorIdEEZNS1_21segmented_reduce_implIS3_PKdPdPKidN6hipcub16HIPCUB_304000_NS6detail27convert_result_type_wrapperIS8_S9_N2at6native12_GLOBAL__N_19CustomMaxEEEEE10hipError_tPvRmT0_T1_jT2_SQ_T4_T3_P12ihipStream_tbEUlT_E_NS1_11comp_targetILNS1_3genE2ELNS1_11target_archE906ELNS1_3gpuE6ELNS1_3repE0EEENS1_30default_config_static_selectorELNS0_4arch9wavefront6targetE0EEEvSP_
		.amdhsa_group_segment_fixed_size 0
		.amdhsa_private_segment_fixed_size 0
		.amdhsa_kernarg_size 56
		.amdhsa_user_sgpr_count 6
		.amdhsa_user_sgpr_private_segment_buffer 1
		.amdhsa_user_sgpr_dispatch_ptr 0
		.amdhsa_user_sgpr_queue_ptr 0
		.amdhsa_user_sgpr_kernarg_segment_ptr 1
		.amdhsa_user_sgpr_dispatch_id 0
		.amdhsa_user_sgpr_flat_scratch_init 0
		.amdhsa_user_sgpr_private_segment_size 0
		.amdhsa_wavefront_size32 1
		.amdhsa_uses_dynamic_stack 0
		.amdhsa_system_sgpr_private_segment_wavefront_offset 0
		.amdhsa_system_sgpr_workgroup_id_x 1
		.amdhsa_system_sgpr_workgroup_id_y 0
		.amdhsa_system_sgpr_workgroup_id_z 0
		.amdhsa_system_sgpr_workgroup_info 0
		.amdhsa_system_vgpr_workitem_id 0
		.amdhsa_next_free_vgpr 1
		.amdhsa_next_free_sgpr 1
		.amdhsa_reserve_vcc 0
		.amdhsa_reserve_flat_scratch 0
		.amdhsa_float_round_mode_32 0
		.amdhsa_float_round_mode_16_64 0
		.amdhsa_float_denorm_mode_32 3
		.amdhsa_float_denorm_mode_16_64 3
		.amdhsa_dx10_clamp 1
		.amdhsa_ieee_mode 1
		.amdhsa_fp16_overflow 0
		.amdhsa_workgroup_processor_mode 1
		.amdhsa_memory_ordered 1
		.amdhsa_forward_progress 1
		.amdhsa_shared_vgpr_count 0
		.amdhsa_exception_fp_ieee_invalid_op 0
		.amdhsa_exception_fp_denorm_src 0
		.amdhsa_exception_fp_ieee_div_zero 0
		.amdhsa_exception_fp_ieee_overflow 0
		.amdhsa_exception_fp_ieee_underflow 0
		.amdhsa_exception_fp_ieee_inexact 0
		.amdhsa_exception_int_div_zero 0
	.end_amdhsa_kernel
	.section	.text._ZN7rocprim17ROCPRIM_400000_NS6detail17trampoline_kernelINS0_14default_configENS1_32segmented_reduce_config_selectorIdEEZNS1_21segmented_reduce_implIS3_PKdPdPKidN6hipcub16HIPCUB_304000_NS6detail27convert_result_type_wrapperIS8_S9_N2at6native12_GLOBAL__N_19CustomMaxEEEEE10hipError_tPvRmT0_T1_jT2_SQ_T4_T3_P12ihipStream_tbEUlT_E_NS1_11comp_targetILNS1_3genE2ELNS1_11target_archE906ELNS1_3gpuE6ELNS1_3repE0EEENS1_30default_config_static_selectorELNS0_4arch9wavefront6targetE0EEEvSP_,"axG",@progbits,_ZN7rocprim17ROCPRIM_400000_NS6detail17trampoline_kernelINS0_14default_configENS1_32segmented_reduce_config_selectorIdEEZNS1_21segmented_reduce_implIS3_PKdPdPKidN6hipcub16HIPCUB_304000_NS6detail27convert_result_type_wrapperIS8_S9_N2at6native12_GLOBAL__N_19CustomMaxEEEEE10hipError_tPvRmT0_T1_jT2_SQ_T4_T3_P12ihipStream_tbEUlT_E_NS1_11comp_targetILNS1_3genE2ELNS1_11target_archE906ELNS1_3gpuE6ELNS1_3repE0EEENS1_30default_config_static_selectorELNS0_4arch9wavefront6targetE0EEEvSP_,comdat
.Lfunc_end14:
	.size	_ZN7rocprim17ROCPRIM_400000_NS6detail17trampoline_kernelINS0_14default_configENS1_32segmented_reduce_config_selectorIdEEZNS1_21segmented_reduce_implIS3_PKdPdPKidN6hipcub16HIPCUB_304000_NS6detail27convert_result_type_wrapperIS8_S9_N2at6native12_GLOBAL__N_19CustomMaxEEEEE10hipError_tPvRmT0_T1_jT2_SQ_T4_T3_P12ihipStream_tbEUlT_E_NS1_11comp_targetILNS1_3genE2ELNS1_11target_archE906ELNS1_3gpuE6ELNS1_3repE0EEENS1_30default_config_static_selectorELNS0_4arch9wavefront6targetE0EEEvSP_, .Lfunc_end14-_ZN7rocprim17ROCPRIM_400000_NS6detail17trampoline_kernelINS0_14default_configENS1_32segmented_reduce_config_selectorIdEEZNS1_21segmented_reduce_implIS3_PKdPdPKidN6hipcub16HIPCUB_304000_NS6detail27convert_result_type_wrapperIS8_S9_N2at6native12_GLOBAL__N_19CustomMaxEEEEE10hipError_tPvRmT0_T1_jT2_SQ_T4_T3_P12ihipStream_tbEUlT_E_NS1_11comp_targetILNS1_3genE2ELNS1_11target_archE906ELNS1_3gpuE6ELNS1_3repE0EEENS1_30default_config_static_selectorELNS0_4arch9wavefront6targetE0EEEvSP_
                                        ; -- End function
	.set _ZN7rocprim17ROCPRIM_400000_NS6detail17trampoline_kernelINS0_14default_configENS1_32segmented_reduce_config_selectorIdEEZNS1_21segmented_reduce_implIS3_PKdPdPKidN6hipcub16HIPCUB_304000_NS6detail27convert_result_type_wrapperIS8_S9_N2at6native12_GLOBAL__N_19CustomMaxEEEEE10hipError_tPvRmT0_T1_jT2_SQ_T4_T3_P12ihipStream_tbEUlT_E_NS1_11comp_targetILNS1_3genE2ELNS1_11target_archE906ELNS1_3gpuE6ELNS1_3repE0EEENS1_30default_config_static_selectorELNS0_4arch9wavefront6targetE0EEEvSP_.num_vgpr, 0
	.set _ZN7rocprim17ROCPRIM_400000_NS6detail17trampoline_kernelINS0_14default_configENS1_32segmented_reduce_config_selectorIdEEZNS1_21segmented_reduce_implIS3_PKdPdPKidN6hipcub16HIPCUB_304000_NS6detail27convert_result_type_wrapperIS8_S9_N2at6native12_GLOBAL__N_19CustomMaxEEEEE10hipError_tPvRmT0_T1_jT2_SQ_T4_T3_P12ihipStream_tbEUlT_E_NS1_11comp_targetILNS1_3genE2ELNS1_11target_archE906ELNS1_3gpuE6ELNS1_3repE0EEENS1_30default_config_static_selectorELNS0_4arch9wavefront6targetE0EEEvSP_.num_agpr, 0
	.set _ZN7rocprim17ROCPRIM_400000_NS6detail17trampoline_kernelINS0_14default_configENS1_32segmented_reduce_config_selectorIdEEZNS1_21segmented_reduce_implIS3_PKdPdPKidN6hipcub16HIPCUB_304000_NS6detail27convert_result_type_wrapperIS8_S9_N2at6native12_GLOBAL__N_19CustomMaxEEEEE10hipError_tPvRmT0_T1_jT2_SQ_T4_T3_P12ihipStream_tbEUlT_E_NS1_11comp_targetILNS1_3genE2ELNS1_11target_archE906ELNS1_3gpuE6ELNS1_3repE0EEENS1_30default_config_static_selectorELNS0_4arch9wavefront6targetE0EEEvSP_.numbered_sgpr, 0
	.set _ZN7rocprim17ROCPRIM_400000_NS6detail17trampoline_kernelINS0_14default_configENS1_32segmented_reduce_config_selectorIdEEZNS1_21segmented_reduce_implIS3_PKdPdPKidN6hipcub16HIPCUB_304000_NS6detail27convert_result_type_wrapperIS8_S9_N2at6native12_GLOBAL__N_19CustomMaxEEEEE10hipError_tPvRmT0_T1_jT2_SQ_T4_T3_P12ihipStream_tbEUlT_E_NS1_11comp_targetILNS1_3genE2ELNS1_11target_archE906ELNS1_3gpuE6ELNS1_3repE0EEENS1_30default_config_static_selectorELNS0_4arch9wavefront6targetE0EEEvSP_.num_named_barrier, 0
	.set _ZN7rocprim17ROCPRIM_400000_NS6detail17trampoline_kernelINS0_14default_configENS1_32segmented_reduce_config_selectorIdEEZNS1_21segmented_reduce_implIS3_PKdPdPKidN6hipcub16HIPCUB_304000_NS6detail27convert_result_type_wrapperIS8_S9_N2at6native12_GLOBAL__N_19CustomMaxEEEEE10hipError_tPvRmT0_T1_jT2_SQ_T4_T3_P12ihipStream_tbEUlT_E_NS1_11comp_targetILNS1_3genE2ELNS1_11target_archE906ELNS1_3gpuE6ELNS1_3repE0EEENS1_30default_config_static_selectorELNS0_4arch9wavefront6targetE0EEEvSP_.private_seg_size, 0
	.set _ZN7rocprim17ROCPRIM_400000_NS6detail17trampoline_kernelINS0_14default_configENS1_32segmented_reduce_config_selectorIdEEZNS1_21segmented_reduce_implIS3_PKdPdPKidN6hipcub16HIPCUB_304000_NS6detail27convert_result_type_wrapperIS8_S9_N2at6native12_GLOBAL__N_19CustomMaxEEEEE10hipError_tPvRmT0_T1_jT2_SQ_T4_T3_P12ihipStream_tbEUlT_E_NS1_11comp_targetILNS1_3genE2ELNS1_11target_archE906ELNS1_3gpuE6ELNS1_3repE0EEENS1_30default_config_static_selectorELNS0_4arch9wavefront6targetE0EEEvSP_.uses_vcc, 0
	.set _ZN7rocprim17ROCPRIM_400000_NS6detail17trampoline_kernelINS0_14default_configENS1_32segmented_reduce_config_selectorIdEEZNS1_21segmented_reduce_implIS3_PKdPdPKidN6hipcub16HIPCUB_304000_NS6detail27convert_result_type_wrapperIS8_S9_N2at6native12_GLOBAL__N_19CustomMaxEEEEE10hipError_tPvRmT0_T1_jT2_SQ_T4_T3_P12ihipStream_tbEUlT_E_NS1_11comp_targetILNS1_3genE2ELNS1_11target_archE906ELNS1_3gpuE6ELNS1_3repE0EEENS1_30default_config_static_selectorELNS0_4arch9wavefront6targetE0EEEvSP_.uses_flat_scratch, 0
	.set _ZN7rocprim17ROCPRIM_400000_NS6detail17trampoline_kernelINS0_14default_configENS1_32segmented_reduce_config_selectorIdEEZNS1_21segmented_reduce_implIS3_PKdPdPKidN6hipcub16HIPCUB_304000_NS6detail27convert_result_type_wrapperIS8_S9_N2at6native12_GLOBAL__N_19CustomMaxEEEEE10hipError_tPvRmT0_T1_jT2_SQ_T4_T3_P12ihipStream_tbEUlT_E_NS1_11comp_targetILNS1_3genE2ELNS1_11target_archE906ELNS1_3gpuE6ELNS1_3repE0EEENS1_30default_config_static_selectorELNS0_4arch9wavefront6targetE0EEEvSP_.has_dyn_sized_stack, 0
	.set _ZN7rocprim17ROCPRIM_400000_NS6detail17trampoline_kernelINS0_14default_configENS1_32segmented_reduce_config_selectorIdEEZNS1_21segmented_reduce_implIS3_PKdPdPKidN6hipcub16HIPCUB_304000_NS6detail27convert_result_type_wrapperIS8_S9_N2at6native12_GLOBAL__N_19CustomMaxEEEEE10hipError_tPvRmT0_T1_jT2_SQ_T4_T3_P12ihipStream_tbEUlT_E_NS1_11comp_targetILNS1_3genE2ELNS1_11target_archE906ELNS1_3gpuE6ELNS1_3repE0EEENS1_30default_config_static_selectorELNS0_4arch9wavefront6targetE0EEEvSP_.has_recursion, 0
	.set _ZN7rocprim17ROCPRIM_400000_NS6detail17trampoline_kernelINS0_14default_configENS1_32segmented_reduce_config_selectorIdEEZNS1_21segmented_reduce_implIS3_PKdPdPKidN6hipcub16HIPCUB_304000_NS6detail27convert_result_type_wrapperIS8_S9_N2at6native12_GLOBAL__N_19CustomMaxEEEEE10hipError_tPvRmT0_T1_jT2_SQ_T4_T3_P12ihipStream_tbEUlT_E_NS1_11comp_targetILNS1_3genE2ELNS1_11target_archE906ELNS1_3gpuE6ELNS1_3repE0EEENS1_30default_config_static_selectorELNS0_4arch9wavefront6targetE0EEEvSP_.has_indirect_call, 0
	.section	.AMDGPU.csdata,"",@progbits
; Kernel info:
; codeLenInByte = 0
; TotalNumSgprs: 0
; NumVgprs: 0
; ScratchSize: 0
; MemoryBound: 0
; FloatMode: 240
; IeeeMode: 1
; LDSByteSize: 0 bytes/workgroup (compile time only)
; SGPRBlocks: 0
; VGPRBlocks: 0
; NumSGPRsForWavesPerEU: 1
; NumVGPRsForWavesPerEU: 1
; Occupancy: 16
; WaveLimiterHint : 0
; COMPUTE_PGM_RSRC2:SCRATCH_EN: 0
; COMPUTE_PGM_RSRC2:USER_SGPR: 6
; COMPUTE_PGM_RSRC2:TRAP_HANDLER: 0
; COMPUTE_PGM_RSRC2:TGID_X_EN: 1
; COMPUTE_PGM_RSRC2:TGID_Y_EN: 0
; COMPUTE_PGM_RSRC2:TGID_Z_EN: 0
; COMPUTE_PGM_RSRC2:TIDIG_COMP_CNT: 0
	.section	.text._ZN7rocprim17ROCPRIM_400000_NS6detail17trampoline_kernelINS0_14default_configENS1_32segmented_reduce_config_selectorIdEEZNS1_21segmented_reduce_implIS3_PKdPdPKidN6hipcub16HIPCUB_304000_NS6detail27convert_result_type_wrapperIS8_S9_N2at6native12_GLOBAL__N_19CustomMaxEEEEE10hipError_tPvRmT0_T1_jT2_SQ_T4_T3_P12ihipStream_tbEUlT_E_NS1_11comp_targetILNS1_3genE9ELNS1_11target_archE1100ELNS1_3gpuE3ELNS1_3repE0EEENS1_30default_config_static_selectorELNS0_4arch9wavefront6targetE0EEEvSP_,"axG",@progbits,_ZN7rocprim17ROCPRIM_400000_NS6detail17trampoline_kernelINS0_14default_configENS1_32segmented_reduce_config_selectorIdEEZNS1_21segmented_reduce_implIS3_PKdPdPKidN6hipcub16HIPCUB_304000_NS6detail27convert_result_type_wrapperIS8_S9_N2at6native12_GLOBAL__N_19CustomMaxEEEEE10hipError_tPvRmT0_T1_jT2_SQ_T4_T3_P12ihipStream_tbEUlT_E_NS1_11comp_targetILNS1_3genE9ELNS1_11target_archE1100ELNS1_3gpuE3ELNS1_3repE0EEENS1_30default_config_static_selectorELNS0_4arch9wavefront6targetE0EEEvSP_,comdat
	.globl	_ZN7rocprim17ROCPRIM_400000_NS6detail17trampoline_kernelINS0_14default_configENS1_32segmented_reduce_config_selectorIdEEZNS1_21segmented_reduce_implIS3_PKdPdPKidN6hipcub16HIPCUB_304000_NS6detail27convert_result_type_wrapperIS8_S9_N2at6native12_GLOBAL__N_19CustomMaxEEEEE10hipError_tPvRmT0_T1_jT2_SQ_T4_T3_P12ihipStream_tbEUlT_E_NS1_11comp_targetILNS1_3genE9ELNS1_11target_archE1100ELNS1_3gpuE3ELNS1_3repE0EEENS1_30default_config_static_selectorELNS0_4arch9wavefront6targetE0EEEvSP_ ; -- Begin function _ZN7rocprim17ROCPRIM_400000_NS6detail17trampoline_kernelINS0_14default_configENS1_32segmented_reduce_config_selectorIdEEZNS1_21segmented_reduce_implIS3_PKdPdPKidN6hipcub16HIPCUB_304000_NS6detail27convert_result_type_wrapperIS8_S9_N2at6native12_GLOBAL__N_19CustomMaxEEEEE10hipError_tPvRmT0_T1_jT2_SQ_T4_T3_P12ihipStream_tbEUlT_E_NS1_11comp_targetILNS1_3genE9ELNS1_11target_archE1100ELNS1_3gpuE3ELNS1_3repE0EEENS1_30default_config_static_selectorELNS0_4arch9wavefront6targetE0EEEvSP_
	.p2align	8
	.type	_ZN7rocprim17ROCPRIM_400000_NS6detail17trampoline_kernelINS0_14default_configENS1_32segmented_reduce_config_selectorIdEEZNS1_21segmented_reduce_implIS3_PKdPdPKidN6hipcub16HIPCUB_304000_NS6detail27convert_result_type_wrapperIS8_S9_N2at6native12_GLOBAL__N_19CustomMaxEEEEE10hipError_tPvRmT0_T1_jT2_SQ_T4_T3_P12ihipStream_tbEUlT_E_NS1_11comp_targetILNS1_3genE9ELNS1_11target_archE1100ELNS1_3gpuE3ELNS1_3repE0EEENS1_30default_config_static_selectorELNS0_4arch9wavefront6targetE0EEEvSP_,@function
_ZN7rocprim17ROCPRIM_400000_NS6detail17trampoline_kernelINS0_14default_configENS1_32segmented_reduce_config_selectorIdEEZNS1_21segmented_reduce_implIS3_PKdPdPKidN6hipcub16HIPCUB_304000_NS6detail27convert_result_type_wrapperIS8_S9_N2at6native12_GLOBAL__N_19CustomMaxEEEEE10hipError_tPvRmT0_T1_jT2_SQ_T4_T3_P12ihipStream_tbEUlT_E_NS1_11comp_targetILNS1_3genE9ELNS1_11target_archE1100ELNS1_3gpuE3ELNS1_3repE0EEENS1_30default_config_static_selectorELNS0_4arch9wavefront6targetE0EEEvSP_: ; @_ZN7rocprim17ROCPRIM_400000_NS6detail17trampoline_kernelINS0_14default_configENS1_32segmented_reduce_config_selectorIdEEZNS1_21segmented_reduce_implIS3_PKdPdPKidN6hipcub16HIPCUB_304000_NS6detail27convert_result_type_wrapperIS8_S9_N2at6native12_GLOBAL__N_19CustomMaxEEEEE10hipError_tPvRmT0_T1_jT2_SQ_T4_T3_P12ihipStream_tbEUlT_E_NS1_11comp_targetILNS1_3genE9ELNS1_11target_archE1100ELNS1_3gpuE3ELNS1_3repE0EEENS1_30default_config_static_selectorELNS0_4arch9wavefront6targetE0EEEvSP_
; %bb.0:
	.section	.rodata,"a",@progbits
	.p2align	6, 0x0
	.amdhsa_kernel _ZN7rocprim17ROCPRIM_400000_NS6detail17trampoline_kernelINS0_14default_configENS1_32segmented_reduce_config_selectorIdEEZNS1_21segmented_reduce_implIS3_PKdPdPKidN6hipcub16HIPCUB_304000_NS6detail27convert_result_type_wrapperIS8_S9_N2at6native12_GLOBAL__N_19CustomMaxEEEEE10hipError_tPvRmT0_T1_jT2_SQ_T4_T3_P12ihipStream_tbEUlT_E_NS1_11comp_targetILNS1_3genE9ELNS1_11target_archE1100ELNS1_3gpuE3ELNS1_3repE0EEENS1_30default_config_static_selectorELNS0_4arch9wavefront6targetE0EEEvSP_
		.amdhsa_group_segment_fixed_size 0
		.amdhsa_private_segment_fixed_size 0
		.amdhsa_kernarg_size 56
		.amdhsa_user_sgpr_count 6
		.amdhsa_user_sgpr_private_segment_buffer 1
		.amdhsa_user_sgpr_dispatch_ptr 0
		.amdhsa_user_sgpr_queue_ptr 0
		.amdhsa_user_sgpr_kernarg_segment_ptr 1
		.amdhsa_user_sgpr_dispatch_id 0
		.amdhsa_user_sgpr_flat_scratch_init 0
		.amdhsa_user_sgpr_private_segment_size 0
		.amdhsa_wavefront_size32 1
		.amdhsa_uses_dynamic_stack 0
		.amdhsa_system_sgpr_private_segment_wavefront_offset 0
		.amdhsa_system_sgpr_workgroup_id_x 1
		.amdhsa_system_sgpr_workgroup_id_y 0
		.amdhsa_system_sgpr_workgroup_id_z 0
		.amdhsa_system_sgpr_workgroup_info 0
		.amdhsa_system_vgpr_workitem_id 0
		.amdhsa_next_free_vgpr 1
		.amdhsa_next_free_sgpr 1
		.amdhsa_reserve_vcc 0
		.amdhsa_reserve_flat_scratch 0
		.amdhsa_float_round_mode_32 0
		.amdhsa_float_round_mode_16_64 0
		.amdhsa_float_denorm_mode_32 3
		.amdhsa_float_denorm_mode_16_64 3
		.amdhsa_dx10_clamp 1
		.amdhsa_ieee_mode 1
		.amdhsa_fp16_overflow 0
		.amdhsa_workgroup_processor_mode 1
		.amdhsa_memory_ordered 1
		.amdhsa_forward_progress 1
		.amdhsa_shared_vgpr_count 0
		.amdhsa_exception_fp_ieee_invalid_op 0
		.amdhsa_exception_fp_denorm_src 0
		.amdhsa_exception_fp_ieee_div_zero 0
		.amdhsa_exception_fp_ieee_overflow 0
		.amdhsa_exception_fp_ieee_underflow 0
		.amdhsa_exception_fp_ieee_inexact 0
		.amdhsa_exception_int_div_zero 0
	.end_amdhsa_kernel
	.section	.text._ZN7rocprim17ROCPRIM_400000_NS6detail17trampoline_kernelINS0_14default_configENS1_32segmented_reduce_config_selectorIdEEZNS1_21segmented_reduce_implIS3_PKdPdPKidN6hipcub16HIPCUB_304000_NS6detail27convert_result_type_wrapperIS8_S9_N2at6native12_GLOBAL__N_19CustomMaxEEEEE10hipError_tPvRmT0_T1_jT2_SQ_T4_T3_P12ihipStream_tbEUlT_E_NS1_11comp_targetILNS1_3genE9ELNS1_11target_archE1100ELNS1_3gpuE3ELNS1_3repE0EEENS1_30default_config_static_selectorELNS0_4arch9wavefront6targetE0EEEvSP_,"axG",@progbits,_ZN7rocprim17ROCPRIM_400000_NS6detail17trampoline_kernelINS0_14default_configENS1_32segmented_reduce_config_selectorIdEEZNS1_21segmented_reduce_implIS3_PKdPdPKidN6hipcub16HIPCUB_304000_NS6detail27convert_result_type_wrapperIS8_S9_N2at6native12_GLOBAL__N_19CustomMaxEEEEE10hipError_tPvRmT0_T1_jT2_SQ_T4_T3_P12ihipStream_tbEUlT_E_NS1_11comp_targetILNS1_3genE9ELNS1_11target_archE1100ELNS1_3gpuE3ELNS1_3repE0EEENS1_30default_config_static_selectorELNS0_4arch9wavefront6targetE0EEEvSP_,comdat
.Lfunc_end15:
	.size	_ZN7rocprim17ROCPRIM_400000_NS6detail17trampoline_kernelINS0_14default_configENS1_32segmented_reduce_config_selectorIdEEZNS1_21segmented_reduce_implIS3_PKdPdPKidN6hipcub16HIPCUB_304000_NS6detail27convert_result_type_wrapperIS8_S9_N2at6native12_GLOBAL__N_19CustomMaxEEEEE10hipError_tPvRmT0_T1_jT2_SQ_T4_T3_P12ihipStream_tbEUlT_E_NS1_11comp_targetILNS1_3genE9ELNS1_11target_archE1100ELNS1_3gpuE3ELNS1_3repE0EEENS1_30default_config_static_selectorELNS0_4arch9wavefront6targetE0EEEvSP_, .Lfunc_end15-_ZN7rocprim17ROCPRIM_400000_NS6detail17trampoline_kernelINS0_14default_configENS1_32segmented_reduce_config_selectorIdEEZNS1_21segmented_reduce_implIS3_PKdPdPKidN6hipcub16HIPCUB_304000_NS6detail27convert_result_type_wrapperIS8_S9_N2at6native12_GLOBAL__N_19CustomMaxEEEEE10hipError_tPvRmT0_T1_jT2_SQ_T4_T3_P12ihipStream_tbEUlT_E_NS1_11comp_targetILNS1_3genE9ELNS1_11target_archE1100ELNS1_3gpuE3ELNS1_3repE0EEENS1_30default_config_static_selectorELNS0_4arch9wavefront6targetE0EEEvSP_
                                        ; -- End function
	.set _ZN7rocprim17ROCPRIM_400000_NS6detail17trampoline_kernelINS0_14default_configENS1_32segmented_reduce_config_selectorIdEEZNS1_21segmented_reduce_implIS3_PKdPdPKidN6hipcub16HIPCUB_304000_NS6detail27convert_result_type_wrapperIS8_S9_N2at6native12_GLOBAL__N_19CustomMaxEEEEE10hipError_tPvRmT0_T1_jT2_SQ_T4_T3_P12ihipStream_tbEUlT_E_NS1_11comp_targetILNS1_3genE9ELNS1_11target_archE1100ELNS1_3gpuE3ELNS1_3repE0EEENS1_30default_config_static_selectorELNS0_4arch9wavefront6targetE0EEEvSP_.num_vgpr, 0
	.set _ZN7rocprim17ROCPRIM_400000_NS6detail17trampoline_kernelINS0_14default_configENS1_32segmented_reduce_config_selectorIdEEZNS1_21segmented_reduce_implIS3_PKdPdPKidN6hipcub16HIPCUB_304000_NS6detail27convert_result_type_wrapperIS8_S9_N2at6native12_GLOBAL__N_19CustomMaxEEEEE10hipError_tPvRmT0_T1_jT2_SQ_T4_T3_P12ihipStream_tbEUlT_E_NS1_11comp_targetILNS1_3genE9ELNS1_11target_archE1100ELNS1_3gpuE3ELNS1_3repE0EEENS1_30default_config_static_selectorELNS0_4arch9wavefront6targetE0EEEvSP_.num_agpr, 0
	.set _ZN7rocprim17ROCPRIM_400000_NS6detail17trampoline_kernelINS0_14default_configENS1_32segmented_reduce_config_selectorIdEEZNS1_21segmented_reduce_implIS3_PKdPdPKidN6hipcub16HIPCUB_304000_NS6detail27convert_result_type_wrapperIS8_S9_N2at6native12_GLOBAL__N_19CustomMaxEEEEE10hipError_tPvRmT0_T1_jT2_SQ_T4_T3_P12ihipStream_tbEUlT_E_NS1_11comp_targetILNS1_3genE9ELNS1_11target_archE1100ELNS1_3gpuE3ELNS1_3repE0EEENS1_30default_config_static_selectorELNS0_4arch9wavefront6targetE0EEEvSP_.numbered_sgpr, 0
	.set _ZN7rocprim17ROCPRIM_400000_NS6detail17trampoline_kernelINS0_14default_configENS1_32segmented_reduce_config_selectorIdEEZNS1_21segmented_reduce_implIS3_PKdPdPKidN6hipcub16HIPCUB_304000_NS6detail27convert_result_type_wrapperIS8_S9_N2at6native12_GLOBAL__N_19CustomMaxEEEEE10hipError_tPvRmT0_T1_jT2_SQ_T4_T3_P12ihipStream_tbEUlT_E_NS1_11comp_targetILNS1_3genE9ELNS1_11target_archE1100ELNS1_3gpuE3ELNS1_3repE0EEENS1_30default_config_static_selectorELNS0_4arch9wavefront6targetE0EEEvSP_.num_named_barrier, 0
	.set _ZN7rocprim17ROCPRIM_400000_NS6detail17trampoline_kernelINS0_14default_configENS1_32segmented_reduce_config_selectorIdEEZNS1_21segmented_reduce_implIS3_PKdPdPKidN6hipcub16HIPCUB_304000_NS6detail27convert_result_type_wrapperIS8_S9_N2at6native12_GLOBAL__N_19CustomMaxEEEEE10hipError_tPvRmT0_T1_jT2_SQ_T4_T3_P12ihipStream_tbEUlT_E_NS1_11comp_targetILNS1_3genE9ELNS1_11target_archE1100ELNS1_3gpuE3ELNS1_3repE0EEENS1_30default_config_static_selectorELNS0_4arch9wavefront6targetE0EEEvSP_.private_seg_size, 0
	.set _ZN7rocprim17ROCPRIM_400000_NS6detail17trampoline_kernelINS0_14default_configENS1_32segmented_reduce_config_selectorIdEEZNS1_21segmented_reduce_implIS3_PKdPdPKidN6hipcub16HIPCUB_304000_NS6detail27convert_result_type_wrapperIS8_S9_N2at6native12_GLOBAL__N_19CustomMaxEEEEE10hipError_tPvRmT0_T1_jT2_SQ_T4_T3_P12ihipStream_tbEUlT_E_NS1_11comp_targetILNS1_3genE9ELNS1_11target_archE1100ELNS1_3gpuE3ELNS1_3repE0EEENS1_30default_config_static_selectorELNS0_4arch9wavefront6targetE0EEEvSP_.uses_vcc, 0
	.set _ZN7rocprim17ROCPRIM_400000_NS6detail17trampoline_kernelINS0_14default_configENS1_32segmented_reduce_config_selectorIdEEZNS1_21segmented_reduce_implIS3_PKdPdPKidN6hipcub16HIPCUB_304000_NS6detail27convert_result_type_wrapperIS8_S9_N2at6native12_GLOBAL__N_19CustomMaxEEEEE10hipError_tPvRmT0_T1_jT2_SQ_T4_T3_P12ihipStream_tbEUlT_E_NS1_11comp_targetILNS1_3genE9ELNS1_11target_archE1100ELNS1_3gpuE3ELNS1_3repE0EEENS1_30default_config_static_selectorELNS0_4arch9wavefront6targetE0EEEvSP_.uses_flat_scratch, 0
	.set _ZN7rocprim17ROCPRIM_400000_NS6detail17trampoline_kernelINS0_14default_configENS1_32segmented_reduce_config_selectorIdEEZNS1_21segmented_reduce_implIS3_PKdPdPKidN6hipcub16HIPCUB_304000_NS6detail27convert_result_type_wrapperIS8_S9_N2at6native12_GLOBAL__N_19CustomMaxEEEEE10hipError_tPvRmT0_T1_jT2_SQ_T4_T3_P12ihipStream_tbEUlT_E_NS1_11comp_targetILNS1_3genE9ELNS1_11target_archE1100ELNS1_3gpuE3ELNS1_3repE0EEENS1_30default_config_static_selectorELNS0_4arch9wavefront6targetE0EEEvSP_.has_dyn_sized_stack, 0
	.set _ZN7rocprim17ROCPRIM_400000_NS6detail17trampoline_kernelINS0_14default_configENS1_32segmented_reduce_config_selectorIdEEZNS1_21segmented_reduce_implIS3_PKdPdPKidN6hipcub16HIPCUB_304000_NS6detail27convert_result_type_wrapperIS8_S9_N2at6native12_GLOBAL__N_19CustomMaxEEEEE10hipError_tPvRmT0_T1_jT2_SQ_T4_T3_P12ihipStream_tbEUlT_E_NS1_11comp_targetILNS1_3genE9ELNS1_11target_archE1100ELNS1_3gpuE3ELNS1_3repE0EEENS1_30default_config_static_selectorELNS0_4arch9wavefront6targetE0EEEvSP_.has_recursion, 0
	.set _ZN7rocprim17ROCPRIM_400000_NS6detail17trampoline_kernelINS0_14default_configENS1_32segmented_reduce_config_selectorIdEEZNS1_21segmented_reduce_implIS3_PKdPdPKidN6hipcub16HIPCUB_304000_NS6detail27convert_result_type_wrapperIS8_S9_N2at6native12_GLOBAL__N_19CustomMaxEEEEE10hipError_tPvRmT0_T1_jT2_SQ_T4_T3_P12ihipStream_tbEUlT_E_NS1_11comp_targetILNS1_3genE9ELNS1_11target_archE1100ELNS1_3gpuE3ELNS1_3repE0EEENS1_30default_config_static_selectorELNS0_4arch9wavefront6targetE0EEEvSP_.has_indirect_call, 0
	.section	.AMDGPU.csdata,"",@progbits
; Kernel info:
; codeLenInByte = 0
; TotalNumSgprs: 0
; NumVgprs: 0
; ScratchSize: 0
; MemoryBound: 0
; FloatMode: 240
; IeeeMode: 1
; LDSByteSize: 0 bytes/workgroup (compile time only)
; SGPRBlocks: 0
; VGPRBlocks: 0
; NumSGPRsForWavesPerEU: 1
; NumVGPRsForWavesPerEU: 1
; Occupancy: 16
; WaveLimiterHint : 0
; COMPUTE_PGM_RSRC2:SCRATCH_EN: 0
; COMPUTE_PGM_RSRC2:USER_SGPR: 6
; COMPUTE_PGM_RSRC2:TRAP_HANDLER: 0
; COMPUTE_PGM_RSRC2:TGID_X_EN: 1
; COMPUTE_PGM_RSRC2:TGID_Y_EN: 0
; COMPUTE_PGM_RSRC2:TGID_Z_EN: 0
; COMPUTE_PGM_RSRC2:TIDIG_COMP_CNT: 0
	.section	.text._ZN7rocprim17ROCPRIM_400000_NS6detail17trampoline_kernelINS0_14default_configENS1_32segmented_reduce_config_selectorIdEEZNS1_21segmented_reduce_implIS3_PKdPdPKidN6hipcub16HIPCUB_304000_NS6detail27convert_result_type_wrapperIS8_S9_N2at6native12_GLOBAL__N_19CustomMaxEEEEE10hipError_tPvRmT0_T1_jT2_SQ_T4_T3_P12ihipStream_tbEUlT_E_NS1_11comp_targetILNS1_3genE8ELNS1_11target_archE1030ELNS1_3gpuE2ELNS1_3repE0EEENS1_30default_config_static_selectorELNS0_4arch9wavefront6targetE0EEEvSP_,"axG",@progbits,_ZN7rocprim17ROCPRIM_400000_NS6detail17trampoline_kernelINS0_14default_configENS1_32segmented_reduce_config_selectorIdEEZNS1_21segmented_reduce_implIS3_PKdPdPKidN6hipcub16HIPCUB_304000_NS6detail27convert_result_type_wrapperIS8_S9_N2at6native12_GLOBAL__N_19CustomMaxEEEEE10hipError_tPvRmT0_T1_jT2_SQ_T4_T3_P12ihipStream_tbEUlT_E_NS1_11comp_targetILNS1_3genE8ELNS1_11target_archE1030ELNS1_3gpuE2ELNS1_3repE0EEENS1_30default_config_static_selectorELNS0_4arch9wavefront6targetE0EEEvSP_,comdat
	.globl	_ZN7rocprim17ROCPRIM_400000_NS6detail17trampoline_kernelINS0_14default_configENS1_32segmented_reduce_config_selectorIdEEZNS1_21segmented_reduce_implIS3_PKdPdPKidN6hipcub16HIPCUB_304000_NS6detail27convert_result_type_wrapperIS8_S9_N2at6native12_GLOBAL__N_19CustomMaxEEEEE10hipError_tPvRmT0_T1_jT2_SQ_T4_T3_P12ihipStream_tbEUlT_E_NS1_11comp_targetILNS1_3genE8ELNS1_11target_archE1030ELNS1_3gpuE2ELNS1_3repE0EEENS1_30default_config_static_selectorELNS0_4arch9wavefront6targetE0EEEvSP_ ; -- Begin function _ZN7rocprim17ROCPRIM_400000_NS6detail17trampoline_kernelINS0_14default_configENS1_32segmented_reduce_config_selectorIdEEZNS1_21segmented_reduce_implIS3_PKdPdPKidN6hipcub16HIPCUB_304000_NS6detail27convert_result_type_wrapperIS8_S9_N2at6native12_GLOBAL__N_19CustomMaxEEEEE10hipError_tPvRmT0_T1_jT2_SQ_T4_T3_P12ihipStream_tbEUlT_E_NS1_11comp_targetILNS1_3genE8ELNS1_11target_archE1030ELNS1_3gpuE2ELNS1_3repE0EEENS1_30default_config_static_selectorELNS0_4arch9wavefront6targetE0EEEvSP_
	.p2align	8
	.type	_ZN7rocprim17ROCPRIM_400000_NS6detail17trampoline_kernelINS0_14default_configENS1_32segmented_reduce_config_selectorIdEEZNS1_21segmented_reduce_implIS3_PKdPdPKidN6hipcub16HIPCUB_304000_NS6detail27convert_result_type_wrapperIS8_S9_N2at6native12_GLOBAL__N_19CustomMaxEEEEE10hipError_tPvRmT0_T1_jT2_SQ_T4_T3_P12ihipStream_tbEUlT_E_NS1_11comp_targetILNS1_3genE8ELNS1_11target_archE1030ELNS1_3gpuE2ELNS1_3repE0EEENS1_30default_config_static_selectorELNS0_4arch9wavefront6targetE0EEEvSP_,@function
_ZN7rocprim17ROCPRIM_400000_NS6detail17trampoline_kernelINS0_14default_configENS1_32segmented_reduce_config_selectorIdEEZNS1_21segmented_reduce_implIS3_PKdPdPKidN6hipcub16HIPCUB_304000_NS6detail27convert_result_type_wrapperIS8_S9_N2at6native12_GLOBAL__N_19CustomMaxEEEEE10hipError_tPvRmT0_T1_jT2_SQ_T4_T3_P12ihipStream_tbEUlT_E_NS1_11comp_targetILNS1_3genE8ELNS1_11target_archE1030ELNS1_3gpuE2ELNS1_3repE0EEENS1_30default_config_static_selectorELNS0_4arch9wavefront6targetE0EEEvSP_: ; @_ZN7rocprim17ROCPRIM_400000_NS6detail17trampoline_kernelINS0_14default_configENS1_32segmented_reduce_config_selectorIdEEZNS1_21segmented_reduce_implIS3_PKdPdPKidN6hipcub16HIPCUB_304000_NS6detail27convert_result_type_wrapperIS8_S9_N2at6native12_GLOBAL__N_19CustomMaxEEEEE10hipError_tPvRmT0_T1_jT2_SQ_T4_T3_P12ihipStream_tbEUlT_E_NS1_11comp_targetILNS1_3genE8ELNS1_11target_archE1030ELNS1_3gpuE2ELNS1_3repE0EEENS1_30default_config_static_selectorELNS0_4arch9wavefront6targetE0EEEvSP_
; %bb.0:
	s_clause 0x2
	s_load_dwordx8 s[8:15], s[4:5], 0x0
	s_load_dwordx2 s[0:1], s[4:5], 0x20
	s_load_dwordx2 s[2:3], s[4:5], 0x30
	s_mov_b32 s7, 0
	v_cmp_eq_u32_e32 vcc_lo, 0, v0
	s_waitcnt lgkmcnt(0)
	s_lshl_b64 s[16:17], s[12:13], 2
	s_add_u32 s4, s14, s16
	s_addc_u32 s5, s15, s17
	s_add_u32 s14, s0, s16
	s_addc_u32 s15, s1, s17
	s_lshl_b64 s[0:1], s[6:7], 2
	s_add_u32 s4, s4, s0
	s_addc_u32 s5, s5, s1
	s_add_u32 s0, s14, s0
	s_addc_u32 s1, s15, s1
	s_load_dword s4, s[4:5], 0x0
	s_load_dword s15, s[0:1], 0x0
	s_mov_b32 s0, -1
	s_mov_b32 s14, s7
	s_waitcnt lgkmcnt(0)
	s_cmp_gt_i32 s15, s4
	s_cbranch_scc1 .LBB16_2
; %bb.1:
	s_mov_b32 s0, 0
	s_and_b32 s14, vcc_lo, exec_lo
.LBB16_2:
	s_andn2_b32 vcc_lo, exec_lo, s0
	s_cbranch_vccnz .LBB16_131
; %bb.3:
	s_add_i32 s0, s4, 0x1000
	s_cmp_le_i32 s0, s15
	s_cbranch_scc0 .LBB16_132
; %bb.4:
	s_ashr_i32 s5, s4, 31
	v_lshlrev_b32_e32 v37, 3, v0
	s_lshl_b64 s[16:17], s[4:5], 3
	s_add_u32 s16, s8, s16
	s_addc_u32 s17, s9, s17
	v_add_co_u32 v29, s1, s16, v37
	v_add_co_ci_u32_e64 v30, null, s17, 0, s1
	global_load_dwordx2 v[31:32], v37, s[16:17]
	v_add_co_u32 v1, vcc_lo, v29, 0x1000
	v_add_co_ci_u32_e64 v2, null, 0, v30, vcc_lo
	v_add_co_u32 v3, vcc_lo, v29, 0x2000
	v_add_co_ci_u32_e64 v4, null, 0, v30, vcc_lo
	;; [unrolled: 2-line block ×5, first 2 shown]
	s_clause 0x7
	global_load_dwordx2 v[27:28], v[3:4], off offset:-2048
	global_load_dwordx2 v[25:26], v[3:4], off
	global_load_dwordx2 v[23:24], v[5:6], off offset:-2048
	global_load_dwordx2 v[21:22], v[5:6], off
	;; [unrolled: 2-line block ×4, first 2 shown]
	v_add_co_u32 v3, vcc_lo, v29, 0x6000
	v_add_co_ci_u32_e64 v4, null, 0, v30, vcc_lo
	v_add_co_u32 v19, vcc_lo, v29, 0x7000
	v_add_co_ci_u32_e64 v20, null, 0, v30, vcc_lo
	;; [unrolled: 2-line block ×3, first 2 shown]
	s_clause 0x6
	global_load_dwordx2 v[9:10], v[3:4], off offset:-2048
	global_load_dwordx2 v[7:8], v[3:4], off
	global_load_dwordx2 v[5:6], v[19:20], off offset:-2048
	global_load_dwordx2 v[3:4], v[19:20], off
	;; [unrolled: 2-line block ×3, first 2 shown]
	global_load_dwordx2 v[1:2], v[35:36], off
	s_mov_b32 s1, exec_lo
	s_waitcnt vmcnt(15)
	v_mov_b32_e32 v19, v31
	v_mov_b32_e32 v20, v32
	v_cmpx_o_f64_e32 v[31:32], v[31:32]
	s_cbranch_execz .LBB16_8
; %bb.5:
	s_waitcnt vmcnt(2)
	v_mov_b32_e32 v19, v33
	v_mov_b32_e32 v20, v34
	s_mov_b32 s5, exec_lo
	v_cmpx_o_f64_e32 v[33:34], v[33:34]
; %bb.6:
	v_cmp_lt_f64_e32 vcc_lo, v[31:32], v[33:34]
	v_cndmask_b32_e32 v20, v32, v34, vcc_lo
	v_cndmask_b32_e32 v19, v31, v33, vcc_lo
; %bb.7:
	s_or_b32 exec_lo, exec_lo, s5
.LBB16_8:
	s_or_b32 exec_lo, exec_lo, s1
	s_mov_b32 s1, exec_lo
	v_cmpx_o_f64_e32 v[19:20], v[19:20]
	s_cbranch_execz .LBB16_12
; %bb.9:
	s_waitcnt vmcnt(1)
	v_mov_b32_e32 v36, v30
	v_mov_b32_e32 v35, v29
	s_mov_b32 s5, exec_lo
	v_cmpx_o_f64_e32 v[29:30], v[29:30]
; %bb.10:
	v_cmp_lt_f64_e32 vcc_lo, v[19:20], v[29:30]
	v_cndmask_b32_e32 v36, v20, v30, vcc_lo
	v_cndmask_b32_e32 v35, v19, v29, vcc_lo
; %bb.11:
	s_or_b32 exec_lo, exec_lo, s5
	v_mov_b32_e32 v19, v35
	v_mov_b32_e32 v20, v36
.LBB16_12:
	s_or_b32 exec_lo, exec_lo, s1
	s_mov_b32 s1, exec_lo
	v_cmpx_o_f64_e32 v[19:20], v[19:20]
	s_cbranch_execz .LBB16_16
; %bb.13:
	s_waitcnt vmcnt(14)
	v_mov_b32_e32 v36, v28
	v_mov_b32_e32 v35, v27
	s_mov_b32 s5, exec_lo
	v_cmpx_o_f64_e32 v[27:28], v[27:28]
; %bb.14:
	v_cmp_lt_f64_e32 vcc_lo, v[19:20], v[27:28]
	v_cndmask_b32_e32 v36, v20, v28, vcc_lo
	v_cndmask_b32_e32 v35, v19, v27, vcc_lo
; %bb.15:
	s_or_b32 exec_lo, exec_lo, s5
	v_mov_b32_e32 v19, v35
	v_mov_b32_e32 v20, v36
.LBB16_16:
	;; [unrolled: 19-line block ×14, first 2 shown]
	s_or_b32 exec_lo, exec_lo, s1
	s_add_i32 s1, s4, 0x2000
	s_cmp_ge_i32 s1, s15
	s_cbranch_scc1 .LBB16_133
; %bb.65:
	v_add_co_u32 v38, s1, s8, v37
	v_add_co_ci_u32_e64 v39, null, s9, 0, s1
	s_branch .LBB16_68
.LBB16_66:                              ;   in Loop: Header=BB16_68 Depth=1
	s_or_b32 exec_lo, exec_lo, s5
	v_mov_b32_e32 v19, v35
	v_mov_b32_e32 v20, v36
.LBB16_67:                              ;   in Loop: Header=BB16_68 Depth=1
	s_or_b32 exec_lo, exec_lo, s1
	s_add_i32 s1, s0, 0x2000
	s_addk_i32 s0, 0x1000
	s_cmp_lt_i32 s1, s15
	s_cbranch_scc0 .LBB16_133
.LBB16_68:                              ; =>This Inner Loop Header: Depth=1
	s_ashr_i32 s1, s0, 31
	s_lshl_b64 s[16:17], s[0:1], 3
	s_mov_b32 s1, exec_lo
	s_waitcnt vmcnt(0)
	v_add_co_u32 v1, vcc_lo, v38, s16
	v_add_co_ci_u32_e64 v2, null, s17, v39, vcc_lo
	v_add_co_u32 v29, vcc_lo, v1, 0x1000
	v_add_co_ci_u32_e64 v30, null, 0, v2, vcc_lo
	;; [unrolled: 2-line block ×6, first 2 shown]
	s_clause 0x7
	global_load_dwordx2 v[27:28], v[3:4], off offset:-2048
	global_load_dwordx2 v[25:26], v[3:4], off
	global_load_dwordx2 v[23:24], v[5:6], off offset:-2048
	global_load_dwordx2 v[21:22], v[5:6], off
	;; [unrolled: 2-line block ×4, first 2 shown]
	v_add_co_u32 v3, vcc_lo, v1, 0x6000
	v_add_co_ci_u32_e64 v4, null, 0, v2, vcc_lo
	v_add_co_u32 v31, vcc_lo, v1, 0x7000
	v_add_co_ci_u32_e64 v32, null, 0, v2, vcc_lo
	;; [unrolled: 2-line block ×3, first 2 shown]
	s_clause 0x7
	global_load_dwordx2 v[9:10], v[3:4], off offset:-2048
	global_load_dwordx2 v[7:8], v[3:4], off
	global_load_dwordx2 v[5:6], v[31:32], off offset:-2048
	global_load_dwordx2 v[3:4], v[31:32], off
	global_load_dwordx2 v[31:32], v[1:2], off
	global_load_dwordx2 v[33:34], v[29:30], off offset:-2048
	global_load_dwordx2 v[29:30], v[29:30], off
	global_load_dwordx2 v[1:2], v[35:36], off
	v_cmpx_o_f64_e32 v[19:20], v[19:20]
	s_cbranch_execz .LBB16_72
; %bb.69:                               ;   in Loop: Header=BB16_68 Depth=1
	s_waitcnt vmcnt(3)
	v_mov_b32_e32 v36, v32
	v_mov_b32_e32 v35, v31
	s_mov_b32 s5, exec_lo
	v_cmpx_o_f64_e32 v[31:32], v[31:32]
; %bb.70:                               ;   in Loop: Header=BB16_68 Depth=1
	v_cmp_lt_f64_e32 vcc_lo, v[19:20], v[31:32]
	v_cndmask_b32_e32 v36, v20, v32, vcc_lo
	v_cndmask_b32_e32 v35, v19, v31, vcc_lo
; %bb.71:                               ;   in Loop: Header=BB16_68 Depth=1
	s_or_b32 exec_lo, exec_lo, s5
	v_mov_b32_e32 v19, v35
	v_mov_b32_e32 v20, v36
.LBB16_72:                              ;   in Loop: Header=BB16_68 Depth=1
	s_or_b32 exec_lo, exec_lo, s1
	s_mov_b32 s1, exec_lo
	v_cmpx_o_f64_e32 v[19:20], v[19:20]
	s_cbranch_execz .LBB16_76
; %bb.73:                               ;   in Loop: Header=BB16_68 Depth=1
	s_waitcnt vmcnt(2)
	v_mov_b32_e32 v36, v34
	v_mov_b32_e32 v35, v33
	s_mov_b32 s5, exec_lo
	v_cmpx_o_f64_e32 v[33:34], v[33:34]
; %bb.74:                               ;   in Loop: Header=BB16_68 Depth=1
	v_cmp_lt_f64_e32 vcc_lo, v[19:20], v[33:34]
	v_cndmask_b32_e32 v36, v20, v34, vcc_lo
	v_cndmask_b32_e32 v35, v19, v33, vcc_lo
; %bb.75:                               ;   in Loop: Header=BB16_68 Depth=1
	s_or_b32 exec_lo, exec_lo, s5
	v_mov_b32_e32 v19, v35
	v_mov_b32_e32 v20, v36
.LBB16_76:                              ;   in Loop: Header=BB16_68 Depth=1
	s_or_b32 exec_lo, exec_lo, s1
	s_mov_b32 s1, exec_lo
	;; [unrolled: 19-line block ×7, first 2 shown]
	v_cmpx_o_f64_e32 v[19:20], v[19:20]
	s_cbranch_execz .LBB16_100
; %bb.97:                               ;   in Loop: Header=BB16_68 Depth=1
	s_waitcnt vmcnt(11)
	v_mov_b32_e32 v36, v18
	v_mov_b32_e32 v35, v17
	s_mov_b32 s5, exec_lo
	v_cmpx_o_f64_e32 v[17:18], v[17:18]
; %bb.98:                               ;   in Loop: Header=BB16_68 Depth=1
	v_cmp_lt_f64_e32 vcc_lo, v[19:20], v[17:18]
	v_cndmask_b32_e32 v36, v20, v18, vcc_lo
	v_cndmask_b32_e32 v35, v19, v17, vcc_lo
; %bb.99:                               ;   in Loop: Header=BB16_68 Depth=1
	s_or_b32 exec_lo, exec_lo, s5
	v_mov_b32_e32 v19, v35
	v_mov_b32_e32 v20, v36
.LBB16_100:                             ;   in Loop: Header=BB16_68 Depth=1
	s_or_b32 exec_lo, exec_lo, s1
	s_mov_b32 s1, exec_lo
	v_cmpx_o_f64_e32 v[19:20], v[19:20]
	s_cbranch_execz .LBB16_104
; %bb.101:                              ;   in Loop: Header=BB16_68 Depth=1
	s_waitcnt vmcnt(10)
	v_mov_b32_e32 v36, v16
	v_mov_b32_e32 v35, v15
	s_mov_b32 s5, exec_lo
	v_cmpx_o_f64_e32 v[15:16], v[15:16]
; %bb.102:                              ;   in Loop: Header=BB16_68 Depth=1
	v_cmp_lt_f64_e32 vcc_lo, v[19:20], v[15:16]
	v_cndmask_b32_e32 v36, v20, v16, vcc_lo
	v_cndmask_b32_e32 v35, v19, v15, vcc_lo
; %bb.103:                              ;   in Loop: Header=BB16_68 Depth=1
	s_or_b32 exec_lo, exec_lo, s5
	v_mov_b32_e32 v19, v35
	v_mov_b32_e32 v20, v36
.LBB16_104:                             ;   in Loop: Header=BB16_68 Depth=1
	s_or_b32 exec_lo, exec_lo, s1
	s_mov_b32 s1, exec_lo
	v_cmpx_o_f64_e32 v[19:20], v[19:20]
	s_cbranch_execz .LBB16_108
; %bb.105:                              ;   in Loop: Header=BB16_68 Depth=1
	s_waitcnt vmcnt(9)
	v_mov_b32_e32 v36, v14
	v_mov_b32_e32 v35, v13
	s_mov_b32 s5, exec_lo
	v_cmpx_o_f64_e32 v[13:14], v[13:14]
; %bb.106:                              ;   in Loop: Header=BB16_68 Depth=1
	v_cmp_lt_f64_e32 vcc_lo, v[19:20], v[13:14]
	v_cndmask_b32_e32 v36, v20, v14, vcc_lo
	v_cndmask_b32_e32 v35, v19, v13, vcc_lo
; %bb.107:                              ;   in Loop: Header=BB16_68 Depth=1
	s_or_b32 exec_lo, exec_lo, s5
	v_mov_b32_e32 v19, v35
	v_mov_b32_e32 v20, v36
.LBB16_108:                             ;   in Loop: Header=BB16_68 Depth=1
	;; [unrolled: 19-line block ×7, first 2 shown]
	s_or_b32 exec_lo, exec_lo, s1
	s_mov_b32 s1, exec_lo
	v_cmpx_o_f64_e32 v[19:20], v[19:20]
	s_cbranch_execz .LBB16_67
; %bb.129:                              ;   in Loop: Header=BB16_68 Depth=1
	s_waitcnt vmcnt(0)
	v_mov_b32_e32 v36, v2
	v_mov_b32_e32 v35, v1
	s_mov_b32 s5, exec_lo
	v_cmpx_o_f64_e32 v[1:2], v[1:2]
	s_cbranch_execz .LBB16_66
; %bb.130:                              ;   in Loop: Header=BB16_68 Depth=1
	v_cmp_lt_f64_e32 vcc_lo, v[19:20], v[1:2]
	v_cndmask_b32_e32 v36, v20, v2, vcc_lo
	v_cndmask_b32_e32 v35, v19, v1, vcc_lo
	s_branch .LBB16_66
.LBB16_131:
	v_mov_b32_e32 v4, s3
	v_mov_b32_e32 v3, s2
	s_and_saveexec_b32 s0, s14
	s_cbranch_execnz .LBB16_371
	s_branch .LBB16_372
.LBB16_132:
                                        ; implicit-def: $vgpr1_vgpr2
	s_cbranch_execnz .LBB16_266
	s_branch .LBB16_364
.LBB16_133:
	s_ashr_i32 s1, s0, 31
	s_sub_i32 s5, s15, s0
	s_lshl_b64 s[0:1], s[0:1], 3
	s_mov_b32 s16, exec_lo
	s_add_u32 s0, s8, s0
	s_addc_u32 s1, s9, s1
	v_cmpx_gt_u32_e64 s5, v0
	s_cbranch_execz .LBB16_135
; %bb.134:
	global_load_dwordx2 v[31:32], v37, s[0:1]
.LBB16_135:
	s_or_b32 exec_lo, exec_lo, s16
	v_or_b32_e32 v49, 0x100, v0
	s_mov_b32 s16, exec_lo
	v_cmpx_gt_u32_e64 s5, v49
	s_cbranch_execz .LBB16_137
; %bb.136:
	s_waitcnt vmcnt(2)
	v_lshlrev_b32_e32 v33, 3, v49
	global_load_dwordx2 v[33:34], v33, s[0:1]
.LBB16_137:
	s_or_b32 exec_lo, exec_lo, s16
	v_or_b32_e32 v48, 0x200, v0
	s_mov_b32 s16, exec_lo
	v_cmpx_gt_u32_e64 s5, v48
	s_cbranch_execz .LBB16_139
; %bb.138:
	s_waitcnt vmcnt(1)
	v_lshlrev_b32_e32 v29, 3, v48
	global_load_dwordx2 v[29:30], v29, s[0:1]
.LBB16_139:
	;; [unrolled: 10-line block ×15, first 2 shown]
	s_or_b32 exec_lo, exec_lo, s16
	v_cmp_o_f64_e32 vcc_lo, v[19:20], v[19:20]
	v_cmp_gt_u32_e64 s0, s5, v0
	s_and_b32 s1, s0, vcc_lo
	s_and_saveexec_b32 s0, s1
	s_cbranch_execz .LBB16_169
; %bb.166:
	s_mov_b32 s1, exec_lo
	s_waitcnt vmcnt(0)
	v_cmpx_o_f64_e32 v[31:32], v[31:32]
; %bb.167:
	v_cmp_lt_f64_e32 vcc_lo, v[19:20], v[31:32]
	v_cndmask_b32_e32 v32, v20, v32, vcc_lo
	v_cndmask_b32_e32 v31, v19, v31, vcc_lo
; %bb.168:
	s_or_b32 exec_lo, exec_lo, s1
	v_mov_b32_e32 v19, v31
	v_mov_b32_e32 v20, v32
.LBB16_169:
	s_or_b32 exec_lo, exec_lo, s0
	v_cmp_o_f64_e32 vcc_lo, v[19:20], v[19:20]
	v_cmp_gt_u32_e64 s0, s5, v49
	s_and_b32 s1, s0, vcc_lo
	s_and_saveexec_b32 s0, s1
	s_cbranch_execz .LBB16_173
; %bb.170:
	s_mov_b32 s1, exec_lo
	s_waitcnt vmcnt(0)
	v_cmpx_o_f64_e32 v[33:34], v[33:34]
; %bb.171:
	v_cmp_lt_f64_e32 vcc_lo, v[19:20], v[33:34]
	v_cndmask_b32_e32 v34, v20, v34, vcc_lo
	v_cndmask_b32_e32 v33, v19, v33, vcc_lo
; %bb.172:
	s_or_b32 exec_lo, exec_lo, s1
	v_mov_b32_e32 v19, v33
	v_mov_b32_e32 v20, v34
.LBB16_173:
	;; [unrolled: 19-line block ×16, first 2 shown]
	s_or_b32 exec_lo, exec_lo, s0
	s_waitcnt vmcnt(0)
	v_mov_b32_dpp v1, v19 quad_perm:[1,0,3,2] row_mask:0xf bank_mask:0xf
	v_mov_b32_dpp v2, v20 quad_perm:[1,0,3,2] row_mask:0xf bank_mask:0xf
	s_mov_b32 s0, exec_lo
	v_cmpx_o_f64_e32 v[1:2], v[1:2]
	s_xor_b32 s0, exec_lo, s0
	s_cbranch_execz .LBB16_233
; %bb.230:
	s_mov_b32 s1, exec_lo
	v_cmpx_o_f64_e32 v[19:20], v[19:20]
; %bb.231:
	v_cmp_gt_f64_e32 vcc_lo, v[19:20], v[1:2]
	v_cndmask_b32_e32 v20, v2, v20, vcc_lo
	v_cndmask_b32_e32 v19, v1, v19, vcc_lo
; %bb.232:
	s_or_b32 exec_lo, exec_lo, s1
	v_mov_b32_e32 v1, v19
	v_mov_b32_e32 v2, v20
.LBB16_233:
	s_or_b32 exec_lo, exec_lo, s0
	v_mov_b32_dpp v3, v1 quad_perm:[2,3,0,1] row_mask:0xf bank_mask:0xf
	v_mov_b32_dpp v4, v2 quad_perm:[2,3,0,1] row_mask:0xf bank_mask:0xf
	s_mov_b32 s0, exec_lo
	v_cmpx_o_f64_e32 v[3:4], v[3:4]
	s_cbranch_execz .LBB16_237
; %bb.234:
	s_mov_b32 s1, exec_lo
	v_cmpx_o_f64_e32 v[1:2], v[1:2]
; %bb.235:
	v_cmp_gt_f64_e32 vcc_lo, v[1:2], v[3:4]
	v_cndmask_b32_e32 v2, v4, v2, vcc_lo
	v_cndmask_b32_e32 v1, v3, v1, vcc_lo
; %bb.236:
	s_or_b32 exec_lo, exec_lo, s1
	v_mov_b32_e32 v4, v2
	v_mov_b32_e32 v3, v1
.LBB16_237:
	s_or_b32 exec_lo, exec_lo, s0
	v_mov_b32_dpp v1, v3 row_ror:4 row_mask:0xf bank_mask:0xf
	v_mov_b32_dpp v2, v4 row_ror:4 row_mask:0xf bank_mask:0xf
	s_mov_b32 s0, exec_lo
	v_cmpx_o_f64_e32 v[1:2], v[1:2]
	s_cbranch_execz .LBB16_241
; %bb.238:
	s_mov_b32 s1, exec_lo
	v_cmpx_o_f64_e32 v[3:4], v[3:4]
; %bb.239:
	v_cmp_gt_f64_e32 vcc_lo, v[3:4], v[1:2]
	v_cndmask_b32_e32 v4, v2, v4, vcc_lo
	v_cndmask_b32_e32 v3, v1, v3, vcc_lo
; %bb.240:
	s_or_b32 exec_lo, exec_lo, s1
	v_mov_b32_e32 v1, v3
	v_mov_b32_e32 v2, v4
.LBB16_241:
	s_or_b32 exec_lo, exec_lo, s0
	v_mov_b32_dpp v3, v1 row_ror:8 row_mask:0xf bank_mask:0xf
	v_mov_b32_dpp v4, v2 row_ror:8 row_mask:0xf bank_mask:0xf
	s_mov_b32 s0, exec_lo
	v_cmpx_o_f64_e32 v[3:4], v[3:4]
	s_cbranch_execz .LBB16_245
; %bb.242:
	s_mov_b32 s1, exec_lo
	v_cmpx_o_f64_e32 v[1:2], v[1:2]
; %bb.243:
	v_cmp_gt_f64_e32 vcc_lo, v[1:2], v[3:4]
	v_cndmask_b32_e32 v2, v4, v2, vcc_lo
	v_cndmask_b32_e32 v1, v3, v1, vcc_lo
; %bb.244:
	s_or_b32 exec_lo, exec_lo, s1
	v_mov_b32_e32 v4, v2
	v_mov_b32_e32 v3, v1
.LBB16_245:
	s_or_b32 exec_lo, exec_lo, s0
	ds_swizzle_b32 v1, v3 offset:swizzle(BROADCAST,32,15)
	ds_swizzle_b32 v2, v4 offset:swizzle(BROADCAST,32,15)
	s_mov_b32 s0, exec_lo
	s_waitcnt lgkmcnt(0)
	v_cmpx_o_f64_e32 v[1:2], v[1:2]
	s_cbranch_execz .LBB16_249
; %bb.246:
	s_mov_b32 s1, exec_lo
	v_cmpx_o_f64_e32 v[3:4], v[3:4]
; %bb.247:
	v_cmp_gt_f64_e32 vcc_lo, v[3:4], v[1:2]
	v_cndmask_b32_e32 v4, v2, v4, vcc_lo
	v_cndmask_b32_e32 v3, v1, v3, vcc_lo
; %bb.248:
	s_or_b32 exec_lo, exec_lo, s1
	v_mov_b32_e32 v1, v3
	v_mov_b32_e32 v2, v4
.LBB16_249:
	s_or_b32 exec_lo, exec_lo, s0
	v_mov_b32_e32 v3, 0
	v_mbcnt_lo_u32_b32 v5, -1, 0
	s_mov_b32 s0, exec_lo
	ds_bpermute_b32 v1, v3, v1 offset:124
	ds_bpermute_b32 v2, v3, v2 offset:124
	v_cmpx_eq_u32_e32 0, v5
	s_cbranch_execz .LBB16_251
; %bb.250:
	v_lshrrev_b32_e32 v3, 2, v0
	v_and_b32_e32 v3, 56, v3
	s_waitcnt lgkmcnt(0)
	ds_write_b64 v3, v[1:2]
.LBB16_251:
	s_or_b32 exec_lo, exec_lo, s0
	s_mov_b32 s0, exec_lo
	s_waitcnt lgkmcnt(0)
	s_barrier
	buffer_gl0_inv
	v_cmpx_gt_u32_e32 32, v0
	s_cbranch_execz .LBB16_265
; %bb.252:
	v_and_b32_e32 v6, 7, v5
	s_mov_b32 s1, exec_lo
	v_lshlrev_b32_e32 v1, 3, v6
	v_cmp_ne_u32_e32 vcc_lo, 7, v6
	ds_read_b64 v[1:2], v1
	v_add_co_ci_u32_e64 v3, null, 0, v5, vcc_lo
	v_lshlrev_b32_e32 v4, 2, v3
	s_waitcnt lgkmcnt(0)
	ds_bpermute_b32 v3, v4, v1
	ds_bpermute_b32 v4, v4, v2
	v_cmpx_o_f64_e32 v[1:2], v[1:2]
	s_cbranch_execz .LBB16_256
; %bb.253:
	s_mov_b32 s5, exec_lo
	s_waitcnt lgkmcnt(0)
	v_cmpx_o_f64_e32 v[3:4], v[3:4]
; %bb.254:
	v_cmp_lt_f64_e32 vcc_lo, v[1:2], v[3:4]
	v_cndmask_b32_e32 v4, v2, v4, vcc_lo
	v_cndmask_b32_e32 v3, v1, v3, vcc_lo
; %bb.255:
	s_or_b32 exec_lo, exec_lo, s5
	v_mov_b32_e32 v1, v3
	v_mov_b32_e32 v2, v4
.LBB16_256:
	s_or_b32 exec_lo, exec_lo, s1
	v_cmp_gt_u32_e32 vcc_lo, 6, v6
	s_mov_b32 s1, exec_lo
	s_waitcnt lgkmcnt(1)
	v_cndmask_b32_e64 v3, 0, 2, vcc_lo
	s_waitcnt lgkmcnt(0)
	v_add_lshl_u32 v4, v3, v5, 2
	v_lshlrev_b32_e32 v5, 2, v5
	ds_bpermute_b32 v3, v4, v1
	ds_bpermute_b32 v4, v4, v2
	v_cmpx_o_f64_e32 v[1:2], v[1:2]
	s_cbranch_execz .LBB16_260
; %bb.257:
	s_mov_b32 s5, exec_lo
	s_waitcnt lgkmcnt(0)
	v_cmpx_o_f64_e32 v[3:4], v[3:4]
; %bb.258:
	v_cmp_lt_f64_e32 vcc_lo, v[1:2], v[3:4]
	v_cndmask_b32_e32 v4, v2, v4, vcc_lo
	v_cndmask_b32_e32 v3, v1, v3, vcc_lo
; %bb.259:
	s_or_b32 exec_lo, exec_lo, s5
	v_mov_b32_e32 v1, v3
	v_mov_b32_e32 v2, v4
.LBB16_260:
	s_or_b32 exec_lo, exec_lo, s1
	s_waitcnt lgkmcnt(0)
	v_or_b32_e32 v4, 16, v5
	s_mov_b32 s1, exec_lo
	ds_bpermute_b32 v3, v4, v1
	ds_bpermute_b32 v4, v4, v2
	v_cmpx_o_f64_e32 v[1:2], v[1:2]
	s_cbranch_execz .LBB16_264
; %bb.261:
	s_mov_b32 s5, exec_lo
	s_waitcnt lgkmcnt(0)
	v_cmpx_o_f64_e32 v[3:4], v[3:4]
; %bb.262:
	v_cmp_lt_f64_e32 vcc_lo, v[1:2], v[3:4]
	v_cndmask_b32_e32 v4, v2, v4, vcc_lo
	v_cndmask_b32_e32 v3, v1, v3, vcc_lo
; %bb.263:
	s_or_b32 exec_lo, exec_lo, s5
	v_mov_b32_e32 v1, v3
	v_mov_b32_e32 v2, v4
.LBB16_264:
	s_or_b32 exec_lo, exec_lo, s1
.LBB16_265:
	s_or_b32 exec_lo, exec_lo, s0
	s_branch .LBB16_364
.LBB16_266:
	s_sub_i32 s1, s15, s4
	s_mov_b32 s0, exec_lo
                                        ; implicit-def: $vgpr3_vgpr4
	v_cmpx_gt_u32_e64 s1, v0
	s_cbranch_execz .LBB16_276
; %bb.267:
	v_add_nc_u32_e32 v1, s4, v0
	s_mov_b32 s4, exec_lo
	v_ashrrev_i32_e32 v2, 31, v1
	s_waitcnt lgkmcnt(1)
	v_lshlrev_b64 v[2:3], 3, v[1:2]
	v_add_nc_u32_e32 v1, 0x100, v1
	v_add_co_u32 v2, vcc_lo, s8, v2
	v_add_co_ci_u32_e64 v3, null, s9, v3, vcc_lo
	s_waitcnt lgkmcnt(0)
	global_load_dwordx2 v[3:4], v[2:3], off
	v_cmpx_gt_i32_e64 s15, v1
	s_cbranch_execz .LBB16_275
; %bb.268:
	s_mov_b32 s5, 0
	s_inst_prefetch 0x1
	s_branch .LBB16_271
	.p2align	6
.LBB16_269:                             ;   in Loop: Header=BB16_271 Depth=1
	s_or_b32 exec_lo, exec_lo, s17
	v_mov_b32_e32 v3, v5
	v_mov_b32_e32 v4, v6
.LBB16_270:                             ;   in Loop: Header=BB16_271 Depth=1
	s_or_b32 exec_lo, exec_lo, s16
	v_add_nc_u32_e32 v1, 0x100, v1
	v_cmp_le_i32_e32 vcc_lo, s15, v1
	s_or_b32 s5, vcc_lo, s5
	s_andn2_b32 exec_lo, exec_lo, s5
	s_cbranch_execz .LBB16_274
.LBB16_271:                             ; =>This Inner Loop Header: Depth=1
	s_mov_b32 s16, exec_lo
	s_waitcnt vmcnt(0)
	v_cmpx_o_f64_e32 v[3:4], v[3:4]
	s_cbranch_execz .LBB16_270
; %bb.272:                              ;   in Loop: Header=BB16_271 Depth=1
	v_ashrrev_i32_e32 v2, 31, v1
	s_mov_b32 s17, exec_lo
	v_lshlrev_b64 v[5:6], 3, v[1:2]
	v_add_co_u32 v5, vcc_lo, s8, v5
	v_add_co_ci_u32_e64 v6, null, s9, v6, vcc_lo
	global_load_dwordx2 v[5:6], v[5:6], off
	s_waitcnt vmcnt(0)
	v_cmpx_o_f64_e32 v[5:6], v[5:6]
	s_cbranch_execz .LBB16_269
; %bb.273:                              ;   in Loop: Header=BB16_271 Depth=1
	v_cmp_lt_f64_e32 vcc_lo, v[3:4], v[5:6]
	v_cndmask_b32_e32 v6, v4, v6, vcc_lo
	v_cndmask_b32_e32 v5, v3, v5, vcc_lo
	s_branch .LBB16_269
.LBB16_274:
	s_inst_prefetch 0x2
	s_or_b32 exec_lo, exec_lo, s5
.LBB16_275:
	s_or_b32 exec_lo, exec_lo, s4
.LBB16_276:
	s_or_b32 exec_lo, exec_lo, s0
	v_lshrrev_b32_e32 v10, 5, v0
	v_mbcnt_lo_u32_b32 v9, -1, 0
	s_cmpk_lt_u32 s1, 0x100
	s_mov_b32 s0, -1
                                        ; implicit-def: $vgpr1_vgpr2
	s_cbranch_scc0 .LBB16_326
; %bb.277:
	v_cmp_ne_u32_e32 vcc_lo, 31, v9
	s_waitcnt vmcnt(0) lgkmcnt(1)
	v_mov_b32_e32 v5, v3
	s_waitcnt lgkmcnt(0)
	v_mov_b32_e32 v6, v4
	v_add_co_ci_u32_e64 v1, null, 0, v9, vcc_lo
	v_lshlrev_b32_e32 v1, 2, v1
	ds_bpermute_b32 v7, v1, v3
	ds_bpermute_b32 v8, v1, v4
	v_and_b32_e32 v1, 0xe0, v0
	v_sub_nc_u32_e64 v11, s1, v1 clamp
	v_add_nc_u32_e32 v1, 1, v9
	v_cmp_lt_u32_e32 vcc_lo, v1, v11
	v_mov_b32_e32 v1, v3
	v_mov_b32_e32 v2, v4
	s_and_saveexec_b32 s0, vcc_lo
	s_cbranch_execz .LBB16_283
; %bb.278:
	v_mov_b32_e32 v6, v4
	v_mov_b32_e32 v5, v3
	s_mov_b32 s4, exec_lo
	v_cmpx_o_f64_e32 v[3:4], v[3:4]
	s_cbranch_execz .LBB16_282
; %bb.279:
	s_mov_b32 s5, exec_lo
	s_waitcnt lgkmcnt(0)
	v_cmpx_o_f64_e32 v[7:8], v[7:8]
; %bb.280:
	v_cmp_lt_f64_e32 vcc_lo, v[3:4], v[7:8]
	v_cndmask_b32_e32 v8, v4, v8, vcc_lo
	v_cndmask_b32_e32 v7, v3, v7, vcc_lo
; %bb.281:
	s_or_b32 exec_lo, exec_lo, s5
	v_mov_b32_e32 v5, v7
	v_mov_b32_e32 v6, v8
.LBB16_282:
	s_or_b32 exec_lo, exec_lo, s4
	v_mov_b32_e32 v1, v5
	v_mov_b32_e32 v2, v6
.LBB16_283:
	s_or_b32 exec_lo, exec_lo, s0
	v_cmp_gt_u32_e32 vcc_lo, 30, v9
	v_add_nc_u32_e32 v12, 2, v9
	s_mov_b32 s0, exec_lo
	s_waitcnt lgkmcnt(1)
	v_cndmask_b32_e64 v7, 0, 2, vcc_lo
	s_waitcnt lgkmcnt(0)
	v_add_lshl_u32 v8, v7, v9, 2
	ds_bpermute_b32 v7, v8, v5
	ds_bpermute_b32 v8, v8, v6
	v_cmpx_lt_u32_e64 v12, v11
	s_cbranch_execz .LBB16_289
; %bb.284:
	s_mov_b32 s4, exec_lo
	v_cmpx_o_f64_e32 v[1:2], v[1:2]
	s_cbranch_execz .LBB16_288
; %bb.285:
	s_mov_b32 s5, exec_lo
	s_waitcnt lgkmcnt(0)
	v_cmpx_o_f64_e32 v[7:8], v[7:8]
; %bb.286:
	v_cmp_lt_f64_e32 vcc_lo, v[1:2], v[7:8]
	v_cndmask_b32_e32 v8, v2, v8, vcc_lo
	v_cndmask_b32_e32 v7, v1, v7, vcc_lo
; %bb.287:
	s_or_b32 exec_lo, exec_lo, s5
	v_mov_b32_e32 v1, v7
	v_mov_b32_e32 v2, v8
.LBB16_288:
	s_or_b32 exec_lo, exec_lo, s4
	v_mov_b32_e32 v5, v1
	v_mov_b32_e32 v6, v2
.LBB16_289:
	s_or_b32 exec_lo, exec_lo, s0
	v_cmp_gt_u32_e32 vcc_lo, 28, v9
	v_add_nc_u32_e32 v12, 4, v9
	s_mov_b32 s0, exec_lo
	s_waitcnt lgkmcnt(1)
	v_cndmask_b32_e64 v7, 0, 4, vcc_lo
	s_waitcnt lgkmcnt(0)
	v_add_lshl_u32 v8, v7, v9, 2
	ds_bpermute_b32 v7, v8, v5
	ds_bpermute_b32 v8, v8, v6
	v_cmpx_lt_u32_e64 v12, v11
	s_cbranch_execz .LBB16_295
; %bb.290:
	s_mov_b32 s4, exec_lo
	v_cmpx_o_f64_e32 v[1:2], v[1:2]
	s_cbranch_execz .LBB16_294
; %bb.291:
	s_mov_b32 s5, exec_lo
	s_waitcnt lgkmcnt(0)
	v_cmpx_o_f64_e32 v[7:8], v[7:8]
; %bb.292:
	v_cmp_lt_f64_e32 vcc_lo, v[1:2], v[7:8]
	v_cndmask_b32_e32 v8, v2, v8, vcc_lo
	v_cndmask_b32_e32 v7, v1, v7, vcc_lo
; %bb.293:
	s_or_b32 exec_lo, exec_lo, s5
	v_mov_b32_e32 v1, v7
	v_mov_b32_e32 v2, v8
.LBB16_294:
	s_or_b32 exec_lo, exec_lo, s4
	v_mov_b32_e32 v5, v1
	v_mov_b32_e32 v6, v2
.LBB16_295:
	;; [unrolled: 33-line block ×3, first 2 shown]
	s_or_b32 exec_lo, exec_lo, s0
	s_waitcnt lgkmcnt(1)
	v_lshlrev_b32_e32 v7, 2, v9
	v_cmp_o_f64_e32 vcc_lo, v[1:2], v[1:2]
	s_waitcnt lgkmcnt(0)
	v_or_b32_e32 v8, 64, v7
	ds_bpermute_b32 v5, v8, v5
	ds_bpermute_b32 v6, v8, v6
	v_add_nc_u32_e32 v8, 16, v9
	v_cmp_lt_u32_e64 s0, v8, v11
	s_and_b32 s4, s0, vcc_lo
	s_and_saveexec_b32 s0, s4
	s_cbranch_execz .LBB16_305
; %bb.302:
	s_mov_b32 s4, exec_lo
	s_waitcnt lgkmcnt(0)
	v_cmpx_o_f64_e32 v[5:6], v[5:6]
; %bb.303:
	v_cmp_lt_f64_e32 vcc_lo, v[1:2], v[5:6]
	v_cndmask_b32_e32 v6, v2, v6, vcc_lo
	v_cndmask_b32_e32 v5, v1, v5, vcc_lo
; %bb.304:
	s_or_b32 exec_lo, exec_lo, s4
	v_mov_b32_e32 v1, v5
	v_mov_b32_e32 v2, v6
.LBB16_305:
	s_or_b32 exec_lo, exec_lo, s0
	s_mov_b32 s0, exec_lo
	v_cmpx_eq_u32_e32 0, v9
	s_cbranch_execz .LBB16_307
; %bb.306:
	s_waitcnt lgkmcnt(1)
	v_lshlrev_b32_e32 v5, 3, v10
	ds_write_b64 v5, v[1:2]
.LBB16_307:
	s_or_b32 exec_lo, exec_lo, s0
	s_mov_b32 s4, exec_lo
	s_waitcnt lgkmcnt(0)
	s_barrier
	buffer_gl0_inv
	v_cmpx_gt_u32_e32 8, v0
	s_cbranch_execz .LBB16_325
; %bb.308:
	v_lshlrev_b32_e32 v1, 3, v9
	v_and_b32_e32 v8, 7, v9
	s_add_i32 s1, s1, 31
	s_lshr_b32 s0, s1, 5
	ds_read_b64 v[1:2], v1
	v_cmp_ne_u32_e32 vcc_lo, 7, v8
	v_add_nc_u32_e32 v11, 1, v8
	s_mov_b32 s1, exec_lo
	v_add_co_ci_u32_e64 v5, null, 0, v9, vcc_lo
	v_lshlrev_b32_e32 v6, 2, v5
	s_waitcnt lgkmcnt(0)
	ds_bpermute_b32 v5, v6, v1
	ds_bpermute_b32 v6, v6, v2
	v_cmpx_gt_u32_e64 s0, v11
	s_cbranch_execz .LBB16_314
; %bb.309:
	s_mov_b32 s5, exec_lo
	v_cmpx_o_f64_e32 v[1:2], v[1:2]
	s_cbranch_execz .LBB16_313
; %bb.310:
	s_mov_b32 s8, exec_lo
	s_waitcnt lgkmcnt(0)
	v_cmpx_o_f64_e32 v[5:6], v[5:6]
; %bb.311:
	v_cmp_lt_f64_e32 vcc_lo, v[1:2], v[5:6]
	v_cndmask_b32_e32 v6, v2, v6, vcc_lo
	v_cndmask_b32_e32 v5, v1, v5, vcc_lo
; %bb.312:
	s_or_b32 exec_lo, exec_lo, s8
	v_mov_b32_e32 v1, v5
	v_mov_b32_e32 v2, v6
.LBB16_313:
	s_or_b32 exec_lo, exec_lo, s5
.LBB16_314:
	s_or_b32 exec_lo, exec_lo, s1
	v_cmp_gt_u32_e32 vcc_lo, 6, v8
	v_add_nc_u32_e32 v11, 2, v8
	s_mov_b32 s1, exec_lo
	s_waitcnt lgkmcnt(1)
	v_cndmask_b32_e64 v5, 0, 2, vcc_lo
	s_waitcnt lgkmcnt(0)
	v_add_lshl_u32 v6, v5, v9, 2
	ds_bpermute_b32 v5, v6, v1
	ds_bpermute_b32 v6, v6, v2
	v_cmpx_gt_u32_e64 s0, v11
	s_cbranch_execz .LBB16_320
; %bb.315:
	s_mov_b32 s5, exec_lo
	v_cmpx_o_f64_e32 v[1:2], v[1:2]
	s_cbranch_execz .LBB16_319
; %bb.316:
	s_mov_b32 s8, exec_lo
	s_waitcnt lgkmcnt(0)
	v_cmpx_o_f64_e32 v[5:6], v[5:6]
; %bb.317:
	v_cmp_lt_f64_e32 vcc_lo, v[1:2], v[5:6]
	v_cndmask_b32_e32 v6, v2, v6, vcc_lo
	v_cndmask_b32_e32 v5, v1, v5, vcc_lo
; %bb.318:
	s_or_b32 exec_lo, exec_lo, s8
	v_mov_b32_e32 v1, v5
	v_mov_b32_e32 v2, v6
.LBB16_319:
	s_or_b32 exec_lo, exec_lo, s5
.LBB16_320:
	s_or_b32 exec_lo, exec_lo, s1
	s_waitcnt lgkmcnt(0)
	v_or_b32_e32 v6, 16, v7
	v_cmp_o_f64_e32 vcc_lo, v[1:2], v[1:2]
	v_add_nc_u32_e32 v7, 4, v8
	ds_bpermute_b32 v5, v6, v1
	ds_bpermute_b32 v6, v6, v2
	v_cmp_gt_u32_e64 s0, s0, v7
	s_and_b32 s1, s0, vcc_lo
	s_and_saveexec_b32 s0, s1
	s_cbranch_execz .LBB16_324
; %bb.321:
	s_mov_b32 s1, exec_lo
	s_waitcnt lgkmcnt(0)
	v_cmpx_o_f64_e32 v[5:6], v[5:6]
; %bb.322:
	v_cmp_lt_f64_e32 vcc_lo, v[1:2], v[5:6]
	v_cndmask_b32_e32 v6, v2, v6, vcc_lo
	v_cndmask_b32_e32 v5, v1, v5, vcc_lo
; %bb.323:
	s_or_b32 exec_lo, exec_lo, s1
	v_mov_b32_e32 v1, v5
	v_mov_b32_e32 v2, v6
.LBB16_324:
	s_or_b32 exec_lo, exec_lo, s0
.LBB16_325:
	s_or_b32 exec_lo, exec_lo, s4
	s_mov_b32 s0, 0
.LBB16_326:
	s_and_b32 vcc_lo, exec_lo, s0
	s_cbranch_vccz .LBB16_364
; %bb.327:
	s_waitcnt vmcnt(0) lgkmcnt(1)
	v_mov_b32_dpp v1, v3 quad_perm:[1,0,3,2] row_mask:0xf bank_mask:0xf
	s_waitcnt lgkmcnt(0)
	v_mov_b32_dpp v2, v4 quad_perm:[1,0,3,2] row_mask:0xf bank_mask:0xf
	s_mov_b32 s0, exec_lo
	v_cmpx_o_f64_e32 v[1:2], v[1:2]
	s_cbranch_execz .LBB16_331
; %bb.328:
	s_mov_b32 s1, exec_lo
	v_cmpx_o_f64_e32 v[3:4], v[3:4]
; %bb.329:
	v_cmp_gt_f64_e32 vcc_lo, v[3:4], v[1:2]
	v_cndmask_b32_e32 v4, v2, v4, vcc_lo
	v_cndmask_b32_e32 v3, v1, v3, vcc_lo
; %bb.330:
	s_or_b32 exec_lo, exec_lo, s1
	v_mov_b32_e32 v1, v3
	v_mov_b32_e32 v2, v4
.LBB16_331:
	s_or_b32 exec_lo, exec_lo, s0
	v_mov_b32_dpp v3, v1 quad_perm:[2,3,0,1] row_mask:0xf bank_mask:0xf
	v_mov_b32_dpp v4, v2 quad_perm:[2,3,0,1] row_mask:0xf bank_mask:0xf
	s_mov_b32 s0, exec_lo
	v_cmpx_o_f64_e32 v[3:4], v[3:4]
	s_cbranch_execz .LBB16_335
; %bb.332:
	s_mov_b32 s1, exec_lo
	v_cmpx_o_f64_e32 v[1:2], v[1:2]
; %bb.333:
	v_cmp_gt_f64_e32 vcc_lo, v[1:2], v[3:4]
	v_cndmask_b32_e32 v2, v4, v2, vcc_lo
	v_cndmask_b32_e32 v1, v3, v1, vcc_lo
; %bb.334:
	s_or_b32 exec_lo, exec_lo, s1
	v_mov_b32_e32 v4, v2
	v_mov_b32_e32 v3, v1
.LBB16_335:
	s_or_b32 exec_lo, exec_lo, s0
	v_mov_b32_dpp v1, v3 row_ror:4 row_mask:0xf bank_mask:0xf
	v_mov_b32_dpp v2, v4 row_ror:4 row_mask:0xf bank_mask:0xf
	s_mov_b32 s0, exec_lo
	v_cmpx_o_f64_e32 v[1:2], v[1:2]
	s_cbranch_execz .LBB16_339
; %bb.336:
	s_mov_b32 s1, exec_lo
	v_cmpx_o_f64_e32 v[3:4], v[3:4]
; %bb.337:
	v_cmp_gt_f64_e32 vcc_lo, v[3:4], v[1:2]
	v_cndmask_b32_e32 v4, v2, v4, vcc_lo
	v_cndmask_b32_e32 v3, v1, v3, vcc_lo
; %bb.338:
	s_or_b32 exec_lo, exec_lo, s1
	v_mov_b32_e32 v1, v3
	v_mov_b32_e32 v2, v4
.LBB16_339:
	s_or_b32 exec_lo, exec_lo, s0
	v_mov_b32_dpp v3, v1 row_ror:8 row_mask:0xf bank_mask:0xf
	v_mov_b32_dpp v4, v2 row_ror:8 row_mask:0xf bank_mask:0xf
	s_mov_b32 s0, exec_lo
	v_cmpx_o_f64_e32 v[3:4], v[3:4]
	s_cbranch_execz .LBB16_343
; %bb.340:
	s_mov_b32 s1, exec_lo
	v_cmpx_o_f64_e32 v[1:2], v[1:2]
; %bb.341:
	v_cmp_gt_f64_e32 vcc_lo, v[1:2], v[3:4]
	v_cndmask_b32_e32 v2, v4, v2, vcc_lo
	v_cndmask_b32_e32 v1, v3, v1, vcc_lo
; %bb.342:
	s_or_b32 exec_lo, exec_lo, s1
	v_mov_b32_e32 v4, v2
	v_mov_b32_e32 v3, v1
.LBB16_343:
	s_or_b32 exec_lo, exec_lo, s0
	ds_swizzle_b32 v1, v3 offset:swizzle(BROADCAST,32,15)
	ds_swizzle_b32 v2, v4 offset:swizzle(BROADCAST,32,15)
	s_mov_b32 s0, exec_lo
	s_waitcnt lgkmcnt(0)
	v_cmpx_o_f64_e32 v[1:2], v[1:2]
	s_cbranch_execz .LBB16_347
; %bb.344:
	s_mov_b32 s1, exec_lo
	v_cmpx_o_f64_e32 v[3:4], v[3:4]
; %bb.345:
	v_cmp_gt_f64_e32 vcc_lo, v[3:4], v[1:2]
	v_cndmask_b32_e32 v4, v2, v4, vcc_lo
	v_cndmask_b32_e32 v3, v1, v3, vcc_lo
; %bb.346:
	s_or_b32 exec_lo, exec_lo, s1
	v_mov_b32_e32 v1, v3
	v_mov_b32_e32 v2, v4
.LBB16_347:
	s_or_b32 exec_lo, exec_lo, s0
	v_mov_b32_e32 v3, 0
	s_mov_b32 s0, exec_lo
	ds_bpermute_b32 v1, v3, v1 offset:124
	ds_bpermute_b32 v2, v3, v2 offset:124
	v_cmpx_eq_u32_e32 0, v9
	s_cbranch_execz .LBB16_349
; %bb.348:
	v_lshlrev_b32_e32 v3, 3, v10
	s_waitcnt lgkmcnt(0)
	ds_write_b64 v3, v[1:2]
.LBB16_349:
	s_or_b32 exec_lo, exec_lo, s0
	s_mov_b32 s0, exec_lo
	s_waitcnt lgkmcnt(0)
	s_barrier
	buffer_gl0_inv
	v_cmpx_gt_u32_e32 32, v0
	s_cbranch_execz .LBB16_363
; %bb.350:
	v_and_b32_e32 v5, 7, v9
	s_mov_b32 s1, exec_lo
	v_lshlrev_b32_e32 v1, 3, v5
	v_cmp_ne_u32_e32 vcc_lo, 7, v5
	ds_read_b64 v[1:2], v1
	v_add_co_ci_u32_e64 v3, null, 0, v9, vcc_lo
	v_lshlrev_b32_e32 v4, 2, v3
	s_waitcnt lgkmcnt(0)
	ds_bpermute_b32 v3, v4, v1
	ds_bpermute_b32 v4, v4, v2
	v_cmpx_o_f64_e32 v[1:2], v[1:2]
	s_cbranch_execz .LBB16_354
; %bb.351:
	s_mov_b32 s4, exec_lo
	s_waitcnt lgkmcnt(0)
	v_cmpx_o_f64_e32 v[3:4], v[3:4]
; %bb.352:
	v_cmp_lt_f64_e32 vcc_lo, v[1:2], v[3:4]
	v_cndmask_b32_e32 v4, v2, v4, vcc_lo
	v_cndmask_b32_e32 v3, v1, v3, vcc_lo
; %bb.353:
	s_or_b32 exec_lo, exec_lo, s4
	v_mov_b32_e32 v1, v3
	v_mov_b32_e32 v2, v4
.LBB16_354:
	s_or_b32 exec_lo, exec_lo, s1
	v_cmp_gt_u32_e32 vcc_lo, 6, v5
	v_lshlrev_b32_e32 v5, 2, v9
	s_mov_b32 s1, exec_lo
	s_waitcnt lgkmcnt(1)
	v_cndmask_b32_e64 v3, 0, 2, vcc_lo
	s_waitcnt lgkmcnt(0)
	v_add_lshl_u32 v4, v3, v9, 2
	ds_bpermute_b32 v3, v4, v1
	ds_bpermute_b32 v4, v4, v2
	v_cmpx_o_f64_e32 v[1:2], v[1:2]
	s_cbranch_execz .LBB16_358
; %bb.355:
	s_mov_b32 s4, exec_lo
	s_waitcnt lgkmcnt(0)
	v_cmpx_o_f64_e32 v[3:4], v[3:4]
; %bb.356:
	v_cmp_lt_f64_e32 vcc_lo, v[1:2], v[3:4]
	v_cndmask_b32_e32 v4, v2, v4, vcc_lo
	v_cndmask_b32_e32 v3, v1, v3, vcc_lo
; %bb.357:
	s_or_b32 exec_lo, exec_lo, s4
	v_mov_b32_e32 v1, v3
	v_mov_b32_e32 v2, v4
.LBB16_358:
	s_or_b32 exec_lo, exec_lo, s1
	s_waitcnt lgkmcnt(0)
	v_or_b32_e32 v4, 16, v5
	s_mov_b32 s1, exec_lo
	ds_bpermute_b32 v3, v4, v1
	ds_bpermute_b32 v4, v4, v2
	v_cmpx_o_f64_e32 v[1:2], v[1:2]
	s_cbranch_execz .LBB16_362
; %bb.359:
	s_mov_b32 s4, exec_lo
	s_waitcnt lgkmcnt(0)
	v_cmpx_o_f64_e32 v[3:4], v[3:4]
; %bb.360:
	v_cmp_lt_f64_e32 vcc_lo, v[1:2], v[3:4]
	v_cndmask_b32_e32 v4, v2, v4, vcc_lo
	v_cndmask_b32_e32 v3, v1, v3, vcc_lo
; %bb.361:
	s_or_b32 exec_lo, exec_lo, s4
	v_mov_b32_e32 v1, v3
	v_mov_b32_e32 v2, v4
.LBB16_362:
	s_or_b32 exec_lo, exec_lo, s1
.LBB16_363:
	s_or_b32 exec_lo, exec_lo, s0
.LBB16_364:
	s_mov_b32 s0, exec_lo
                                        ; implicit-def: $vgpr3_vgpr4
	v_cmpx_eq_u32_e32 0, v0
	s_cbranch_execz .LBB16_370
; %bb.365:
	v_cmp_u_f64_e64 s1, s[2:3], s[2:3]
	s_waitcnt vmcnt(0) lgkmcnt(0)
	v_mov_b32_e32 v4, s3
	v_mov_b32_e32 v3, s2
	s_and_b32 vcc_lo, exec_lo, s1
	s_cbranch_vccnz .LBB16_369
; %bb.366:
	s_mov_b32 s1, exec_lo
	v_cmpx_o_f64_e32 v[1:2], v[1:2]
; %bb.367:
	v_cmp_lt_f64_e32 vcc_lo, s[2:3], v[1:2]
	v_cndmask_b32_e32 v2, s3, v2, vcc_lo
	v_cndmask_b32_e32 v1, s2, v1, vcc_lo
; %bb.368:
	s_or_b32 exec_lo, exec_lo, s1
	v_mov_b32_e32 v4, v2
	v_mov_b32_e32 v3, v1
.LBB16_369:
	s_or_b32 s14, s14, exec_lo
.LBB16_370:
	s_or_b32 exec_lo, exec_lo, s0
	s_and_saveexec_b32 s0, s14
	s_cbranch_execz .LBB16_372
.LBB16_371:
	s_lshl_b64 s[0:1], s[12:13], 3
	v_mov_b32_e32 v0, 0
	s_add_u32 s2, s10, s0
	s_addc_u32 s3, s11, s1
	s_lshl_b64 s[0:1], s[6:7], 3
	s_add_u32 s0, s2, s0
	s_addc_u32 s1, s3, s1
	s_waitcnt vmcnt(0) lgkmcnt(0)
	global_store_dwordx2 v0, v[3:4], s[0:1]
.LBB16_372:
	s_endpgm
	.section	.rodata,"a",@progbits
	.p2align	6, 0x0
	.amdhsa_kernel _ZN7rocprim17ROCPRIM_400000_NS6detail17trampoline_kernelINS0_14default_configENS1_32segmented_reduce_config_selectorIdEEZNS1_21segmented_reduce_implIS3_PKdPdPKidN6hipcub16HIPCUB_304000_NS6detail27convert_result_type_wrapperIS8_S9_N2at6native12_GLOBAL__N_19CustomMaxEEEEE10hipError_tPvRmT0_T1_jT2_SQ_T4_T3_P12ihipStream_tbEUlT_E_NS1_11comp_targetILNS1_3genE8ELNS1_11target_archE1030ELNS1_3gpuE2ELNS1_3repE0EEENS1_30default_config_static_selectorELNS0_4arch9wavefront6targetE0EEEvSP_
		.amdhsa_group_segment_fixed_size 64
		.amdhsa_private_segment_fixed_size 0
		.amdhsa_kernarg_size 56
		.amdhsa_user_sgpr_count 6
		.amdhsa_user_sgpr_private_segment_buffer 1
		.amdhsa_user_sgpr_dispatch_ptr 0
		.amdhsa_user_sgpr_queue_ptr 0
		.amdhsa_user_sgpr_kernarg_segment_ptr 1
		.amdhsa_user_sgpr_dispatch_id 0
		.amdhsa_user_sgpr_flat_scratch_init 0
		.amdhsa_user_sgpr_private_segment_size 0
		.amdhsa_wavefront_size32 1
		.amdhsa_uses_dynamic_stack 0
		.amdhsa_system_sgpr_private_segment_wavefront_offset 0
		.amdhsa_system_sgpr_workgroup_id_x 1
		.amdhsa_system_sgpr_workgroup_id_y 0
		.amdhsa_system_sgpr_workgroup_id_z 0
		.amdhsa_system_sgpr_workgroup_info 0
		.amdhsa_system_vgpr_workitem_id 0
		.amdhsa_next_free_vgpr 50
		.amdhsa_next_free_sgpr 18
		.amdhsa_reserve_vcc 1
		.amdhsa_reserve_flat_scratch 0
		.amdhsa_float_round_mode_32 0
		.amdhsa_float_round_mode_16_64 0
		.amdhsa_float_denorm_mode_32 3
		.amdhsa_float_denorm_mode_16_64 3
		.amdhsa_dx10_clamp 1
		.amdhsa_ieee_mode 1
		.amdhsa_fp16_overflow 0
		.amdhsa_workgroup_processor_mode 1
		.amdhsa_memory_ordered 1
		.amdhsa_forward_progress 1
		.amdhsa_shared_vgpr_count 0
		.amdhsa_exception_fp_ieee_invalid_op 0
		.amdhsa_exception_fp_denorm_src 0
		.amdhsa_exception_fp_ieee_div_zero 0
		.amdhsa_exception_fp_ieee_overflow 0
		.amdhsa_exception_fp_ieee_underflow 0
		.amdhsa_exception_fp_ieee_inexact 0
		.amdhsa_exception_int_div_zero 0
	.end_amdhsa_kernel
	.section	.text._ZN7rocprim17ROCPRIM_400000_NS6detail17trampoline_kernelINS0_14default_configENS1_32segmented_reduce_config_selectorIdEEZNS1_21segmented_reduce_implIS3_PKdPdPKidN6hipcub16HIPCUB_304000_NS6detail27convert_result_type_wrapperIS8_S9_N2at6native12_GLOBAL__N_19CustomMaxEEEEE10hipError_tPvRmT0_T1_jT2_SQ_T4_T3_P12ihipStream_tbEUlT_E_NS1_11comp_targetILNS1_3genE8ELNS1_11target_archE1030ELNS1_3gpuE2ELNS1_3repE0EEENS1_30default_config_static_selectorELNS0_4arch9wavefront6targetE0EEEvSP_,"axG",@progbits,_ZN7rocprim17ROCPRIM_400000_NS6detail17trampoline_kernelINS0_14default_configENS1_32segmented_reduce_config_selectorIdEEZNS1_21segmented_reduce_implIS3_PKdPdPKidN6hipcub16HIPCUB_304000_NS6detail27convert_result_type_wrapperIS8_S9_N2at6native12_GLOBAL__N_19CustomMaxEEEEE10hipError_tPvRmT0_T1_jT2_SQ_T4_T3_P12ihipStream_tbEUlT_E_NS1_11comp_targetILNS1_3genE8ELNS1_11target_archE1030ELNS1_3gpuE2ELNS1_3repE0EEENS1_30default_config_static_selectorELNS0_4arch9wavefront6targetE0EEEvSP_,comdat
.Lfunc_end16:
	.size	_ZN7rocprim17ROCPRIM_400000_NS6detail17trampoline_kernelINS0_14default_configENS1_32segmented_reduce_config_selectorIdEEZNS1_21segmented_reduce_implIS3_PKdPdPKidN6hipcub16HIPCUB_304000_NS6detail27convert_result_type_wrapperIS8_S9_N2at6native12_GLOBAL__N_19CustomMaxEEEEE10hipError_tPvRmT0_T1_jT2_SQ_T4_T3_P12ihipStream_tbEUlT_E_NS1_11comp_targetILNS1_3genE8ELNS1_11target_archE1030ELNS1_3gpuE2ELNS1_3repE0EEENS1_30default_config_static_selectorELNS0_4arch9wavefront6targetE0EEEvSP_, .Lfunc_end16-_ZN7rocprim17ROCPRIM_400000_NS6detail17trampoline_kernelINS0_14default_configENS1_32segmented_reduce_config_selectorIdEEZNS1_21segmented_reduce_implIS3_PKdPdPKidN6hipcub16HIPCUB_304000_NS6detail27convert_result_type_wrapperIS8_S9_N2at6native12_GLOBAL__N_19CustomMaxEEEEE10hipError_tPvRmT0_T1_jT2_SQ_T4_T3_P12ihipStream_tbEUlT_E_NS1_11comp_targetILNS1_3genE8ELNS1_11target_archE1030ELNS1_3gpuE2ELNS1_3repE0EEENS1_30default_config_static_selectorELNS0_4arch9wavefront6targetE0EEEvSP_
                                        ; -- End function
	.set _ZN7rocprim17ROCPRIM_400000_NS6detail17trampoline_kernelINS0_14default_configENS1_32segmented_reduce_config_selectorIdEEZNS1_21segmented_reduce_implIS3_PKdPdPKidN6hipcub16HIPCUB_304000_NS6detail27convert_result_type_wrapperIS8_S9_N2at6native12_GLOBAL__N_19CustomMaxEEEEE10hipError_tPvRmT0_T1_jT2_SQ_T4_T3_P12ihipStream_tbEUlT_E_NS1_11comp_targetILNS1_3genE8ELNS1_11target_archE1030ELNS1_3gpuE2ELNS1_3repE0EEENS1_30default_config_static_selectorELNS0_4arch9wavefront6targetE0EEEvSP_.num_vgpr, 50
	.set _ZN7rocprim17ROCPRIM_400000_NS6detail17trampoline_kernelINS0_14default_configENS1_32segmented_reduce_config_selectorIdEEZNS1_21segmented_reduce_implIS3_PKdPdPKidN6hipcub16HIPCUB_304000_NS6detail27convert_result_type_wrapperIS8_S9_N2at6native12_GLOBAL__N_19CustomMaxEEEEE10hipError_tPvRmT0_T1_jT2_SQ_T4_T3_P12ihipStream_tbEUlT_E_NS1_11comp_targetILNS1_3genE8ELNS1_11target_archE1030ELNS1_3gpuE2ELNS1_3repE0EEENS1_30default_config_static_selectorELNS0_4arch9wavefront6targetE0EEEvSP_.num_agpr, 0
	.set _ZN7rocprim17ROCPRIM_400000_NS6detail17trampoline_kernelINS0_14default_configENS1_32segmented_reduce_config_selectorIdEEZNS1_21segmented_reduce_implIS3_PKdPdPKidN6hipcub16HIPCUB_304000_NS6detail27convert_result_type_wrapperIS8_S9_N2at6native12_GLOBAL__N_19CustomMaxEEEEE10hipError_tPvRmT0_T1_jT2_SQ_T4_T3_P12ihipStream_tbEUlT_E_NS1_11comp_targetILNS1_3genE8ELNS1_11target_archE1030ELNS1_3gpuE2ELNS1_3repE0EEENS1_30default_config_static_selectorELNS0_4arch9wavefront6targetE0EEEvSP_.numbered_sgpr, 18
	.set _ZN7rocprim17ROCPRIM_400000_NS6detail17trampoline_kernelINS0_14default_configENS1_32segmented_reduce_config_selectorIdEEZNS1_21segmented_reduce_implIS3_PKdPdPKidN6hipcub16HIPCUB_304000_NS6detail27convert_result_type_wrapperIS8_S9_N2at6native12_GLOBAL__N_19CustomMaxEEEEE10hipError_tPvRmT0_T1_jT2_SQ_T4_T3_P12ihipStream_tbEUlT_E_NS1_11comp_targetILNS1_3genE8ELNS1_11target_archE1030ELNS1_3gpuE2ELNS1_3repE0EEENS1_30default_config_static_selectorELNS0_4arch9wavefront6targetE0EEEvSP_.num_named_barrier, 0
	.set _ZN7rocprim17ROCPRIM_400000_NS6detail17trampoline_kernelINS0_14default_configENS1_32segmented_reduce_config_selectorIdEEZNS1_21segmented_reduce_implIS3_PKdPdPKidN6hipcub16HIPCUB_304000_NS6detail27convert_result_type_wrapperIS8_S9_N2at6native12_GLOBAL__N_19CustomMaxEEEEE10hipError_tPvRmT0_T1_jT2_SQ_T4_T3_P12ihipStream_tbEUlT_E_NS1_11comp_targetILNS1_3genE8ELNS1_11target_archE1030ELNS1_3gpuE2ELNS1_3repE0EEENS1_30default_config_static_selectorELNS0_4arch9wavefront6targetE0EEEvSP_.private_seg_size, 0
	.set _ZN7rocprim17ROCPRIM_400000_NS6detail17trampoline_kernelINS0_14default_configENS1_32segmented_reduce_config_selectorIdEEZNS1_21segmented_reduce_implIS3_PKdPdPKidN6hipcub16HIPCUB_304000_NS6detail27convert_result_type_wrapperIS8_S9_N2at6native12_GLOBAL__N_19CustomMaxEEEEE10hipError_tPvRmT0_T1_jT2_SQ_T4_T3_P12ihipStream_tbEUlT_E_NS1_11comp_targetILNS1_3genE8ELNS1_11target_archE1030ELNS1_3gpuE2ELNS1_3repE0EEENS1_30default_config_static_selectorELNS0_4arch9wavefront6targetE0EEEvSP_.uses_vcc, 1
	.set _ZN7rocprim17ROCPRIM_400000_NS6detail17trampoline_kernelINS0_14default_configENS1_32segmented_reduce_config_selectorIdEEZNS1_21segmented_reduce_implIS3_PKdPdPKidN6hipcub16HIPCUB_304000_NS6detail27convert_result_type_wrapperIS8_S9_N2at6native12_GLOBAL__N_19CustomMaxEEEEE10hipError_tPvRmT0_T1_jT2_SQ_T4_T3_P12ihipStream_tbEUlT_E_NS1_11comp_targetILNS1_3genE8ELNS1_11target_archE1030ELNS1_3gpuE2ELNS1_3repE0EEENS1_30default_config_static_selectorELNS0_4arch9wavefront6targetE0EEEvSP_.uses_flat_scratch, 0
	.set _ZN7rocprim17ROCPRIM_400000_NS6detail17trampoline_kernelINS0_14default_configENS1_32segmented_reduce_config_selectorIdEEZNS1_21segmented_reduce_implIS3_PKdPdPKidN6hipcub16HIPCUB_304000_NS6detail27convert_result_type_wrapperIS8_S9_N2at6native12_GLOBAL__N_19CustomMaxEEEEE10hipError_tPvRmT0_T1_jT2_SQ_T4_T3_P12ihipStream_tbEUlT_E_NS1_11comp_targetILNS1_3genE8ELNS1_11target_archE1030ELNS1_3gpuE2ELNS1_3repE0EEENS1_30default_config_static_selectorELNS0_4arch9wavefront6targetE0EEEvSP_.has_dyn_sized_stack, 0
	.set _ZN7rocprim17ROCPRIM_400000_NS6detail17trampoline_kernelINS0_14default_configENS1_32segmented_reduce_config_selectorIdEEZNS1_21segmented_reduce_implIS3_PKdPdPKidN6hipcub16HIPCUB_304000_NS6detail27convert_result_type_wrapperIS8_S9_N2at6native12_GLOBAL__N_19CustomMaxEEEEE10hipError_tPvRmT0_T1_jT2_SQ_T4_T3_P12ihipStream_tbEUlT_E_NS1_11comp_targetILNS1_3genE8ELNS1_11target_archE1030ELNS1_3gpuE2ELNS1_3repE0EEENS1_30default_config_static_selectorELNS0_4arch9wavefront6targetE0EEEvSP_.has_recursion, 0
	.set _ZN7rocprim17ROCPRIM_400000_NS6detail17trampoline_kernelINS0_14default_configENS1_32segmented_reduce_config_selectorIdEEZNS1_21segmented_reduce_implIS3_PKdPdPKidN6hipcub16HIPCUB_304000_NS6detail27convert_result_type_wrapperIS8_S9_N2at6native12_GLOBAL__N_19CustomMaxEEEEE10hipError_tPvRmT0_T1_jT2_SQ_T4_T3_P12ihipStream_tbEUlT_E_NS1_11comp_targetILNS1_3genE8ELNS1_11target_archE1030ELNS1_3gpuE2ELNS1_3repE0EEENS1_30default_config_static_selectorELNS0_4arch9wavefront6targetE0EEEvSP_.has_indirect_call, 0
	.section	.AMDGPU.csdata,"",@progbits
; Kernel info:
; codeLenInByte = 7372
; TotalNumSgprs: 20
; NumVgprs: 50
; ScratchSize: 0
; MemoryBound: 1
; FloatMode: 240
; IeeeMode: 1
; LDSByteSize: 64 bytes/workgroup (compile time only)
; SGPRBlocks: 0
; VGPRBlocks: 6
; NumSGPRsForWavesPerEU: 20
; NumVGPRsForWavesPerEU: 50
; Occupancy: 16
; WaveLimiterHint : 1
; COMPUTE_PGM_RSRC2:SCRATCH_EN: 0
; COMPUTE_PGM_RSRC2:USER_SGPR: 6
; COMPUTE_PGM_RSRC2:TRAP_HANDLER: 0
; COMPUTE_PGM_RSRC2:TGID_X_EN: 1
; COMPUTE_PGM_RSRC2:TGID_Y_EN: 0
; COMPUTE_PGM_RSRC2:TGID_Z_EN: 0
; COMPUTE_PGM_RSRC2:TIDIG_COMP_CNT: 0
	.section	.text._ZN7rocprim17ROCPRIM_400000_NS6detail17trampoline_kernelINS0_14default_configENS1_32segmented_reduce_config_selectorIdEEZNS1_21segmented_reduce_implIS3_PKdPdPKidN6hipcub16HIPCUB_304000_NS6detail27convert_result_type_wrapperIS8_S9_N2at6native12_GLOBAL__N_19CustomSumEEEEE10hipError_tPvRmT0_T1_jT2_SQ_T4_T3_P12ihipStream_tbEUlT_E_NS1_11comp_targetILNS1_3genE0ELNS1_11target_archE4294967295ELNS1_3gpuE0ELNS1_3repE0EEENS1_30default_config_static_selectorELNS0_4arch9wavefront6targetE0EEEvSP_,"axG",@progbits,_ZN7rocprim17ROCPRIM_400000_NS6detail17trampoline_kernelINS0_14default_configENS1_32segmented_reduce_config_selectorIdEEZNS1_21segmented_reduce_implIS3_PKdPdPKidN6hipcub16HIPCUB_304000_NS6detail27convert_result_type_wrapperIS8_S9_N2at6native12_GLOBAL__N_19CustomSumEEEEE10hipError_tPvRmT0_T1_jT2_SQ_T4_T3_P12ihipStream_tbEUlT_E_NS1_11comp_targetILNS1_3genE0ELNS1_11target_archE4294967295ELNS1_3gpuE0ELNS1_3repE0EEENS1_30default_config_static_selectorELNS0_4arch9wavefront6targetE0EEEvSP_,comdat
	.globl	_ZN7rocprim17ROCPRIM_400000_NS6detail17trampoline_kernelINS0_14default_configENS1_32segmented_reduce_config_selectorIdEEZNS1_21segmented_reduce_implIS3_PKdPdPKidN6hipcub16HIPCUB_304000_NS6detail27convert_result_type_wrapperIS8_S9_N2at6native12_GLOBAL__N_19CustomSumEEEEE10hipError_tPvRmT0_T1_jT2_SQ_T4_T3_P12ihipStream_tbEUlT_E_NS1_11comp_targetILNS1_3genE0ELNS1_11target_archE4294967295ELNS1_3gpuE0ELNS1_3repE0EEENS1_30default_config_static_selectorELNS0_4arch9wavefront6targetE0EEEvSP_ ; -- Begin function _ZN7rocprim17ROCPRIM_400000_NS6detail17trampoline_kernelINS0_14default_configENS1_32segmented_reduce_config_selectorIdEEZNS1_21segmented_reduce_implIS3_PKdPdPKidN6hipcub16HIPCUB_304000_NS6detail27convert_result_type_wrapperIS8_S9_N2at6native12_GLOBAL__N_19CustomSumEEEEE10hipError_tPvRmT0_T1_jT2_SQ_T4_T3_P12ihipStream_tbEUlT_E_NS1_11comp_targetILNS1_3genE0ELNS1_11target_archE4294967295ELNS1_3gpuE0ELNS1_3repE0EEENS1_30default_config_static_selectorELNS0_4arch9wavefront6targetE0EEEvSP_
	.p2align	8
	.type	_ZN7rocprim17ROCPRIM_400000_NS6detail17trampoline_kernelINS0_14default_configENS1_32segmented_reduce_config_selectorIdEEZNS1_21segmented_reduce_implIS3_PKdPdPKidN6hipcub16HIPCUB_304000_NS6detail27convert_result_type_wrapperIS8_S9_N2at6native12_GLOBAL__N_19CustomSumEEEEE10hipError_tPvRmT0_T1_jT2_SQ_T4_T3_P12ihipStream_tbEUlT_E_NS1_11comp_targetILNS1_3genE0ELNS1_11target_archE4294967295ELNS1_3gpuE0ELNS1_3repE0EEENS1_30default_config_static_selectorELNS0_4arch9wavefront6targetE0EEEvSP_,@function
_ZN7rocprim17ROCPRIM_400000_NS6detail17trampoline_kernelINS0_14default_configENS1_32segmented_reduce_config_selectorIdEEZNS1_21segmented_reduce_implIS3_PKdPdPKidN6hipcub16HIPCUB_304000_NS6detail27convert_result_type_wrapperIS8_S9_N2at6native12_GLOBAL__N_19CustomSumEEEEE10hipError_tPvRmT0_T1_jT2_SQ_T4_T3_P12ihipStream_tbEUlT_E_NS1_11comp_targetILNS1_3genE0ELNS1_11target_archE4294967295ELNS1_3gpuE0ELNS1_3repE0EEENS1_30default_config_static_selectorELNS0_4arch9wavefront6targetE0EEEvSP_: ; @_ZN7rocprim17ROCPRIM_400000_NS6detail17trampoline_kernelINS0_14default_configENS1_32segmented_reduce_config_selectorIdEEZNS1_21segmented_reduce_implIS3_PKdPdPKidN6hipcub16HIPCUB_304000_NS6detail27convert_result_type_wrapperIS8_S9_N2at6native12_GLOBAL__N_19CustomSumEEEEE10hipError_tPvRmT0_T1_jT2_SQ_T4_T3_P12ihipStream_tbEUlT_E_NS1_11comp_targetILNS1_3genE0ELNS1_11target_archE4294967295ELNS1_3gpuE0ELNS1_3repE0EEENS1_30default_config_static_selectorELNS0_4arch9wavefront6targetE0EEEvSP_
; %bb.0:
	.section	.rodata,"a",@progbits
	.p2align	6, 0x0
	.amdhsa_kernel _ZN7rocprim17ROCPRIM_400000_NS6detail17trampoline_kernelINS0_14default_configENS1_32segmented_reduce_config_selectorIdEEZNS1_21segmented_reduce_implIS3_PKdPdPKidN6hipcub16HIPCUB_304000_NS6detail27convert_result_type_wrapperIS8_S9_N2at6native12_GLOBAL__N_19CustomSumEEEEE10hipError_tPvRmT0_T1_jT2_SQ_T4_T3_P12ihipStream_tbEUlT_E_NS1_11comp_targetILNS1_3genE0ELNS1_11target_archE4294967295ELNS1_3gpuE0ELNS1_3repE0EEENS1_30default_config_static_selectorELNS0_4arch9wavefront6targetE0EEEvSP_
		.amdhsa_group_segment_fixed_size 0
		.amdhsa_private_segment_fixed_size 0
		.amdhsa_kernarg_size 56
		.amdhsa_user_sgpr_count 6
		.amdhsa_user_sgpr_private_segment_buffer 1
		.amdhsa_user_sgpr_dispatch_ptr 0
		.amdhsa_user_sgpr_queue_ptr 0
		.amdhsa_user_sgpr_kernarg_segment_ptr 1
		.amdhsa_user_sgpr_dispatch_id 0
		.amdhsa_user_sgpr_flat_scratch_init 0
		.amdhsa_user_sgpr_private_segment_size 0
		.amdhsa_wavefront_size32 1
		.amdhsa_uses_dynamic_stack 0
		.amdhsa_system_sgpr_private_segment_wavefront_offset 0
		.amdhsa_system_sgpr_workgroup_id_x 1
		.amdhsa_system_sgpr_workgroup_id_y 0
		.amdhsa_system_sgpr_workgroup_id_z 0
		.amdhsa_system_sgpr_workgroup_info 0
		.amdhsa_system_vgpr_workitem_id 0
		.amdhsa_next_free_vgpr 1
		.amdhsa_next_free_sgpr 1
		.amdhsa_reserve_vcc 0
		.amdhsa_reserve_flat_scratch 0
		.amdhsa_float_round_mode_32 0
		.amdhsa_float_round_mode_16_64 0
		.amdhsa_float_denorm_mode_32 3
		.amdhsa_float_denorm_mode_16_64 3
		.amdhsa_dx10_clamp 1
		.amdhsa_ieee_mode 1
		.amdhsa_fp16_overflow 0
		.amdhsa_workgroup_processor_mode 1
		.amdhsa_memory_ordered 1
		.amdhsa_forward_progress 1
		.amdhsa_shared_vgpr_count 0
		.amdhsa_exception_fp_ieee_invalid_op 0
		.amdhsa_exception_fp_denorm_src 0
		.amdhsa_exception_fp_ieee_div_zero 0
		.amdhsa_exception_fp_ieee_overflow 0
		.amdhsa_exception_fp_ieee_underflow 0
		.amdhsa_exception_fp_ieee_inexact 0
		.amdhsa_exception_int_div_zero 0
	.end_amdhsa_kernel
	.section	.text._ZN7rocprim17ROCPRIM_400000_NS6detail17trampoline_kernelINS0_14default_configENS1_32segmented_reduce_config_selectorIdEEZNS1_21segmented_reduce_implIS3_PKdPdPKidN6hipcub16HIPCUB_304000_NS6detail27convert_result_type_wrapperIS8_S9_N2at6native12_GLOBAL__N_19CustomSumEEEEE10hipError_tPvRmT0_T1_jT2_SQ_T4_T3_P12ihipStream_tbEUlT_E_NS1_11comp_targetILNS1_3genE0ELNS1_11target_archE4294967295ELNS1_3gpuE0ELNS1_3repE0EEENS1_30default_config_static_selectorELNS0_4arch9wavefront6targetE0EEEvSP_,"axG",@progbits,_ZN7rocprim17ROCPRIM_400000_NS6detail17trampoline_kernelINS0_14default_configENS1_32segmented_reduce_config_selectorIdEEZNS1_21segmented_reduce_implIS3_PKdPdPKidN6hipcub16HIPCUB_304000_NS6detail27convert_result_type_wrapperIS8_S9_N2at6native12_GLOBAL__N_19CustomSumEEEEE10hipError_tPvRmT0_T1_jT2_SQ_T4_T3_P12ihipStream_tbEUlT_E_NS1_11comp_targetILNS1_3genE0ELNS1_11target_archE4294967295ELNS1_3gpuE0ELNS1_3repE0EEENS1_30default_config_static_selectorELNS0_4arch9wavefront6targetE0EEEvSP_,comdat
.Lfunc_end17:
	.size	_ZN7rocprim17ROCPRIM_400000_NS6detail17trampoline_kernelINS0_14default_configENS1_32segmented_reduce_config_selectorIdEEZNS1_21segmented_reduce_implIS3_PKdPdPKidN6hipcub16HIPCUB_304000_NS6detail27convert_result_type_wrapperIS8_S9_N2at6native12_GLOBAL__N_19CustomSumEEEEE10hipError_tPvRmT0_T1_jT2_SQ_T4_T3_P12ihipStream_tbEUlT_E_NS1_11comp_targetILNS1_3genE0ELNS1_11target_archE4294967295ELNS1_3gpuE0ELNS1_3repE0EEENS1_30default_config_static_selectorELNS0_4arch9wavefront6targetE0EEEvSP_, .Lfunc_end17-_ZN7rocprim17ROCPRIM_400000_NS6detail17trampoline_kernelINS0_14default_configENS1_32segmented_reduce_config_selectorIdEEZNS1_21segmented_reduce_implIS3_PKdPdPKidN6hipcub16HIPCUB_304000_NS6detail27convert_result_type_wrapperIS8_S9_N2at6native12_GLOBAL__N_19CustomSumEEEEE10hipError_tPvRmT0_T1_jT2_SQ_T4_T3_P12ihipStream_tbEUlT_E_NS1_11comp_targetILNS1_3genE0ELNS1_11target_archE4294967295ELNS1_3gpuE0ELNS1_3repE0EEENS1_30default_config_static_selectorELNS0_4arch9wavefront6targetE0EEEvSP_
                                        ; -- End function
	.set _ZN7rocprim17ROCPRIM_400000_NS6detail17trampoline_kernelINS0_14default_configENS1_32segmented_reduce_config_selectorIdEEZNS1_21segmented_reduce_implIS3_PKdPdPKidN6hipcub16HIPCUB_304000_NS6detail27convert_result_type_wrapperIS8_S9_N2at6native12_GLOBAL__N_19CustomSumEEEEE10hipError_tPvRmT0_T1_jT2_SQ_T4_T3_P12ihipStream_tbEUlT_E_NS1_11comp_targetILNS1_3genE0ELNS1_11target_archE4294967295ELNS1_3gpuE0ELNS1_3repE0EEENS1_30default_config_static_selectorELNS0_4arch9wavefront6targetE0EEEvSP_.num_vgpr, 0
	.set _ZN7rocprim17ROCPRIM_400000_NS6detail17trampoline_kernelINS0_14default_configENS1_32segmented_reduce_config_selectorIdEEZNS1_21segmented_reduce_implIS3_PKdPdPKidN6hipcub16HIPCUB_304000_NS6detail27convert_result_type_wrapperIS8_S9_N2at6native12_GLOBAL__N_19CustomSumEEEEE10hipError_tPvRmT0_T1_jT2_SQ_T4_T3_P12ihipStream_tbEUlT_E_NS1_11comp_targetILNS1_3genE0ELNS1_11target_archE4294967295ELNS1_3gpuE0ELNS1_3repE0EEENS1_30default_config_static_selectorELNS0_4arch9wavefront6targetE0EEEvSP_.num_agpr, 0
	.set _ZN7rocprim17ROCPRIM_400000_NS6detail17trampoline_kernelINS0_14default_configENS1_32segmented_reduce_config_selectorIdEEZNS1_21segmented_reduce_implIS3_PKdPdPKidN6hipcub16HIPCUB_304000_NS6detail27convert_result_type_wrapperIS8_S9_N2at6native12_GLOBAL__N_19CustomSumEEEEE10hipError_tPvRmT0_T1_jT2_SQ_T4_T3_P12ihipStream_tbEUlT_E_NS1_11comp_targetILNS1_3genE0ELNS1_11target_archE4294967295ELNS1_3gpuE0ELNS1_3repE0EEENS1_30default_config_static_selectorELNS0_4arch9wavefront6targetE0EEEvSP_.numbered_sgpr, 0
	.set _ZN7rocprim17ROCPRIM_400000_NS6detail17trampoline_kernelINS0_14default_configENS1_32segmented_reduce_config_selectorIdEEZNS1_21segmented_reduce_implIS3_PKdPdPKidN6hipcub16HIPCUB_304000_NS6detail27convert_result_type_wrapperIS8_S9_N2at6native12_GLOBAL__N_19CustomSumEEEEE10hipError_tPvRmT0_T1_jT2_SQ_T4_T3_P12ihipStream_tbEUlT_E_NS1_11comp_targetILNS1_3genE0ELNS1_11target_archE4294967295ELNS1_3gpuE0ELNS1_3repE0EEENS1_30default_config_static_selectorELNS0_4arch9wavefront6targetE0EEEvSP_.num_named_barrier, 0
	.set _ZN7rocprim17ROCPRIM_400000_NS6detail17trampoline_kernelINS0_14default_configENS1_32segmented_reduce_config_selectorIdEEZNS1_21segmented_reduce_implIS3_PKdPdPKidN6hipcub16HIPCUB_304000_NS6detail27convert_result_type_wrapperIS8_S9_N2at6native12_GLOBAL__N_19CustomSumEEEEE10hipError_tPvRmT0_T1_jT2_SQ_T4_T3_P12ihipStream_tbEUlT_E_NS1_11comp_targetILNS1_3genE0ELNS1_11target_archE4294967295ELNS1_3gpuE0ELNS1_3repE0EEENS1_30default_config_static_selectorELNS0_4arch9wavefront6targetE0EEEvSP_.private_seg_size, 0
	.set _ZN7rocprim17ROCPRIM_400000_NS6detail17trampoline_kernelINS0_14default_configENS1_32segmented_reduce_config_selectorIdEEZNS1_21segmented_reduce_implIS3_PKdPdPKidN6hipcub16HIPCUB_304000_NS6detail27convert_result_type_wrapperIS8_S9_N2at6native12_GLOBAL__N_19CustomSumEEEEE10hipError_tPvRmT0_T1_jT2_SQ_T4_T3_P12ihipStream_tbEUlT_E_NS1_11comp_targetILNS1_3genE0ELNS1_11target_archE4294967295ELNS1_3gpuE0ELNS1_3repE0EEENS1_30default_config_static_selectorELNS0_4arch9wavefront6targetE0EEEvSP_.uses_vcc, 0
	.set _ZN7rocprim17ROCPRIM_400000_NS6detail17trampoline_kernelINS0_14default_configENS1_32segmented_reduce_config_selectorIdEEZNS1_21segmented_reduce_implIS3_PKdPdPKidN6hipcub16HIPCUB_304000_NS6detail27convert_result_type_wrapperIS8_S9_N2at6native12_GLOBAL__N_19CustomSumEEEEE10hipError_tPvRmT0_T1_jT2_SQ_T4_T3_P12ihipStream_tbEUlT_E_NS1_11comp_targetILNS1_3genE0ELNS1_11target_archE4294967295ELNS1_3gpuE0ELNS1_3repE0EEENS1_30default_config_static_selectorELNS0_4arch9wavefront6targetE0EEEvSP_.uses_flat_scratch, 0
	.set _ZN7rocprim17ROCPRIM_400000_NS6detail17trampoline_kernelINS0_14default_configENS1_32segmented_reduce_config_selectorIdEEZNS1_21segmented_reduce_implIS3_PKdPdPKidN6hipcub16HIPCUB_304000_NS6detail27convert_result_type_wrapperIS8_S9_N2at6native12_GLOBAL__N_19CustomSumEEEEE10hipError_tPvRmT0_T1_jT2_SQ_T4_T3_P12ihipStream_tbEUlT_E_NS1_11comp_targetILNS1_3genE0ELNS1_11target_archE4294967295ELNS1_3gpuE0ELNS1_3repE0EEENS1_30default_config_static_selectorELNS0_4arch9wavefront6targetE0EEEvSP_.has_dyn_sized_stack, 0
	.set _ZN7rocprim17ROCPRIM_400000_NS6detail17trampoline_kernelINS0_14default_configENS1_32segmented_reduce_config_selectorIdEEZNS1_21segmented_reduce_implIS3_PKdPdPKidN6hipcub16HIPCUB_304000_NS6detail27convert_result_type_wrapperIS8_S9_N2at6native12_GLOBAL__N_19CustomSumEEEEE10hipError_tPvRmT0_T1_jT2_SQ_T4_T3_P12ihipStream_tbEUlT_E_NS1_11comp_targetILNS1_3genE0ELNS1_11target_archE4294967295ELNS1_3gpuE0ELNS1_3repE0EEENS1_30default_config_static_selectorELNS0_4arch9wavefront6targetE0EEEvSP_.has_recursion, 0
	.set _ZN7rocprim17ROCPRIM_400000_NS6detail17trampoline_kernelINS0_14default_configENS1_32segmented_reduce_config_selectorIdEEZNS1_21segmented_reduce_implIS3_PKdPdPKidN6hipcub16HIPCUB_304000_NS6detail27convert_result_type_wrapperIS8_S9_N2at6native12_GLOBAL__N_19CustomSumEEEEE10hipError_tPvRmT0_T1_jT2_SQ_T4_T3_P12ihipStream_tbEUlT_E_NS1_11comp_targetILNS1_3genE0ELNS1_11target_archE4294967295ELNS1_3gpuE0ELNS1_3repE0EEENS1_30default_config_static_selectorELNS0_4arch9wavefront6targetE0EEEvSP_.has_indirect_call, 0
	.section	.AMDGPU.csdata,"",@progbits
; Kernel info:
; codeLenInByte = 0
; TotalNumSgprs: 0
; NumVgprs: 0
; ScratchSize: 0
; MemoryBound: 0
; FloatMode: 240
; IeeeMode: 1
; LDSByteSize: 0 bytes/workgroup (compile time only)
; SGPRBlocks: 0
; VGPRBlocks: 0
; NumSGPRsForWavesPerEU: 1
; NumVGPRsForWavesPerEU: 1
; Occupancy: 16
; WaveLimiterHint : 0
; COMPUTE_PGM_RSRC2:SCRATCH_EN: 0
; COMPUTE_PGM_RSRC2:USER_SGPR: 6
; COMPUTE_PGM_RSRC2:TRAP_HANDLER: 0
; COMPUTE_PGM_RSRC2:TGID_X_EN: 1
; COMPUTE_PGM_RSRC2:TGID_Y_EN: 0
; COMPUTE_PGM_RSRC2:TGID_Z_EN: 0
; COMPUTE_PGM_RSRC2:TIDIG_COMP_CNT: 0
	.section	.text._ZN7rocprim17ROCPRIM_400000_NS6detail17trampoline_kernelINS0_14default_configENS1_32segmented_reduce_config_selectorIdEEZNS1_21segmented_reduce_implIS3_PKdPdPKidN6hipcub16HIPCUB_304000_NS6detail27convert_result_type_wrapperIS8_S9_N2at6native12_GLOBAL__N_19CustomSumEEEEE10hipError_tPvRmT0_T1_jT2_SQ_T4_T3_P12ihipStream_tbEUlT_E_NS1_11comp_targetILNS1_3genE5ELNS1_11target_archE942ELNS1_3gpuE9ELNS1_3repE0EEENS1_30default_config_static_selectorELNS0_4arch9wavefront6targetE0EEEvSP_,"axG",@progbits,_ZN7rocprim17ROCPRIM_400000_NS6detail17trampoline_kernelINS0_14default_configENS1_32segmented_reduce_config_selectorIdEEZNS1_21segmented_reduce_implIS3_PKdPdPKidN6hipcub16HIPCUB_304000_NS6detail27convert_result_type_wrapperIS8_S9_N2at6native12_GLOBAL__N_19CustomSumEEEEE10hipError_tPvRmT0_T1_jT2_SQ_T4_T3_P12ihipStream_tbEUlT_E_NS1_11comp_targetILNS1_3genE5ELNS1_11target_archE942ELNS1_3gpuE9ELNS1_3repE0EEENS1_30default_config_static_selectorELNS0_4arch9wavefront6targetE0EEEvSP_,comdat
	.globl	_ZN7rocprim17ROCPRIM_400000_NS6detail17trampoline_kernelINS0_14default_configENS1_32segmented_reduce_config_selectorIdEEZNS1_21segmented_reduce_implIS3_PKdPdPKidN6hipcub16HIPCUB_304000_NS6detail27convert_result_type_wrapperIS8_S9_N2at6native12_GLOBAL__N_19CustomSumEEEEE10hipError_tPvRmT0_T1_jT2_SQ_T4_T3_P12ihipStream_tbEUlT_E_NS1_11comp_targetILNS1_3genE5ELNS1_11target_archE942ELNS1_3gpuE9ELNS1_3repE0EEENS1_30default_config_static_selectorELNS0_4arch9wavefront6targetE0EEEvSP_ ; -- Begin function _ZN7rocprim17ROCPRIM_400000_NS6detail17trampoline_kernelINS0_14default_configENS1_32segmented_reduce_config_selectorIdEEZNS1_21segmented_reduce_implIS3_PKdPdPKidN6hipcub16HIPCUB_304000_NS6detail27convert_result_type_wrapperIS8_S9_N2at6native12_GLOBAL__N_19CustomSumEEEEE10hipError_tPvRmT0_T1_jT2_SQ_T4_T3_P12ihipStream_tbEUlT_E_NS1_11comp_targetILNS1_3genE5ELNS1_11target_archE942ELNS1_3gpuE9ELNS1_3repE0EEENS1_30default_config_static_selectorELNS0_4arch9wavefront6targetE0EEEvSP_
	.p2align	8
	.type	_ZN7rocprim17ROCPRIM_400000_NS6detail17trampoline_kernelINS0_14default_configENS1_32segmented_reduce_config_selectorIdEEZNS1_21segmented_reduce_implIS3_PKdPdPKidN6hipcub16HIPCUB_304000_NS6detail27convert_result_type_wrapperIS8_S9_N2at6native12_GLOBAL__N_19CustomSumEEEEE10hipError_tPvRmT0_T1_jT2_SQ_T4_T3_P12ihipStream_tbEUlT_E_NS1_11comp_targetILNS1_3genE5ELNS1_11target_archE942ELNS1_3gpuE9ELNS1_3repE0EEENS1_30default_config_static_selectorELNS0_4arch9wavefront6targetE0EEEvSP_,@function
_ZN7rocprim17ROCPRIM_400000_NS6detail17trampoline_kernelINS0_14default_configENS1_32segmented_reduce_config_selectorIdEEZNS1_21segmented_reduce_implIS3_PKdPdPKidN6hipcub16HIPCUB_304000_NS6detail27convert_result_type_wrapperIS8_S9_N2at6native12_GLOBAL__N_19CustomSumEEEEE10hipError_tPvRmT0_T1_jT2_SQ_T4_T3_P12ihipStream_tbEUlT_E_NS1_11comp_targetILNS1_3genE5ELNS1_11target_archE942ELNS1_3gpuE9ELNS1_3repE0EEENS1_30default_config_static_selectorELNS0_4arch9wavefront6targetE0EEEvSP_: ; @_ZN7rocprim17ROCPRIM_400000_NS6detail17trampoline_kernelINS0_14default_configENS1_32segmented_reduce_config_selectorIdEEZNS1_21segmented_reduce_implIS3_PKdPdPKidN6hipcub16HIPCUB_304000_NS6detail27convert_result_type_wrapperIS8_S9_N2at6native12_GLOBAL__N_19CustomSumEEEEE10hipError_tPvRmT0_T1_jT2_SQ_T4_T3_P12ihipStream_tbEUlT_E_NS1_11comp_targetILNS1_3genE5ELNS1_11target_archE942ELNS1_3gpuE9ELNS1_3repE0EEENS1_30default_config_static_selectorELNS0_4arch9wavefront6targetE0EEEvSP_
; %bb.0:
	.section	.rodata,"a",@progbits
	.p2align	6, 0x0
	.amdhsa_kernel _ZN7rocprim17ROCPRIM_400000_NS6detail17trampoline_kernelINS0_14default_configENS1_32segmented_reduce_config_selectorIdEEZNS1_21segmented_reduce_implIS3_PKdPdPKidN6hipcub16HIPCUB_304000_NS6detail27convert_result_type_wrapperIS8_S9_N2at6native12_GLOBAL__N_19CustomSumEEEEE10hipError_tPvRmT0_T1_jT2_SQ_T4_T3_P12ihipStream_tbEUlT_E_NS1_11comp_targetILNS1_3genE5ELNS1_11target_archE942ELNS1_3gpuE9ELNS1_3repE0EEENS1_30default_config_static_selectorELNS0_4arch9wavefront6targetE0EEEvSP_
		.amdhsa_group_segment_fixed_size 0
		.amdhsa_private_segment_fixed_size 0
		.amdhsa_kernarg_size 56
		.amdhsa_user_sgpr_count 6
		.amdhsa_user_sgpr_private_segment_buffer 1
		.amdhsa_user_sgpr_dispatch_ptr 0
		.amdhsa_user_sgpr_queue_ptr 0
		.amdhsa_user_sgpr_kernarg_segment_ptr 1
		.amdhsa_user_sgpr_dispatch_id 0
		.amdhsa_user_sgpr_flat_scratch_init 0
		.amdhsa_user_sgpr_private_segment_size 0
		.amdhsa_wavefront_size32 1
		.amdhsa_uses_dynamic_stack 0
		.amdhsa_system_sgpr_private_segment_wavefront_offset 0
		.amdhsa_system_sgpr_workgroup_id_x 1
		.amdhsa_system_sgpr_workgroup_id_y 0
		.amdhsa_system_sgpr_workgroup_id_z 0
		.amdhsa_system_sgpr_workgroup_info 0
		.amdhsa_system_vgpr_workitem_id 0
		.amdhsa_next_free_vgpr 1
		.amdhsa_next_free_sgpr 1
		.amdhsa_reserve_vcc 0
		.amdhsa_reserve_flat_scratch 0
		.amdhsa_float_round_mode_32 0
		.amdhsa_float_round_mode_16_64 0
		.amdhsa_float_denorm_mode_32 3
		.amdhsa_float_denorm_mode_16_64 3
		.amdhsa_dx10_clamp 1
		.amdhsa_ieee_mode 1
		.amdhsa_fp16_overflow 0
		.amdhsa_workgroup_processor_mode 1
		.amdhsa_memory_ordered 1
		.amdhsa_forward_progress 1
		.amdhsa_shared_vgpr_count 0
		.amdhsa_exception_fp_ieee_invalid_op 0
		.amdhsa_exception_fp_denorm_src 0
		.amdhsa_exception_fp_ieee_div_zero 0
		.amdhsa_exception_fp_ieee_overflow 0
		.amdhsa_exception_fp_ieee_underflow 0
		.amdhsa_exception_fp_ieee_inexact 0
		.amdhsa_exception_int_div_zero 0
	.end_amdhsa_kernel
	.section	.text._ZN7rocprim17ROCPRIM_400000_NS6detail17trampoline_kernelINS0_14default_configENS1_32segmented_reduce_config_selectorIdEEZNS1_21segmented_reduce_implIS3_PKdPdPKidN6hipcub16HIPCUB_304000_NS6detail27convert_result_type_wrapperIS8_S9_N2at6native12_GLOBAL__N_19CustomSumEEEEE10hipError_tPvRmT0_T1_jT2_SQ_T4_T3_P12ihipStream_tbEUlT_E_NS1_11comp_targetILNS1_3genE5ELNS1_11target_archE942ELNS1_3gpuE9ELNS1_3repE0EEENS1_30default_config_static_selectorELNS0_4arch9wavefront6targetE0EEEvSP_,"axG",@progbits,_ZN7rocprim17ROCPRIM_400000_NS6detail17trampoline_kernelINS0_14default_configENS1_32segmented_reduce_config_selectorIdEEZNS1_21segmented_reduce_implIS3_PKdPdPKidN6hipcub16HIPCUB_304000_NS6detail27convert_result_type_wrapperIS8_S9_N2at6native12_GLOBAL__N_19CustomSumEEEEE10hipError_tPvRmT0_T1_jT2_SQ_T4_T3_P12ihipStream_tbEUlT_E_NS1_11comp_targetILNS1_3genE5ELNS1_11target_archE942ELNS1_3gpuE9ELNS1_3repE0EEENS1_30default_config_static_selectorELNS0_4arch9wavefront6targetE0EEEvSP_,comdat
.Lfunc_end18:
	.size	_ZN7rocprim17ROCPRIM_400000_NS6detail17trampoline_kernelINS0_14default_configENS1_32segmented_reduce_config_selectorIdEEZNS1_21segmented_reduce_implIS3_PKdPdPKidN6hipcub16HIPCUB_304000_NS6detail27convert_result_type_wrapperIS8_S9_N2at6native12_GLOBAL__N_19CustomSumEEEEE10hipError_tPvRmT0_T1_jT2_SQ_T4_T3_P12ihipStream_tbEUlT_E_NS1_11comp_targetILNS1_3genE5ELNS1_11target_archE942ELNS1_3gpuE9ELNS1_3repE0EEENS1_30default_config_static_selectorELNS0_4arch9wavefront6targetE0EEEvSP_, .Lfunc_end18-_ZN7rocprim17ROCPRIM_400000_NS6detail17trampoline_kernelINS0_14default_configENS1_32segmented_reduce_config_selectorIdEEZNS1_21segmented_reduce_implIS3_PKdPdPKidN6hipcub16HIPCUB_304000_NS6detail27convert_result_type_wrapperIS8_S9_N2at6native12_GLOBAL__N_19CustomSumEEEEE10hipError_tPvRmT0_T1_jT2_SQ_T4_T3_P12ihipStream_tbEUlT_E_NS1_11comp_targetILNS1_3genE5ELNS1_11target_archE942ELNS1_3gpuE9ELNS1_3repE0EEENS1_30default_config_static_selectorELNS0_4arch9wavefront6targetE0EEEvSP_
                                        ; -- End function
	.set _ZN7rocprim17ROCPRIM_400000_NS6detail17trampoline_kernelINS0_14default_configENS1_32segmented_reduce_config_selectorIdEEZNS1_21segmented_reduce_implIS3_PKdPdPKidN6hipcub16HIPCUB_304000_NS6detail27convert_result_type_wrapperIS8_S9_N2at6native12_GLOBAL__N_19CustomSumEEEEE10hipError_tPvRmT0_T1_jT2_SQ_T4_T3_P12ihipStream_tbEUlT_E_NS1_11comp_targetILNS1_3genE5ELNS1_11target_archE942ELNS1_3gpuE9ELNS1_3repE0EEENS1_30default_config_static_selectorELNS0_4arch9wavefront6targetE0EEEvSP_.num_vgpr, 0
	.set _ZN7rocprim17ROCPRIM_400000_NS6detail17trampoline_kernelINS0_14default_configENS1_32segmented_reduce_config_selectorIdEEZNS1_21segmented_reduce_implIS3_PKdPdPKidN6hipcub16HIPCUB_304000_NS6detail27convert_result_type_wrapperIS8_S9_N2at6native12_GLOBAL__N_19CustomSumEEEEE10hipError_tPvRmT0_T1_jT2_SQ_T4_T3_P12ihipStream_tbEUlT_E_NS1_11comp_targetILNS1_3genE5ELNS1_11target_archE942ELNS1_3gpuE9ELNS1_3repE0EEENS1_30default_config_static_selectorELNS0_4arch9wavefront6targetE0EEEvSP_.num_agpr, 0
	.set _ZN7rocprim17ROCPRIM_400000_NS6detail17trampoline_kernelINS0_14default_configENS1_32segmented_reduce_config_selectorIdEEZNS1_21segmented_reduce_implIS3_PKdPdPKidN6hipcub16HIPCUB_304000_NS6detail27convert_result_type_wrapperIS8_S9_N2at6native12_GLOBAL__N_19CustomSumEEEEE10hipError_tPvRmT0_T1_jT2_SQ_T4_T3_P12ihipStream_tbEUlT_E_NS1_11comp_targetILNS1_3genE5ELNS1_11target_archE942ELNS1_3gpuE9ELNS1_3repE0EEENS1_30default_config_static_selectorELNS0_4arch9wavefront6targetE0EEEvSP_.numbered_sgpr, 0
	.set _ZN7rocprim17ROCPRIM_400000_NS6detail17trampoline_kernelINS0_14default_configENS1_32segmented_reduce_config_selectorIdEEZNS1_21segmented_reduce_implIS3_PKdPdPKidN6hipcub16HIPCUB_304000_NS6detail27convert_result_type_wrapperIS8_S9_N2at6native12_GLOBAL__N_19CustomSumEEEEE10hipError_tPvRmT0_T1_jT2_SQ_T4_T3_P12ihipStream_tbEUlT_E_NS1_11comp_targetILNS1_3genE5ELNS1_11target_archE942ELNS1_3gpuE9ELNS1_3repE0EEENS1_30default_config_static_selectorELNS0_4arch9wavefront6targetE0EEEvSP_.num_named_barrier, 0
	.set _ZN7rocprim17ROCPRIM_400000_NS6detail17trampoline_kernelINS0_14default_configENS1_32segmented_reduce_config_selectorIdEEZNS1_21segmented_reduce_implIS3_PKdPdPKidN6hipcub16HIPCUB_304000_NS6detail27convert_result_type_wrapperIS8_S9_N2at6native12_GLOBAL__N_19CustomSumEEEEE10hipError_tPvRmT0_T1_jT2_SQ_T4_T3_P12ihipStream_tbEUlT_E_NS1_11comp_targetILNS1_3genE5ELNS1_11target_archE942ELNS1_3gpuE9ELNS1_3repE0EEENS1_30default_config_static_selectorELNS0_4arch9wavefront6targetE0EEEvSP_.private_seg_size, 0
	.set _ZN7rocprim17ROCPRIM_400000_NS6detail17trampoline_kernelINS0_14default_configENS1_32segmented_reduce_config_selectorIdEEZNS1_21segmented_reduce_implIS3_PKdPdPKidN6hipcub16HIPCUB_304000_NS6detail27convert_result_type_wrapperIS8_S9_N2at6native12_GLOBAL__N_19CustomSumEEEEE10hipError_tPvRmT0_T1_jT2_SQ_T4_T3_P12ihipStream_tbEUlT_E_NS1_11comp_targetILNS1_3genE5ELNS1_11target_archE942ELNS1_3gpuE9ELNS1_3repE0EEENS1_30default_config_static_selectorELNS0_4arch9wavefront6targetE0EEEvSP_.uses_vcc, 0
	.set _ZN7rocprim17ROCPRIM_400000_NS6detail17trampoline_kernelINS0_14default_configENS1_32segmented_reduce_config_selectorIdEEZNS1_21segmented_reduce_implIS3_PKdPdPKidN6hipcub16HIPCUB_304000_NS6detail27convert_result_type_wrapperIS8_S9_N2at6native12_GLOBAL__N_19CustomSumEEEEE10hipError_tPvRmT0_T1_jT2_SQ_T4_T3_P12ihipStream_tbEUlT_E_NS1_11comp_targetILNS1_3genE5ELNS1_11target_archE942ELNS1_3gpuE9ELNS1_3repE0EEENS1_30default_config_static_selectorELNS0_4arch9wavefront6targetE0EEEvSP_.uses_flat_scratch, 0
	.set _ZN7rocprim17ROCPRIM_400000_NS6detail17trampoline_kernelINS0_14default_configENS1_32segmented_reduce_config_selectorIdEEZNS1_21segmented_reduce_implIS3_PKdPdPKidN6hipcub16HIPCUB_304000_NS6detail27convert_result_type_wrapperIS8_S9_N2at6native12_GLOBAL__N_19CustomSumEEEEE10hipError_tPvRmT0_T1_jT2_SQ_T4_T3_P12ihipStream_tbEUlT_E_NS1_11comp_targetILNS1_3genE5ELNS1_11target_archE942ELNS1_3gpuE9ELNS1_3repE0EEENS1_30default_config_static_selectorELNS0_4arch9wavefront6targetE0EEEvSP_.has_dyn_sized_stack, 0
	.set _ZN7rocprim17ROCPRIM_400000_NS6detail17trampoline_kernelINS0_14default_configENS1_32segmented_reduce_config_selectorIdEEZNS1_21segmented_reduce_implIS3_PKdPdPKidN6hipcub16HIPCUB_304000_NS6detail27convert_result_type_wrapperIS8_S9_N2at6native12_GLOBAL__N_19CustomSumEEEEE10hipError_tPvRmT0_T1_jT2_SQ_T4_T3_P12ihipStream_tbEUlT_E_NS1_11comp_targetILNS1_3genE5ELNS1_11target_archE942ELNS1_3gpuE9ELNS1_3repE0EEENS1_30default_config_static_selectorELNS0_4arch9wavefront6targetE0EEEvSP_.has_recursion, 0
	.set _ZN7rocprim17ROCPRIM_400000_NS6detail17trampoline_kernelINS0_14default_configENS1_32segmented_reduce_config_selectorIdEEZNS1_21segmented_reduce_implIS3_PKdPdPKidN6hipcub16HIPCUB_304000_NS6detail27convert_result_type_wrapperIS8_S9_N2at6native12_GLOBAL__N_19CustomSumEEEEE10hipError_tPvRmT0_T1_jT2_SQ_T4_T3_P12ihipStream_tbEUlT_E_NS1_11comp_targetILNS1_3genE5ELNS1_11target_archE942ELNS1_3gpuE9ELNS1_3repE0EEENS1_30default_config_static_selectorELNS0_4arch9wavefront6targetE0EEEvSP_.has_indirect_call, 0
	.section	.AMDGPU.csdata,"",@progbits
; Kernel info:
; codeLenInByte = 0
; TotalNumSgprs: 0
; NumVgprs: 0
; ScratchSize: 0
; MemoryBound: 0
; FloatMode: 240
; IeeeMode: 1
; LDSByteSize: 0 bytes/workgroup (compile time only)
; SGPRBlocks: 0
; VGPRBlocks: 0
; NumSGPRsForWavesPerEU: 1
; NumVGPRsForWavesPerEU: 1
; Occupancy: 16
; WaveLimiterHint : 0
; COMPUTE_PGM_RSRC2:SCRATCH_EN: 0
; COMPUTE_PGM_RSRC2:USER_SGPR: 6
; COMPUTE_PGM_RSRC2:TRAP_HANDLER: 0
; COMPUTE_PGM_RSRC2:TGID_X_EN: 1
; COMPUTE_PGM_RSRC2:TGID_Y_EN: 0
; COMPUTE_PGM_RSRC2:TGID_Z_EN: 0
; COMPUTE_PGM_RSRC2:TIDIG_COMP_CNT: 0
	.section	.text._ZN7rocprim17ROCPRIM_400000_NS6detail17trampoline_kernelINS0_14default_configENS1_32segmented_reduce_config_selectorIdEEZNS1_21segmented_reduce_implIS3_PKdPdPKidN6hipcub16HIPCUB_304000_NS6detail27convert_result_type_wrapperIS8_S9_N2at6native12_GLOBAL__N_19CustomSumEEEEE10hipError_tPvRmT0_T1_jT2_SQ_T4_T3_P12ihipStream_tbEUlT_E_NS1_11comp_targetILNS1_3genE10ELNS1_11target_archE1201ELNS1_3gpuE5ELNS1_3repE0EEENS1_30default_config_static_selectorELNS0_4arch9wavefront6targetE0EEEvSP_,"axG",@progbits,_ZN7rocprim17ROCPRIM_400000_NS6detail17trampoline_kernelINS0_14default_configENS1_32segmented_reduce_config_selectorIdEEZNS1_21segmented_reduce_implIS3_PKdPdPKidN6hipcub16HIPCUB_304000_NS6detail27convert_result_type_wrapperIS8_S9_N2at6native12_GLOBAL__N_19CustomSumEEEEE10hipError_tPvRmT0_T1_jT2_SQ_T4_T3_P12ihipStream_tbEUlT_E_NS1_11comp_targetILNS1_3genE10ELNS1_11target_archE1201ELNS1_3gpuE5ELNS1_3repE0EEENS1_30default_config_static_selectorELNS0_4arch9wavefront6targetE0EEEvSP_,comdat
	.globl	_ZN7rocprim17ROCPRIM_400000_NS6detail17trampoline_kernelINS0_14default_configENS1_32segmented_reduce_config_selectorIdEEZNS1_21segmented_reduce_implIS3_PKdPdPKidN6hipcub16HIPCUB_304000_NS6detail27convert_result_type_wrapperIS8_S9_N2at6native12_GLOBAL__N_19CustomSumEEEEE10hipError_tPvRmT0_T1_jT2_SQ_T4_T3_P12ihipStream_tbEUlT_E_NS1_11comp_targetILNS1_3genE10ELNS1_11target_archE1201ELNS1_3gpuE5ELNS1_3repE0EEENS1_30default_config_static_selectorELNS0_4arch9wavefront6targetE0EEEvSP_ ; -- Begin function _ZN7rocprim17ROCPRIM_400000_NS6detail17trampoline_kernelINS0_14default_configENS1_32segmented_reduce_config_selectorIdEEZNS1_21segmented_reduce_implIS3_PKdPdPKidN6hipcub16HIPCUB_304000_NS6detail27convert_result_type_wrapperIS8_S9_N2at6native12_GLOBAL__N_19CustomSumEEEEE10hipError_tPvRmT0_T1_jT2_SQ_T4_T3_P12ihipStream_tbEUlT_E_NS1_11comp_targetILNS1_3genE10ELNS1_11target_archE1201ELNS1_3gpuE5ELNS1_3repE0EEENS1_30default_config_static_selectorELNS0_4arch9wavefront6targetE0EEEvSP_
	.p2align	8
	.type	_ZN7rocprim17ROCPRIM_400000_NS6detail17trampoline_kernelINS0_14default_configENS1_32segmented_reduce_config_selectorIdEEZNS1_21segmented_reduce_implIS3_PKdPdPKidN6hipcub16HIPCUB_304000_NS6detail27convert_result_type_wrapperIS8_S9_N2at6native12_GLOBAL__N_19CustomSumEEEEE10hipError_tPvRmT0_T1_jT2_SQ_T4_T3_P12ihipStream_tbEUlT_E_NS1_11comp_targetILNS1_3genE10ELNS1_11target_archE1201ELNS1_3gpuE5ELNS1_3repE0EEENS1_30default_config_static_selectorELNS0_4arch9wavefront6targetE0EEEvSP_,@function
_ZN7rocprim17ROCPRIM_400000_NS6detail17trampoline_kernelINS0_14default_configENS1_32segmented_reduce_config_selectorIdEEZNS1_21segmented_reduce_implIS3_PKdPdPKidN6hipcub16HIPCUB_304000_NS6detail27convert_result_type_wrapperIS8_S9_N2at6native12_GLOBAL__N_19CustomSumEEEEE10hipError_tPvRmT0_T1_jT2_SQ_T4_T3_P12ihipStream_tbEUlT_E_NS1_11comp_targetILNS1_3genE10ELNS1_11target_archE1201ELNS1_3gpuE5ELNS1_3repE0EEENS1_30default_config_static_selectorELNS0_4arch9wavefront6targetE0EEEvSP_: ; @_ZN7rocprim17ROCPRIM_400000_NS6detail17trampoline_kernelINS0_14default_configENS1_32segmented_reduce_config_selectorIdEEZNS1_21segmented_reduce_implIS3_PKdPdPKidN6hipcub16HIPCUB_304000_NS6detail27convert_result_type_wrapperIS8_S9_N2at6native12_GLOBAL__N_19CustomSumEEEEE10hipError_tPvRmT0_T1_jT2_SQ_T4_T3_P12ihipStream_tbEUlT_E_NS1_11comp_targetILNS1_3genE10ELNS1_11target_archE1201ELNS1_3gpuE5ELNS1_3repE0EEENS1_30default_config_static_selectorELNS0_4arch9wavefront6targetE0EEEvSP_
; %bb.0:
	.section	.rodata,"a",@progbits
	.p2align	6, 0x0
	.amdhsa_kernel _ZN7rocprim17ROCPRIM_400000_NS6detail17trampoline_kernelINS0_14default_configENS1_32segmented_reduce_config_selectorIdEEZNS1_21segmented_reduce_implIS3_PKdPdPKidN6hipcub16HIPCUB_304000_NS6detail27convert_result_type_wrapperIS8_S9_N2at6native12_GLOBAL__N_19CustomSumEEEEE10hipError_tPvRmT0_T1_jT2_SQ_T4_T3_P12ihipStream_tbEUlT_E_NS1_11comp_targetILNS1_3genE10ELNS1_11target_archE1201ELNS1_3gpuE5ELNS1_3repE0EEENS1_30default_config_static_selectorELNS0_4arch9wavefront6targetE0EEEvSP_
		.amdhsa_group_segment_fixed_size 0
		.amdhsa_private_segment_fixed_size 0
		.amdhsa_kernarg_size 56
		.amdhsa_user_sgpr_count 6
		.amdhsa_user_sgpr_private_segment_buffer 1
		.amdhsa_user_sgpr_dispatch_ptr 0
		.amdhsa_user_sgpr_queue_ptr 0
		.amdhsa_user_sgpr_kernarg_segment_ptr 1
		.amdhsa_user_sgpr_dispatch_id 0
		.amdhsa_user_sgpr_flat_scratch_init 0
		.amdhsa_user_sgpr_private_segment_size 0
		.amdhsa_wavefront_size32 1
		.amdhsa_uses_dynamic_stack 0
		.amdhsa_system_sgpr_private_segment_wavefront_offset 0
		.amdhsa_system_sgpr_workgroup_id_x 1
		.amdhsa_system_sgpr_workgroup_id_y 0
		.amdhsa_system_sgpr_workgroup_id_z 0
		.amdhsa_system_sgpr_workgroup_info 0
		.amdhsa_system_vgpr_workitem_id 0
		.amdhsa_next_free_vgpr 1
		.amdhsa_next_free_sgpr 1
		.amdhsa_reserve_vcc 0
		.amdhsa_reserve_flat_scratch 0
		.amdhsa_float_round_mode_32 0
		.amdhsa_float_round_mode_16_64 0
		.amdhsa_float_denorm_mode_32 3
		.amdhsa_float_denorm_mode_16_64 3
		.amdhsa_dx10_clamp 1
		.amdhsa_ieee_mode 1
		.amdhsa_fp16_overflow 0
		.amdhsa_workgroup_processor_mode 1
		.amdhsa_memory_ordered 1
		.amdhsa_forward_progress 1
		.amdhsa_shared_vgpr_count 0
		.amdhsa_exception_fp_ieee_invalid_op 0
		.amdhsa_exception_fp_denorm_src 0
		.amdhsa_exception_fp_ieee_div_zero 0
		.amdhsa_exception_fp_ieee_overflow 0
		.amdhsa_exception_fp_ieee_underflow 0
		.amdhsa_exception_fp_ieee_inexact 0
		.amdhsa_exception_int_div_zero 0
	.end_amdhsa_kernel
	.section	.text._ZN7rocprim17ROCPRIM_400000_NS6detail17trampoline_kernelINS0_14default_configENS1_32segmented_reduce_config_selectorIdEEZNS1_21segmented_reduce_implIS3_PKdPdPKidN6hipcub16HIPCUB_304000_NS6detail27convert_result_type_wrapperIS8_S9_N2at6native12_GLOBAL__N_19CustomSumEEEEE10hipError_tPvRmT0_T1_jT2_SQ_T4_T3_P12ihipStream_tbEUlT_E_NS1_11comp_targetILNS1_3genE10ELNS1_11target_archE1201ELNS1_3gpuE5ELNS1_3repE0EEENS1_30default_config_static_selectorELNS0_4arch9wavefront6targetE0EEEvSP_,"axG",@progbits,_ZN7rocprim17ROCPRIM_400000_NS6detail17trampoline_kernelINS0_14default_configENS1_32segmented_reduce_config_selectorIdEEZNS1_21segmented_reduce_implIS3_PKdPdPKidN6hipcub16HIPCUB_304000_NS6detail27convert_result_type_wrapperIS8_S9_N2at6native12_GLOBAL__N_19CustomSumEEEEE10hipError_tPvRmT0_T1_jT2_SQ_T4_T3_P12ihipStream_tbEUlT_E_NS1_11comp_targetILNS1_3genE10ELNS1_11target_archE1201ELNS1_3gpuE5ELNS1_3repE0EEENS1_30default_config_static_selectorELNS0_4arch9wavefront6targetE0EEEvSP_,comdat
.Lfunc_end19:
	.size	_ZN7rocprim17ROCPRIM_400000_NS6detail17trampoline_kernelINS0_14default_configENS1_32segmented_reduce_config_selectorIdEEZNS1_21segmented_reduce_implIS3_PKdPdPKidN6hipcub16HIPCUB_304000_NS6detail27convert_result_type_wrapperIS8_S9_N2at6native12_GLOBAL__N_19CustomSumEEEEE10hipError_tPvRmT0_T1_jT2_SQ_T4_T3_P12ihipStream_tbEUlT_E_NS1_11comp_targetILNS1_3genE10ELNS1_11target_archE1201ELNS1_3gpuE5ELNS1_3repE0EEENS1_30default_config_static_selectorELNS0_4arch9wavefront6targetE0EEEvSP_, .Lfunc_end19-_ZN7rocprim17ROCPRIM_400000_NS6detail17trampoline_kernelINS0_14default_configENS1_32segmented_reduce_config_selectorIdEEZNS1_21segmented_reduce_implIS3_PKdPdPKidN6hipcub16HIPCUB_304000_NS6detail27convert_result_type_wrapperIS8_S9_N2at6native12_GLOBAL__N_19CustomSumEEEEE10hipError_tPvRmT0_T1_jT2_SQ_T4_T3_P12ihipStream_tbEUlT_E_NS1_11comp_targetILNS1_3genE10ELNS1_11target_archE1201ELNS1_3gpuE5ELNS1_3repE0EEENS1_30default_config_static_selectorELNS0_4arch9wavefront6targetE0EEEvSP_
                                        ; -- End function
	.set _ZN7rocprim17ROCPRIM_400000_NS6detail17trampoline_kernelINS0_14default_configENS1_32segmented_reduce_config_selectorIdEEZNS1_21segmented_reduce_implIS3_PKdPdPKidN6hipcub16HIPCUB_304000_NS6detail27convert_result_type_wrapperIS8_S9_N2at6native12_GLOBAL__N_19CustomSumEEEEE10hipError_tPvRmT0_T1_jT2_SQ_T4_T3_P12ihipStream_tbEUlT_E_NS1_11comp_targetILNS1_3genE10ELNS1_11target_archE1201ELNS1_3gpuE5ELNS1_3repE0EEENS1_30default_config_static_selectorELNS0_4arch9wavefront6targetE0EEEvSP_.num_vgpr, 0
	.set _ZN7rocprim17ROCPRIM_400000_NS6detail17trampoline_kernelINS0_14default_configENS1_32segmented_reduce_config_selectorIdEEZNS1_21segmented_reduce_implIS3_PKdPdPKidN6hipcub16HIPCUB_304000_NS6detail27convert_result_type_wrapperIS8_S9_N2at6native12_GLOBAL__N_19CustomSumEEEEE10hipError_tPvRmT0_T1_jT2_SQ_T4_T3_P12ihipStream_tbEUlT_E_NS1_11comp_targetILNS1_3genE10ELNS1_11target_archE1201ELNS1_3gpuE5ELNS1_3repE0EEENS1_30default_config_static_selectorELNS0_4arch9wavefront6targetE0EEEvSP_.num_agpr, 0
	.set _ZN7rocprim17ROCPRIM_400000_NS6detail17trampoline_kernelINS0_14default_configENS1_32segmented_reduce_config_selectorIdEEZNS1_21segmented_reduce_implIS3_PKdPdPKidN6hipcub16HIPCUB_304000_NS6detail27convert_result_type_wrapperIS8_S9_N2at6native12_GLOBAL__N_19CustomSumEEEEE10hipError_tPvRmT0_T1_jT2_SQ_T4_T3_P12ihipStream_tbEUlT_E_NS1_11comp_targetILNS1_3genE10ELNS1_11target_archE1201ELNS1_3gpuE5ELNS1_3repE0EEENS1_30default_config_static_selectorELNS0_4arch9wavefront6targetE0EEEvSP_.numbered_sgpr, 0
	.set _ZN7rocprim17ROCPRIM_400000_NS6detail17trampoline_kernelINS0_14default_configENS1_32segmented_reduce_config_selectorIdEEZNS1_21segmented_reduce_implIS3_PKdPdPKidN6hipcub16HIPCUB_304000_NS6detail27convert_result_type_wrapperIS8_S9_N2at6native12_GLOBAL__N_19CustomSumEEEEE10hipError_tPvRmT0_T1_jT2_SQ_T4_T3_P12ihipStream_tbEUlT_E_NS1_11comp_targetILNS1_3genE10ELNS1_11target_archE1201ELNS1_3gpuE5ELNS1_3repE0EEENS1_30default_config_static_selectorELNS0_4arch9wavefront6targetE0EEEvSP_.num_named_barrier, 0
	.set _ZN7rocprim17ROCPRIM_400000_NS6detail17trampoline_kernelINS0_14default_configENS1_32segmented_reduce_config_selectorIdEEZNS1_21segmented_reduce_implIS3_PKdPdPKidN6hipcub16HIPCUB_304000_NS6detail27convert_result_type_wrapperIS8_S9_N2at6native12_GLOBAL__N_19CustomSumEEEEE10hipError_tPvRmT0_T1_jT2_SQ_T4_T3_P12ihipStream_tbEUlT_E_NS1_11comp_targetILNS1_3genE10ELNS1_11target_archE1201ELNS1_3gpuE5ELNS1_3repE0EEENS1_30default_config_static_selectorELNS0_4arch9wavefront6targetE0EEEvSP_.private_seg_size, 0
	.set _ZN7rocprim17ROCPRIM_400000_NS6detail17trampoline_kernelINS0_14default_configENS1_32segmented_reduce_config_selectorIdEEZNS1_21segmented_reduce_implIS3_PKdPdPKidN6hipcub16HIPCUB_304000_NS6detail27convert_result_type_wrapperIS8_S9_N2at6native12_GLOBAL__N_19CustomSumEEEEE10hipError_tPvRmT0_T1_jT2_SQ_T4_T3_P12ihipStream_tbEUlT_E_NS1_11comp_targetILNS1_3genE10ELNS1_11target_archE1201ELNS1_3gpuE5ELNS1_3repE0EEENS1_30default_config_static_selectorELNS0_4arch9wavefront6targetE0EEEvSP_.uses_vcc, 0
	.set _ZN7rocprim17ROCPRIM_400000_NS6detail17trampoline_kernelINS0_14default_configENS1_32segmented_reduce_config_selectorIdEEZNS1_21segmented_reduce_implIS3_PKdPdPKidN6hipcub16HIPCUB_304000_NS6detail27convert_result_type_wrapperIS8_S9_N2at6native12_GLOBAL__N_19CustomSumEEEEE10hipError_tPvRmT0_T1_jT2_SQ_T4_T3_P12ihipStream_tbEUlT_E_NS1_11comp_targetILNS1_3genE10ELNS1_11target_archE1201ELNS1_3gpuE5ELNS1_3repE0EEENS1_30default_config_static_selectorELNS0_4arch9wavefront6targetE0EEEvSP_.uses_flat_scratch, 0
	.set _ZN7rocprim17ROCPRIM_400000_NS6detail17trampoline_kernelINS0_14default_configENS1_32segmented_reduce_config_selectorIdEEZNS1_21segmented_reduce_implIS3_PKdPdPKidN6hipcub16HIPCUB_304000_NS6detail27convert_result_type_wrapperIS8_S9_N2at6native12_GLOBAL__N_19CustomSumEEEEE10hipError_tPvRmT0_T1_jT2_SQ_T4_T3_P12ihipStream_tbEUlT_E_NS1_11comp_targetILNS1_3genE10ELNS1_11target_archE1201ELNS1_3gpuE5ELNS1_3repE0EEENS1_30default_config_static_selectorELNS0_4arch9wavefront6targetE0EEEvSP_.has_dyn_sized_stack, 0
	.set _ZN7rocprim17ROCPRIM_400000_NS6detail17trampoline_kernelINS0_14default_configENS1_32segmented_reduce_config_selectorIdEEZNS1_21segmented_reduce_implIS3_PKdPdPKidN6hipcub16HIPCUB_304000_NS6detail27convert_result_type_wrapperIS8_S9_N2at6native12_GLOBAL__N_19CustomSumEEEEE10hipError_tPvRmT0_T1_jT2_SQ_T4_T3_P12ihipStream_tbEUlT_E_NS1_11comp_targetILNS1_3genE10ELNS1_11target_archE1201ELNS1_3gpuE5ELNS1_3repE0EEENS1_30default_config_static_selectorELNS0_4arch9wavefront6targetE0EEEvSP_.has_recursion, 0
	.set _ZN7rocprim17ROCPRIM_400000_NS6detail17trampoline_kernelINS0_14default_configENS1_32segmented_reduce_config_selectorIdEEZNS1_21segmented_reduce_implIS3_PKdPdPKidN6hipcub16HIPCUB_304000_NS6detail27convert_result_type_wrapperIS8_S9_N2at6native12_GLOBAL__N_19CustomSumEEEEE10hipError_tPvRmT0_T1_jT2_SQ_T4_T3_P12ihipStream_tbEUlT_E_NS1_11comp_targetILNS1_3genE10ELNS1_11target_archE1201ELNS1_3gpuE5ELNS1_3repE0EEENS1_30default_config_static_selectorELNS0_4arch9wavefront6targetE0EEEvSP_.has_indirect_call, 0
	.section	.AMDGPU.csdata,"",@progbits
; Kernel info:
; codeLenInByte = 0
; TotalNumSgprs: 0
; NumVgprs: 0
; ScratchSize: 0
; MemoryBound: 0
; FloatMode: 240
; IeeeMode: 1
; LDSByteSize: 0 bytes/workgroup (compile time only)
; SGPRBlocks: 0
; VGPRBlocks: 0
; NumSGPRsForWavesPerEU: 1
; NumVGPRsForWavesPerEU: 1
; Occupancy: 16
; WaveLimiterHint : 0
; COMPUTE_PGM_RSRC2:SCRATCH_EN: 0
; COMPUTE_PGM_RSRC2:USER_SGPR: 6
; COMPUTE_PGM_RSRC2:TRAP_HANDLER: 0
; COMPUTE_PGM_RSRC2:TGID_X_EN: 1
; COMPUTE_PGM_RSRC2:TGID_Y_EN: 0
; COMPUTE_PGM_RSRC2:TGID_Z_EN: 0
; COMPUTE_PGM_RSRC2:TIDIG_COMP_CNT: 0
	.section	.text._ZN7rocprim17ROCPRIM_400000_NS6detail17trampoline_kernelINS0_14default_configENS1_32segmented_reduce_config_selectorIdEEZNS1_21segmented_reduce_implIS3_PKdPdPKidN6hipcub16HIPCUB_304000_NS6detail27convert_result_type_wrapperIS8_S9_N2at6native12_GLOBAL__N_19CustomSumEEEEE10hipError_tPvRmT0_T1_jT2_SQ_T4_T3_P12ihipStream_tbEUlT_E_NS1_11comp_targetILNS1_3genE4ELNS1_11target_archE910ELNS1_3gpuE8ELNS1_3repE0EEENS1_30default_config_static_selectorELNS0_4arch9wavefront6targetE0EEEvSP_,"axG",@progbits,_ZN7rocprim17ROCPRIM_400000_NS6detail17trampoline_kernelINS0_14default_configENS1_32segmented_reduce_config_selectorIdEEZNS1_21segmented_reduce_implIS3_PKdPdPKidN6hipcub16HIPCUB_304000_NS6detail27convert_result_type_wrapperIS8_S9_N2at6native12_GLOBAL__N_19CustomSumEEEEE10hipError_tPvRmT0_T1_jT2_SQ_T4_T3_P12ihipStream_tbEUlT_E_NS1_11comp_targetILNS1_3genE4ELNS1_11target_archE910ELNS1_3gpuE8ELNS1_3repE0EEENS1_30default_config_static_selectorELNS0_4arch9wavefront6targetE0EEEvSP_,comdat
	.globl	_ZN7rocprim17ROCPRIM_400000_NS6detail17trampoline_kernelINS0_14default_configENS1_32segmented_reduce_config_selectorIdEEZNS1_21segmented_reduce_implIS3_PKdPdPKidN6hipcub16HIPCUB_304000_NS6detail27convert_result_type_wrapperIS8_S9_N2at6native12_GLOBAL__N_19CustomSumEEEEE10hipError_tPvRmT0_T1_jT2_SQ_T4_T3_P12ihipStream_tbEUlT_E_NS1_11comp_targetILNS1_3genE4ELNS1_11target_archE910ELNS1_3gpuE8ELNS1_3repE0EEENS1_30default_config_static_selectorELNS0_4arch9wavefront6targetE0EEEvSP_ ; -- Begin function _ZN7rocprim17ROCPRIM_400000_NS6detail17trampoline_kernelINS0_14default_configENS1_32segmented_reduce_config_selectorIdEEZNS1_21segmented_reduce_implIS3_PKdPdPKidN6hipcub16HIPCUB_304000_NS6detail27convert_result_type_wrapperIS8_S9_N2at6native12_GLOBAL__N_19CustomSumEEEEE10hipError_tPvRmT0_T1_jT2_SQ_T4_T3_P12ihipStream_tbEUlT_E_NS1_11comp_targetILNS1_3genE4ELNS1_11target_archE910ELNS1_3gpuE8ELNS1_3repE0EEENS1_30default_config_static_selectorELNS0_4arch9wavefront6targetE0EEEvSP_
	.p2align	8
	.type	_ZN7rocprim17ROCPRIM_400000_NS6detail17trampoline_kernelINS0_14default_configENS1_32segmented_reduce_config_selectorIdEEZNS1_21segmented_reduce_implIS3_PKdPdPKidN6hipcub16HIPCUB_304000_NS6detail27convert_result_type_wrapperIS8_S9_N2at6native12_GLOBAL__N_19CustomSumEEEEE10hipError_tPvRmT0_T1_jT2_SQ_T4_T3_P12ihipStream_tbEUlT_E_NS1_11comp_targetILNS1_3genE4ELNS1_11target_archE910ELNS1_3gpuE8ELNS1_3repE0EEENS1_30default_config_static_selectorELNS0_4arch9wavefront6targetE0EEEvSP_,@function
_ZN7rocprim17ROCPRIM_400000_NS6detail17trampoline_kernelINS0_14default_configENS1_32segmented_reduce_config_selectorIdEEZNS1_21segmented_reduce_implIS3_PKdPdPKidN6hipcub16HIPCUB_304000_NS6detail27convert_result_type_wrapperIS8_S9_N2at6native12_GLOBAL__N_19CustomSumEEEEE10hipError_tPvRmT0_T1_jT2_SQ_T4_T3_P12ihipStream_tbEUlT_E_NS1_11comp_targetILNS1_3genE4ELNS1_11target_archE910ELNS1_3gpuE8ELNS1_3repE0EEENS1_30default_config_static_selectorELNS0_4arch9wavefront6targetE0EEEvSP_: ; @_ZN7rocprim17ROCPRIM_400000_NS6detail17trampoline_kernelINS0_14default_configENS1_32segmented_reduce_config_selectorIdEEZNS1_21segmented_reduce_implIS3_PKdPdPKidN6hipcub16HIPCUB_304000_NS6detail27convert_result_type_wrapperIS8_S9_N2at6native12_GLOBAL__N_19CustomSumEEEEE10hipError_tPvRmT0_T1_jT2_SQ_T4_T3_P12ihipStream_tbEUlT_E_NS1_11comp_targetILNS1_3genE4ELNS1_11target_archE910ELNS1_3gpuE8ELNS1_3repE0EEENS1_30default_config_static_selectorELNS0_4arch9wavefront6targetE0EEEvSP_
; %bb.0:
	.section	.rodata,"a",@progbits
	.p2align	6, 0x0
	.amdhsa_kernel _ZN7rocprim17ROCPRIM_400000_NS6detail17trampoline_kernelINS0_14default_configENS1_32segmented_reduce_config_selectorIdEEZNS1_21segmented_reduce_implIS3_PKdPdPKidN6hipcub16HIPCUB_304000_NS6detail27convert_result_type_wrapperIS8_S9_N2at6native12_GLOBAL__N_19CustomSumEEEEE10hipError_tPvRmT0_T1_jT2_SQ_T4_T3_P12ihipStream_tbEUlT_E_NS1_11comp_targetILNS1_3genE4ELNS1_11target_archE910ELNS1_3gpuE8ELNS1_3repE0EEENS1_30default_config_static_selectorELNS0_4arch9wavefront6targetE0EEEvSP_
		.amdhsa_group_segment_fixed_size 0
		.amdhsa_private_segment_fixed_size 0
		.amdhsa_kernarg_size 56
		.amdhsa_user_sgpr_count 6
		.amdhsa_user_sgpr_private_segment_buffer 1
		.amdhsa_user_sgpr_dispatch_ptr 0
		.amdhsa_user_sgpr_queue_ptr 0
		.amdhsa_user_sgpr_kernarg_segment_ptr 1
		.amdhsa_user_sgpr_dispatch_id 0
		.amdhsa_user_sgpr_flat_scratch_init 0
		.amdhsa_user_sgpr_private_segment_size 0
		.amdhsa_wavefront_size32 1
		.amdhsa_uses_dynamic_stack 0
		.amdhsa_system_sgpr_private_segment_wavefront_offset 0
		.amdhsa_system_sgpr_workgroup_id_x 1
		.amdhsa_system_sgpr_workgroup_id_y 0
		.amdhsa_system_sgpr_workgroup_id_z 0
		.amdhsa_system_sgpr_workgroup_info 0
		.amdhsa_system_vgpr_workitem_id 0
		.amdhsa_next_free_vgpr 1
		.amdhsa_next_free_sgpr 1
		.amdhsa_reserve_vcc 0
		.amdhsa_reserve_flat_scratch 0
		.amdhsa_float_round_mode_32 0
		.amdhsa_float_round_mode_16_64 0
		.amdhsa_float_denorm_mode_32 3
		.amdhsa_float_denorm_mode_16_64 3
		.amdhsa_dx10_clamp 1
		.amdhsa_ieee_mode 1
		.amdhsa_fp16_overflow 0
		.amdhsa_workgroup_processor_mode 1
		.amdhsa_memory_ordered 1
		.amdhsa_forward_progress 1
		.amdhsa_shared_vgpr_count 0
		.amdhsa_exception_fp_ieee_invalid_op 0
		.amdhsa_exception_fp_denorm_src 0
		.amdhsa_exception_fp_ieee_div_zero 0
		.amdhsa_exception_fp_ieee_overflow 0
		.amdhsa_exception_fp_ieee_underflow 0
		.amdhsa_exception_fp_ieee_inexact 0
		.amdhsa_exception_int_div_zero 0
	.end_amdhsa_kernel
	.section	.text._ZN7rocprim17ROCPRIM_400000_NS6detail17trampoline_kernelINS0_14default_configENS1_32segmented_reduce_config_selectorIdEEZNS1_21segmented_reduce_implIS3_PKdPdPKidN6hipcub16HIPCUB_304000_NS6detail27convert_result_type_wrapperIS8_S9_N2at6native12_GLOBAL__N_19CustomSumEEEEE10hipError_tPvRmT0_T1_jT2_SQ_T4_T3_P12ihipStream_tbEUlT_E_NS1_11comp_targetILNS1_3genE4ELNS1_11target_archE910ELNS1_3gpuE8ELNS1_3repE0EEENS1_30default_config_static_selectorELNS0_4arch9wavefront6targetE0EEEvSP_,"axG",@progbits,_ZN7rocprim17ROCPRIM_400000_NS6detail17trampoline_kernelINS0_14default_configENS1_32segmented_reduce_config_selectorIdEEZNS1_21segmented_reduce_implIS3_PKdPdPKidN6hipcub16HIPCUB_304000_NS6detail27convert_result_type_wrapperIS8_S9_N2at6native12_GLOBAL__N_19CustomSumEEEEE10hipError_tPvRmT0_T1_jT2_SQ_T4_T3_P12ihipStream_tbEUlT_E_NS1_11comp_targetILNS1_3genE4ELNS1_11target_archE910ELNS1_3gpuE8ELNS1_3repE0EEENS1_30default_config_static_selectorELNS0_4arch9wavefront6targetE0EEEvSP_,comdat
.Lfunc_end20:
	.size	_ZN7rocprim17ROCPRIM_400000_NS6detail17trampoline_kernelINS0_14default_configENS1_32segmented_reduce_config_selectorIdEEZNS1_21segmented_reduce_implIS3_PKdPdPKidN6hipcub16HIPCUB_304000_NS6detail27convert_result_type_wrapperIS8_S9_N2at6native12_GLOBAL__N_19CustomSumEEEEE10hipError_tPvRmT0_T1_jT2_SQ_T4_T3_P12ihipStream_tbEUlT_E_NS1_11comp_targetILNS1_3genE4ELNS1_11target_archE910ELNS1_3gpuE8ELNS1_3repE0EEENS1_30default_config_static_selectorELNS0_4arch9wavefront6targetE0EEEvSP_, .Lfunc_end20-_ZN7rocprim17ROCPRIM_400000_NS6detail17trampoline_kernelINS0_14default_configENS1_32segmented_reduce_config_selectorIdEEZNS1_21segmented_reduce_implIS3_PKdPdPKidN6hipcub16HIPCUB_304000_NS6detail27convert_result_type_wrapperIS8_S9_N2at6native12_GLOBAL__N_19CustomSumEEEEE10hipError_tPvRmT0_T1_jT2_SQ_T4_T3_P12ihipStream_tbEUlT_E_NS1_11comp_targetILNS1_3genE4ELNS1_11target_archE910ELNS1_3gpuE8ELNS1_3repE0EEENS1_30default_config_static_selectorELNS0_4arch9wavefront6targetE0EEEvSP_
                                        ; -- End function
	.set _ZN7rocprim17ROCPRIM_400000_NS6detail17trampoline_kernelINS0_14default_configENS1_32segmented_reduce_config_selectorIdEEZNS1_21segmented_reduce_implIS3_PKdPdPKidN6hipcub16HIPCUB_304000_NS6detail27convert_result_type_wrapperIS8_S9_N2at6native12_GLOBAL__N_19CustomSumEEEEE10hipError_tPvRmT0_T1_jT2_SQ_T4_T3_P12ihipStream_tbEUlT_E_NS1_11comp_targetILNS1_3genE4ELNS1_11target_archE910ELNS1_3gpuE8ELNS1_3repE0EEENS1_30default_config_static_selectorELNS0_4arch9wavefront6targetE0EEEvSP_.num_vgpr, 0
	.set _ZN7rocprim17ROCPRIM_400000_NS6detail17trampoline_kernelINS0_14default_configENS1_32segmented_reduce_config_selectorIdEEZNS1_21segmented_reduce_implIS3_PKdPdPKidN6hipcub16HIPCUB_304000_NS6detail27convert_result_type_wrapperIS8_S9_N2at6native12_GLOBAL__N_19CustomSumEEEEE10hipError_tPvRmT0_T1_jT2_SQ_T4_T3_P12ihipStream_tbEUlT_E_NS1_11comp_targetILNS1_3genE4ELNS1_11target_archE910ELNS1_3gpuE8ELNS1_3repE0EEENS1_30default_config_static_selectorELNS0_4arch9wavefront6targetE0EEEvSP_.num_agpr, 0
	.set _ZN7rocprim17ROCPRIM_400000_NS6detail17trampoline_kernelINS0_14default_configENS1_32segmented_reduce_config_selectorIdEEZNS1_21segmented_reduce_implIS3_PKdPdPKidN6hipcub16HIPCUB_304000_NS6detail27convert_result_type_wrapperIS8_S9_N2at6native12_GLOBAL__N_19CustomSumEEEEE10hipError_tPvRmT0_T1_jT2_SQ_T4_T3_P12ihipStream_tbEUlT_E_NS1_11comp_targetILNS1_3genE4ELNS1_11target_archE910ELNS1_3gpuE8ELNS1_3repE0EEENS1_30default_config_static_selectorELNS0_4arch9wavefront6targetE0EEEvSP_.numbered_sgpr, 0
	.set _ZN7rocprim17ROCPRIM_400000_NS6detail17trampoline_kernelINS0_14default_configENS1_32segmented_reduce_config_selectorIdEEZNS1_21segmented_reduce_implIS3_PKdPdPKidN6hipcub16HIPCUB_304000_NS6detail27convert_result_type_wrapperIS8_S9_N2at6native12_GLOBAL__N_19CustomSumEEEEE10hipError_tPvRmT0_T1_jT2_SQ_T4_T3_P12ihipStream_tbEUlT_E_NS1_11comp_targetILNS1_3genE4ELNS1_11target_archE910ELNS1_3gpuE8ELNS1_3repE0EEENS1_30default_config_static_selectorELNS0_4arch9wavefront6targetE0EEEvSP_.num_named_barrier, 0
	.set _ZN7rocprim17ROCPRIM_400000_NS6detail17trampoline_kernelINS0_14default_configENS1_32segmented_reduce_config_selectorIdEEZNS1_21segmented_reduce_implIS3_PKdPdPKidN6hipcub16HIPCUB_304000_NS6detail27convert_result_type_wrapperIS8_S9_N2at6native12_GLOBAL__N_19CustomSumEEEEE10hipError_tPvRmT0_T1_jT2_SQ_T4_T3_P12ihipStream_tbEUlT_E_NS1_11comp_targetILNS1_3genE4ELNS1_11target_archE910ELNS1_3gpuE8ELNS1_3repE0EEENS1_30default_config_static_selectorELNS0_4arch9wavefront6targetE0EEEvSP_.private_seg_size, 0
	.set _ZN7rocprim17ROCPRIM_400000_NS6detail17trampoline_kernelINS0_14default_configENS1_32segmented_reduce_config_selectorIdEEZNS1_21segmented_reduce_implIS3_PKdPdPKidN6hipcub16HIPCUB_304000_NS6detail27convert_result_type_wrapperIS8_S9_N2at6native12_GLOBAL__N_19CustomSumEEEEE10hipError_tPvRmT0_T1_jT2_SQ_T4_T3_P12ihipStream_tbEUlT_E_NS1_11comp_targetILNS1_3genE4ELNS1_11target_archE910ELNS1_3gpuE8ELNS1_3repE0EEENS1_30default_config_static_selectorELNS0_4arch9wavefront6targetE0EEEvSP_.uses_vcc, 0
	.set _ZN7rocprim17ROCPRIM_400000_NS6detail17trampoline_kernelINS0_14default_configENS1_32segmented_reduce_config_selectorIdEEZNS1_21segmented_reduce_implIS3_PKdPdPKidN6hipcub16HIPCUB_304000_NS6detail27convert_result_type_wrapperIS8_S9_N2at6native12_GLOBAL__N_19CustomSumEEEEE10hipError_tPvRmT0_T1_jT2_SQ_T4_T3_P12ihipStream_tbEUlT_E_NS1_11comp_targetILNS1_3genE4ELNS1_11target_archE910ELNS1_3gpuE8ELNS1_3repE0EEENS1_30default_config_static_selectorELNS0_4arch9wavefront6targetE0EEEvSP_.uses_flat_scratch, 0
	.set _ZN7rocprim17ROCPRIM_400000_NS6detail17trampoline_kernelINS0_14default_configENS1_32segmented_reduce_config_selectorIdEEZNS1_21segmented_reduce_implIS3_PKdPdPKidN6hipcub16HIPCUB_304000_NS6detail27convert_result_type_wrapperIS8_S9_N2at6native12_GLOBAL__N_19CustomSumEEEEE10hipError_tPvRmT0_T1_jT2_SQ_T4_T3_P12ihipStream_tbEUlT_E_NS1_11comp_targetILNS1_3genE4ELNS1_11target_archE910ELNS1_3gpuE8ELNS1_3repE0EEENS1_30default_config_static_selectorELNS0_4arch9wavefront6targetE0EEEvSP_.has_dyn_sized_stack, 0
	.set _ZN7rocprim17ROCPRIM_400000_NS6detail17trampoline_kernelINS0_14default_configENS1_32segmented_reduce_config_selectorIdEEZNS1_21segmented_reduce_implIS3_PKdPdPKidN6hipcub16HIPCUB_304000_NS6detail27convert_result_type_wrapperIS8_S9_N2at6native12_GLOBAL__N_19CustomSumEEEEE10hipError_tPvRmT0_T1_jT2_SQ_T4_T3_P12ihipStream_tbEUlT_E_NS1_11comp_targetILNS1_3genE4ELNS1_11target_archE910ELNS1_3gpuE8ELNS1_3repE0EEENS1_30default_config_static_selectorELNS0_4arch9wavefront6targetE0EEEvSP_.has_recursion, 0
	.set _ZN7rocprim17ROCPRIM_400000_NS6detail17trampoline_kernelINS0_14default_configENS1_32segmented_reduce_config_selectorIdEEZNS1_21segmented_reduce_implIS3_PKdPdPKidN6hipcub16HIPCUB_304000_NS6detail27convert_result_type_wrapperIS8_S9_N2at6native12_GLOBAL__N_19CustomSumEEEEE10hipError_tPvRmT0_T1_jT2_SQ_T4_T3_P12ihipStream_tbEUlT_E_NS1_11comp_targetILNS1_3genE4ELNS1_11target_archE910ELNS1_3gpuE8ELNS1_3repE0EEENS1_30default_config_static_selectorELNS0_4arch9wavefront6targetE0EEEvSP_.has_indirect_call, 0
	.section	.AMDGPU.csdata,"",@progbits
; Kernel info:
; codeLenInByte = 0
; TotalNumSgprs: 0
; NumVgprs: 0
; ScratchSize: 0
; MemoryBound: 0
; FloatMode: 240
; IeeeMode: 1
; LDSByteSize: 0 bytes/workgroup (compile time only)
; SGPRBlocks: 0
; VGPRBlocks: 0
; NumSGPRsForWavesPerEU: 1
; NumVGPRsForWavesPerEU: 1
; Occupancy: 16
; WaveLimiterHint : 0
; COMPUTE_PGM_RSRC2:SCRATCH_EN: 0
; COMPUTE_PGM_RSRC2:USER_SGPR: 6
; COMPUTE_PGM_RSRC2:TRAP_HANDLER: 0
; COMPUTE_PGM_RSRC2:TGID_X_EN: 1
; COMPUTE_PGM_RSRC2:TGID_Y_EN: 0
; COMPUTE_PGM_RSRC2:TGID_Z_EN: 0
; COMPUTE_PGM_RSRC2:TIDIG_COMP_CNT: 0
	.section	.text._ZN7rocprim17ROCPRIM_400000_NS6detail17trampoline_kernelINS0_14default_configENS1_32segmented_reduce_config_selectorIdEEZNS1_21segmented_reduce_implIS3_PKdPdPKidN6hipcub16HIPCUB_304000_NS6detail27convert_result_type_wrapperIS8_S9_N2at6native12_GLOBAL__N_19CustomSumEEEEE10hipError_tPvRmT0_T1_jT2_SQ_T4_T3_P12ihipStream_tbEUlT_E_NS1_11comp_targetILNS1_3genE3ELNS1_11target_archE908ELNS1_3gpuE7ELNS1_3repE0EEENS1_30default_config_static_selectorELNS0_4arch9wavefront6targetE0EEEvSP_,"axG",@progbits,_ZN7rocprim17ROCPRIM_400000_NS6detail17trampoline_kernelINS0_14default_configENS1_32segmented_reduce_config_selectorIdEEZNS1_21segmented_reduce_implIS3_PKdPdPKidN6hipcub16HIPCUB_304000_NS6detail27convert_result_type_wrapperIS8_S9_N2at6native12_GLOBAL__N_19CustomSumEEEEE10hipError_tPvRmT0_T1_jT2_SQ_T4_T3_P12ihipStream_tbEUlT_E_NS1_11comp_targetILNS1_3genE3ELNS1_11target_archE908ELNS1_3gpuE7ELNS1_3repE0EEENS1_30default_config_static_selectorELNS0_4arch9wavefront6targetE0EEEvSP_,comdat
	.globl	_ZN7rocprim17ROCPRIM_400000_NS6detail17trampoline_kernelINS0_14default_configENS1_32segmented_reduce_config_selectorIdEEZNS1_21segmented_reduce_implIS3_PKdPdPKidN6hipcub16HIPCUB_304000_NS6detail27convert_result_type_wrapperIS8_S9_N2at6native12_GLOBAL__N_19CustomSumEEEEE10hipError_tPvRmT0_T1_jT2_SQ_T4_T3_P12ihipStream_tbEUlT_E_NS1_11comp_targetILNS1_3genE3ELNS1_11target_archE908ELNS1_3gpuE7ELNS1_3repE0EEENS1_30default_config_static_selectorELNS0_4arch9wavefront6targetE0EEEvSP_ ; -- Begin function _ZN7rocprim17ROCPRIM_400000_NS6detail17trampoline_kernelINS0_14default_configENS1_32segmented_reduce_config_selectorIdEEZNS1_21segmented_reduce_implIS3_PKdPdPKidN6hipcub16HIPCUB_304000_NS6detail27convert_result_type_wrapperIS8_S9_N2at6native12_GLOBAL__N_19CustomSumEEEEE10hipError_tPvRmT0_T1_jT2_SQ_T4_T3_P12ihipStream_tbEUlT_E_NS1_11comp_targetILNS1_3genE3ELNS1_11target_archE908ELNS1_3gpuE7ELNS1_3repE0EEENS1_30default_config_static_selectorELNS0_4arch9wavefront6targetE0EEEvSP_
	.p2align	8
	.type	_ZN7rocprim17ROCPRIM_400000_NS6detail17trampoline_kernelINS0_14default_configENS1_32segmented_reduce_config_selectorIdEEZNS1_21segmented_reduce_implIS3_PKdPdPKidN6hipcub16HIPCUB_304000_NS6detail27convert_result_type_wrapperIS8_S9_N2at6native12_GLOBAL__N_19CustomSumEEEEE10hipError_tPvRmT0_T1_jT2_SQ_T4_T3_P12ihipStream_tbEUlT_E_NS1_11comp_targetILNS1_3genE3ELNS1_11target_archE908ELNS1_3gpuE7ELNS1_3repE0EEENS1_30default_config_static_selectorELNS0_4arch9wavefront6targetE0EEEvSP_,@function
_ZN7rocprim17ROCPRIM_400000_NS6detail17trampoline_kernelINS0_14default_configENS1_32segmented_reduce_config_selectorIdEEZNS1_21segmented_reduce_implIS3_PKdPdPKidN6hipcub16HIPCUB_304000_NS6detail27convert_result_type_wrapperIS8_S9_N2at6native12_GLOBAL__N_19CustomSumEEEEE10hipError_tPvRmT0_T1_jT2_SQ_T4_T3_P12ihipStream_tbEUlT_E_NS1_11comp_targetILNS1_3genE3ELNS1_11target_archE908ELNS1_3gpuE7ELNS1_3repE0EEENS1_30default_config_static_selectorELNS0_4arch9wavefront6targetE0EEEvSP_: ; @_ZN7rocprim17ROCPRIM_400000_NS6detail17trampoline_kernelINS0_14default_configENS1_32segmented_reduce_config_selectorIdEEZNS1_21segmented_reduce_implIS3_PKdPdPKidN6hipcub16HIPCUB_304000_NS6detail27convert_result_type_wrapperIS8_S9_N2at6native12_GLOBAL__N_19CustomSumEEEEE10hipError_tPvRmT0_T1_jT2_SQ_T4_T3_P12ihipStream_tbEUlT_E_NS1_11comp_targetILNS1_3genE3ELNS1_11target_archE908ELNS1_3gpuE7ELNS1_3repE0EEENS1_30default_config_static_selectorELNS0_4arch9wavefront6targetE0EEEvSP_
; %bb.0:
	.section	.rodata,"a",@progbits
	.p2align	6, 0x0
	.amdhsa_kernel _ZN7rocprim17ROCPRIM_400000_NS6detail17trampoline_kernelINS0_14default_configENS1_32segmented_reduce_config_selectorIdEEZNS1_21segmented_reduce_implIS3_PKdPdPKidN6hipcub16HIPCUB_304000_NS6detail27convert_result_type_wrapperIS8_S9_N2at6native12_GLOBAL__N_19CustomSumEEEEE10hipError_tPvRmT0_T1_jT2_SQ_T4_T3_P12ihipStream_tbEUlT_E_NS1_11comp_targetILNS1_3genE3ELNS1_11target_archE908ELNS1_3gpuE7ELNS1_3repE0EEENS1_30default_config_static_selectorELNS0_4arch9wavefront6targetE0EEEvSP_
		.amdhsa_group_segment_fixed_size 0
		.amdhsa_private_segment_fixed_size 0
		.amdhsa_kernarg_size 56
		.amdhsa_user_sgpr_count 6
		.amdhsa_user_sgpr_private_segment_buffer 1
		.amdhsa_user_sgpr_dispatch_ptr 0
		.amdhsa_user_sgpr_queue_ptr 0
		.amdhsa_user_sgpr_kernarg_segment_ptr 1
		.amdhsa_user_sgpr_dispatch_id 0
		.amdhsa_user_sgpr_flat_scratch_init 0
		.amdhsa_user_sgpr_private_segment_size 0
		.amdhsa_wavefront_size32 1
		.amdhsa_uses_dynamic_stack 0
		.amdhsa_system_sgpr_private_segment_wavefront_offset 0
		.amdhsa_system_sgpr_workgroup_id_x 1
		.amdhsa_system_sgpr_workgroup_id_y 0
		.amdhsa_system_sgpr_workgroup_id_z 0
		.amdhsa_system_sgpr_workgroup_info 0
		.amdhsa_system_vgpr_workitem_id 0
		.amdhsa_next_free_vgpr 1
		.amdhsa_next_free_sgpr 1
		.amdhsa_reserve_vcc 0
		.amdhsa_reserve_flat_scratch 0
		.amdhsa_float_round_mode_32 0
		.amdhsa_float_round_mode_16_64 0
		.amdhsa_float_denorm_mode_32 3
		.amdhsa_float_denorm_mode_16_64 3
		.amdhsa_dx10_clamp 1
		.amdhsa_ieee_mode 1
		.amdhsa_fp16_overflow 0
		.amdhsa_workgroup_processor_mode 1
		.amdhsa_memory_ordered 1
		.amdhsa_forward_progress 1
		.amdhsa_shared_vgpr_count 0
		.amdhsa_exception_fp_ieee_invalid_op 0
		.amdhsa_exception_fp_denorm_src 0
		.amdhsa_exception_fp_ieee_div_zero 0
		.amdhsa_exception_fp_ieee_overflow 0
		.amdhsa_exception_fp_ieee_underflow 0
		.amdhsa_exception_fp_ieee_inexact 0
		.amdhsa_exception_int_div_zero 0
	.end_amdhsa_kernel
	.section	.text._ZN7rocprim17ROCPRIM_400000_NS6detail17trampoline_kernelINS0_14default_configENS1_32segmented_reduce_config_selectorIdEEZNS1_21segmented_reduce_implIS3_PKdPdPKidN6hipcub16HIPCUB_304000_NS6detail27convert_result_type_wrapperIS8_S9_N2at6native12_GLOBAL__N_19CustomSumEEEEE10hipError_tPvRmT0_T1_jT2_SQ_T4_T3_P12ihipStream_tbEUlT_E_NS1_11comp_targetILNS1_3genE3ELNS1_11target_archE908ELNS1_3gpuE7ELNS1_3repE0EEENS1_30default_config_static_selectorELNS0_4arch9wavefront6targetE0EEEvSP_,"axG",@progbits,_ZN7rocprim17ROCPRIM_400000_NS6detail17trampoline_kernelINS0_14default_configENS1_32segmented_reduce_config_selectorIdEEZNS1_21segmented_reduce_implIS3_PKdPdPKidN6hipcub16HIPCUB_304000_NS6detail27convert_result_type_wrapperIS8_S9_N2at6native12_GLOBAL__N_19CustomSumEEEEE10hipError_tPvRmT0_T1_jT2_SQ_T4_T3_P12ihipStream_tbEUlT_E_NS1_11comp_targetILNS1_3genE3ELNS1_11target_archE908ELNS1_3gpuE7ELNS1_3repE0EEENS1_30default_config_static_selectorELNS0_4arch9wavefront6targetE0EEEvSP_,comdat
.Lfunc_end21:
	.size	_ZN7rocprim17ROCPRIM_400000_NS6detail17trampoline_kernelINS0_14default_configENS1_32segmented_reduce_config_selectorIdEEZNS1_21segmented_reduce_implIS3_PKdPdPKidN6hipcub16HIPCUB_304000_NS6detail27convert_result_type_wrapperIS8_S9_N2at6native12_GLOBAL__N_19CustomSumEEEEE10hipError_tPvRmT0_T1_jT2_SQ_T4_T3_P12ihipStream_tbEUlT_E_NS1_11comp_targetILNS1_3genE3ELNS1_11target_archE908ELNS1_3gpuE7ELNS1_3repE0EEENS1_30default_config_static_selectorELNS0_4arch9wavefront6targetE0EEEvSP_, .Lfunc_end21-_ZN7rocprim17ROCPRIM_400000_NS6detail17trampoline_kernelINS0_14default_configENS1_32segmented_reduce_config_selectorIdEEZNS1_21segmented_reduce_implIS3_PKdPdPKidN6hipcub16HIPCUB_304000_NS6detail27convert_result_type_wrapperIS8_S9_N2at6native12_GLOBAL__N_19CustomSumEEEEE10hipError_tPvRmT0_T1_jT2_SQ_T4_T3_P12ihipStream_tbEUlT_E_NS1_11comp_targetILNS1_3genE3ELNS1_11target_archE908ELNS1_3gpuE7ELNS1_3repE0EEENS1_30default_config_static_selectorELNS0_4arch9wavefront6targetE0EEEvSP_
                                        ; -- End function
	.set _ZN7rocprim17ROCPRIM_400000_NS6detail17trampoline_kernelINS0_14default_configENS1_32segmented_reduce_config_selectorIdEEZNS1_21segmented_reduce_implIS3_PKdPdPKidN6hipcub16HIPCUB_304000_NS6detail27convert_result_type_wrapperIS8_S9_N2at6native12_GLOBAL__N_19CustomSumEEEEE10hipError_tPvRmT0_T1_jT2_SQ_T4_T3_P12ihipStream_tbEUlT_E_NS1_11comp_targetILNS1_3genE3ELNS1_11target_archE908ELNS1_3gpuE7ELNS1_3repE0EEENS1_30default_config_static_selectorELNS0_4arch9wavefront6targetE0EEEvSP_.num_vgpr, 0
	.set _ZN7rocprim17ROCPRIM_400000_NS6detail17trampoline_kernelINS0_14default_configENS1_32segmented_reduce_config_selectorIdEEZNS1_21segmented_reduce_implIS3_PKdPdPKidN6hipcub16HIPCUB_304000_NS6detail27convert_result_type_wrapperIS8_S9_N2at6native12_GLOBAL__N_19CustomSumEEEEE10hipError_tPvRmT0_T1_jT2_SQ_T4_T3_P12ihipStream_tbEUlT_E_NS1_11comp_targetILNS1_3genE3ELNS1_11target_archE908ELNS1_3gpuE7ELNS1_3repE0EEENS1_30default_config_static_selectorELNS0_4arch9wavefront6targetE0EEEvSP_.num_agpr, 0
	.set _ZN7rocprim17ROCPRIM_400000_NS6detail17trampoline_kernelINS0_14default_configENS1_32segmented_reduce_config_selectorIdEEZNS1_21segmented_reduce_implIS3_PKdPdPKidN6hipcub16HIPCUB_304000_NS6detail27convert_result_type_wrapperIS8_S9_N2at6native12_GLOBAL__N_19CustomSumEEEEE10hipError_tPvRmT0_T1_jT2_SQ_T4_T3_P12ihipStream_tbEUlT_E_NS1_11comp_targetILNS1_3genE3ELNS1_11target_archE908ELNS1_3gpuE7ELNS1_3repE0EEENS1_30default_config_static_selectorELNS0_4arch9wavefront6targetE0EEEvSP_.numbered_sgpr, 0
	.set _ZN7rocprim17ROCPRIM_400000_NS6detail17trampoline_kernelINS0_14default_configENS1_32segmented_reduce_config_selectorIdEEZNS1_21segmented_reduce_implIS3_PKdPdPKidN6hipcub16HIPCUB_304000_NS6detail27convert_result_type_wrapperIS8_S9_N2at6native12_GLOBAL__N_19CustomSumEEEEE10hipError_tPvRmT0_T1_jT2_SQ_T4_T3_P12ihipStream_tbEUlT_E_NS1_11comp_targetILNS1_3genE3ELNS1_11target_archE908ELNS1_3gpuE7ELNS1_3repE0EEENS1_30default_config_static_selectorELNS0_4arch9wavefront6targetE0EEEvSP_.num_named_barrier, 0
	.set _ZN7rocprim17ROCPRIM_400000_NS6detail17trampoline_kernelINS0_14default_configENS1_32segmented_reduce_config_selectorIdEEZNS1_21segmented_reduce_implIS3_PKdPdPKidN6hipcub16HIPCUB_304000_NS6detail27convert_result_type_wrapperIS8_S9_N2at6native12_GLOBAL__N_19CustomSumEEEEE10hipError_tPvRmT0_T1_jT2_SQ_T4_T3_P12ihipStream_tbEUlT_E_NS1_11comp_targetILNS1_3genE3ELNS1_11target_archE908ELNS1_3gpuE7ELNS1_3repE0EEENS1_30default_config_static_selectorELNS0_4arch9wavefront6targetE0EEEvSP_.private_seg_size, 0
	.set _ZN7rocprim17ROCPRIM_400000_NS6detail17trampoline_kernelINS0_14default_configENS1_32segmented_reduce_config_selectorIdEEZNS1_21segmented_reduce_implIS3_PKdPdPKidN6hipcub16HIPCUB_304000_NS6detail27convert_result_type_wrapperIS8_S9_N2at6native12_GLOBAL__N_19CustomSumEEEEE10hipError_tPvRmT0_T1_jT2_SQ_T4_T3_P12ihipStream_tbEUlT_E_NS1_11comp_targetILNS1_3genE3ELNS1_11target_archE908ELNS1_3gpuE7ELNS1_3repE0EEENS1_30default_config_static_selectorELNS0_4arch9wavefront6targetE0EEEvSP_.uses_vcc, 0
	.set _ZN7rocprim17ROCPRIM_400000_NS6detail17trampoline_kernelINS0_14default_configENS1_32segmented_reduce_config_selectorIdEEZNS1_21segmented_reduce_implIS3_PKdPdPKidN6hipcub16HIPCUB_304000_NS6detail27convert_result_type_wrapperIS8_S9_N2at6native12_GLOBAL__N_19CustomSumEEEEE10hipError_tPvRmT0_T1_jT2_SQ_T4_T3_P12ihipStream_tbEUlT_E_NS1_11comp_targetILNS1_3genE3ELNS1_11target_archE908ELNS1_3gpuE7ELNS1_3repE0EEENS1_30default_config_static_selectorELNS0_4arch9wavefront6targetE0EEEvSP_.uses_flat_scratch, 0
	.set _ZN7rocprim17ROCPRIM_400000_NS6detail17trampoline_kernelINS0_14default_configENS1_32segmented_reduce_config_selectorIdEEZNS1_21segmented_reduce_implIS3_PKdPdPKidN6hipcub16HIPCUB_304000_NS6detail27convert_result_type_wrapperIS8_S9_N2at6native12_GLOBAL__N_19CustomSumEEEEE10hipError_tPvRmT0_T1_jT2_SQ_T4_T3_P12ihipStream_tbEUlT_E_NS1_11comp_targetILNS1_3genE3ELNS1_11target_archE908ELNS1_3gpuE7ELNS1_3repE0EEENS1_30default_config_static_selectorELNS0_4arch9wavefront6targetE0EEEvSP_.has_dyn_sized_stack, 0
	.set _ZN7rocprim17ROCPRIM_400000_NS6detail17trampoline_kernelINS0_14default_configENS1_32segmented_reduce_config_selectorIdEEZNS1_21segmented_reduce_implIS3_PKdPdPKidN6hipcub16HIPCUB_304000_NS6detail27convert_result_type_wrapperIS8_S9_N2at6native12_GLOBAL__N_19CustomSumEEEEE10hipError_tPvRmT0_T1_jT2_SQ_T4_T3_P12ihipStream_tbEUlT_E_NS1_11comp_targetILNS1_3genE3ELNS1_11target_archE908ELNS1_3gpuE7ELNS1_3repE0EEENS1_30default_config_static_selectorELNS0_4arch9wavefront6targetE0EEEvSP_.has_recursion, 0
	.set _ZN7rocprim17ROCPRIM_400000_NS6detail17trampoline_kernelINS0_14default_configENS1_32segmented_reduce_config_selectorIdEEZNS1_21segmented_reduce_implIS3_PKdPdPKidN6hipcub16HIPCUB_304000_NS6detail27convert_result_type_wrapperIS8_S9_N2at6native12_GLOBAL__N_19CustomSumEEEEE10hipError_tPvRmT0_T1_jT2_SQ_T4_T3_P12ihipStream_tbEUlT_E_NS1_11comp_targetILNS1_3genE3ELNS1_11target_archE908ELNS1_3gpuE7ELNS1_3repE0EEENS1_30default_config_static_selectorELNS0_4arch9wavefront6targetE0EEEvSP_.has_indirect_call, 0
	.section	.AMDGPU.csdata,"",@progbits
; Kernel info:
; codeLenInByte = 0
; TotalNumSgprs: 0
; NumVgprs: 0
; ScratchSize: 0
; MemoryBound: 0
; FloatMode: 240
; IeeeMode: 1
; LDSByteSize: 0 bytes/workgroup (compile time only)
; SGPRBlocks: 0
; VGPRBlocks: 0
; NumSGPRsForWavesPerEU: 1
; NumVGPRsForWavesPerEU: 1
; Occupancy: 16
; WaveLimiterHint : 0
; COMPUTE_PGM_RSRC2:SCRATCH_EN: 0
; COMPUTE_PGM_RSRC2:USER_SGPR: 6
; COMPUTE_PGM_RSRC2:TRAP_HANDLER: 0
; COMPUTE_PGM_RSRC2:TGID_X_EN: 1
; COMPUTE_PGM_RSRC2:TGID_Y_EN: 0
; COMPUTE_PGM_RSRC2:TGID_Z_EN: 0
; COMPUTE_PGM_RSRC2:TIDIG_COMP_CNT: 0
	.section	.text._ZN7rocprim17ROCPRIM_400000_NS6detail17trampoline_kernelINS0_14default_configENS1_32segmented_reduce_config_selectorIdEEZNS1_21segmented_reduce_implIS3_PKdPdPKidN6hipcub16HIPCUB_304000_NS6detail27convert_result_type_wrapperIS8_S9_N2at6native12_GLOBAL__N_19CustomSumEEEEE10hipError_tPvRmT0_T1_jT2_SQ_T4_T3_P12ihipStream_tbEUlT_E_NS1_11comp_targetILNS1_3genE2ELNS1_11target_archE906ELNS1_3gpuE6ELNS1_3repE0EEENS1_30default_config_static_selectorELNS0_4arch9wavefront6targetE0EEEvSP_,"axG",@progbits,_ZN7rocprim17ROCPRIM_400000_NS6detail17trampoline_kernelINS0_14default_configENS1_32segmented_reduce_config_selectorIdEEZNS1_21segmented_reduce_implIS3_PKdPdPKidN6hipcub16HIPCUB_304000_NS6detail27convert_result_type_wrapperIS8_S9_N2at6native12_GLOBAL__N_19CustomSumEEEEE10hipError_tPvRmT0_T1_jT2_SQ_T4_T3_P12ihipStream_tbEUlT_E_NS1_11comp_targetILNS1_3genE2ELNS1_11target_archE906ELNS1_3gpuE6ELNS1_3repE0EEENS1_30default_config_static_selectorELNS0_4arch9wavefront6targetE0EEEvSP_,comdat
	.globl	_ZN7rocprim17ROCPRIM_400000_NS6detail17trampoline_kernelINS0_14default_configENS1_32segmented_reduce_config_selectorIdEEZNS1_21segmented_reduce_implIS3_PKdPdPKidN6hipcub16HIPCUB_304000_NS6detail27convert_result_type_wrapperIS8_S9_N2at6native12_GLOBAL__N_19CustomSumEEEEE10hipError_tPvRmT0_T1_jT2_SQ_T4_T3_P12ihipStream_tbEUlT_E_NS1_11comp_targetILNS1_3genE2ELNS1_11target_archE906ELNS1_3gpuE6ELNS1_3repE0EEENS1_30default_config_static_selectorELNS0_4arch9wavefront6targetE0EEEvSP_ ; -- Begin function _ZN7rocprim17ROCPRIM_400000_NS6detail17trampoline_kernelINS0_14default_configENS1_32segmented_reduce_config_selectorIdEEZNS1_21segmented_reduce_implIS3_PKdPdPKidN6hipcub16HIPCUB_304000_NS6detail27convert_result_type_wrapperIS8_S9_N2at6native12_GLOBAL__N_19CustomSumEEEEE10hipError_tPvRmT0_T1_jT2_SQ_T4_T3_P12ihipStream_tbEUlT_E_NS1_11comp_targetILNS1_3genE2ELNS1_11target_archE906ELNS1_3gpuE6ELNS1_3repE0EEENS1_30default_config_static_selectorELNS0_4arch9wavefront6targetE0EEEvSP_
	.p2align	8
	.type	_ZN7rocprim17ROCPRIM_400000_NS6detail17trampoline_kernelINS0_14default_configENS1_32segmented_reduce_config_selectorIdEEZNS1_21segmented_reduce_implIS3_PKdPdPKidN6hipcub16HIPCUB_304000_NS6detail27convert_result_type_wrapperIS8_S9_N2at6native12_GLOBAL__N_19CustomSumEEEEE10hipError_tPvRmT0_T1_jT2_SQ_T4_T3_P12ihipStream_tbEUlT_E_NS1_11comp_targetILNS1_3genE2ELNS1_11target_archE906ELNS1_3gpuE6ELNS1_3repE0EEENS1_30default_config_static_selectorELNS0_4arch9wavefront6targetE0EEEvSP_,@function
_ZN7rocprim17ROCPRIM_400000_NS6detail17trampoline_kernelINS0_14default_configENS1_32segmented_reduce_config_selectorIdEEZNS1_21segmented_reduce_implIS3_PKdPdPKidN6hipcub16HIPCUB_304000_NS6detail27convert_result_type_wrapperIS8_S9_N2at6native12_GLOBAL__N_19CustomSumEEEEE10hipError_tPvRmT0_T1_jT2_SQ_T4_T3_P12ihipStream_tbEUlT_E_NS1_11comp_targetILNS1_3genE2ELNS1_11target_archE906ELNS1_3gpuE6ELNS1_3repE0EEENS1_30default_config_static_selectorELNS0_4arch9wavefront6targetE0EEEvSP_: ; @_ZN7rocprim17ROCPRIM_400000_NS6detail17trampoline_kernelINS0_14default_configENS1_32segmented_reduce_config_selectorIdEEZNS1_21segmented_reduce_implIS3_PKdPdPKidN6hipcub16HIPCUB_304000_NS6detail27convert_result_type_wrapperIS8_S9_N2at6native12_GLOBAL__N_19CustomSumEEEEE10hipError_tPvRmT0_T1_jT2_SQ_T4_T3_P12ihipStream_tbEUlT_E_NS1_11comp_targetILNS1_3genE2ELNS1_11target_archE906ELNS1_3gpuE6ELNS1_3repE0EEENS1_30default_config_static_selectorELNS0_4arch9wavefront6targetE0EEEvSP_
; %bb.0:
	.section	.rodata,"a",@progbits
	.p2align	6, 0x0
	.amdhsa_kernel _ZN7rocprim17ROCPRIM_400000_NS6detail17trampoline_kernelINS0_14default_configENS1_32segmented_reduce_config_selectorIdEEZNS1_21segmented_reduce_implIS3_PKdPdPKidN6hipcub16HIPCUB_304000_NS6detail27convert_result_type_wrapperIS8_S9_N2at6native12_GLOBAL__N_19CustomSumEEEEE10hipError_tPvRmT0_T1_jT2_SQ_T4_T3_P12ihipStream_tbEUlT_E_NS1_11comp_targetILNS1_3genE2ELNS1_11target_archE906ELNS1_3gpuE6ELNS1_3repE0EEENS1_30default_config_static_selectorELNS0_4arch9wavefront6targetE0EEEvSP_
		.amdhsa_group_segment_fixed_size 0
		.amdhsa_private_segment_fixed_size 0
		.amdhsa_kernarg_size 56
		.amdhsa_user_sgpr_count 6
		.amdhsa_user_sgpr_private_segment_buffer 1
		.amdhsa_user_sgpr_dispatch_ptr 0
		.amdhsa_user_sgpr_queue_ptr 0
		.amdhsa_user_sgpr_kernarg_segment_ptr 1
		.amdhsa_user_sgpr_dispatch_id 0
		.amdhsa_user_sgpr_flat_scratch_init 0
		.amdhsa_user_sgpr_private_segment_size 0
		.amdhsa_wavefront_size32 1
		.amdhsa_uses_dynamic_stack 0
		.amdhsa_system_sgpr_private_segment_wavefront_offset 0
		.amdhsa_system_sgpr_workgroup_id_x 1
		.amdhsa_system_sgpr_workgroup_id_y 0
		.amdhsa_system_sgpr_workgroup_id_z 0
		.amdhsa_system_sgpr_workgroup_info 0
		.amdhsa_system_vgpr_workitem_id 0
		.amdhsa_next_free_vgpr 1
		.amdhsa_next_free_sgpr 1
		.amdhsa_reserve_vcc 0
		.amdhsa_reserve_flat_scratch 0
		.amdhsa_float_round_mode_32 0
		.amdhsa_float_round_mode_16_64 0
		.amdhsa_float_denorm_mode_32 3
		.amdhsa_float_denorm_mode_16_64 3
		.amdhsa_dx10_clamp 1
		.amdhsa_ieee_mode 1
		.amdhsa_fp16_overflow 0
		.amdhsa_workgroup_processor_mode 1
		.amdhsa_memory_ordered 1
		.amdhsa_forward_progress 1
		.amdhsa_shared_vgpr_count 0
		.amdhsa_exception_fp_ieee_invalid_op 0
		.amdhsa_exception_fp_denorm_src 0
		.amdhsa_exception_fp_ieee_div_zero 0
		.amdhsa_exception_fp_ieee_overflow 0
		.amdhsa_exception_fp_ieee_underflow 0
		.amdhsa_exception_fp_ieee_inexact 0
		.amdhsa_exception_int_div_zero 0
	.end_amdhsa_kernel
	.section	.text._ZN7rocprim17ROCPRIM_400000_NS6detail17trampoline_kernelINS0_14default_configENS1_32segmented_reduce_config_selectorIdEEZNS1_21segmented_reduce_implIS3_PKdPdPKidN6hipcub16HIPCUB_304000_NS6detail27convert_result_type_wrapperIS8_S9_N2at6native12_GLOBAL__N_19CustomSumEEEEE10hipError_tPvRmT0_T1_jT2_SQ_T4_T3_P12ihipStream_tbEUlT_E_NS1_11comp_targetILNS1_3genE2ELNS1_11target_archE906ELNS1_3gpuE6ELNS1_3repE0EEENS1_30default_config_static_selectorELNS0_4arch9wavefront6targetE0EEEvSP_,"axG",@progbits,_ZN7rocprim17ROCPRIM_400000_NS6detail17trampoline_kernelINS0_14default_configENS1_32segmented_reduce_config_selectorIdEEZNS1_21segmented_reduce_implIS3_PKdPdPKidN6hipcub16HIPCUB_304000_NS6detail27convert_result_type_wrapperIS8_S9_N2at6native12_GLOBAL__N_19CustomSumEEEEE10hipError_tPvRmT0_T1_jT2_SQ_T4_T3_P12ihipStream_tbEUlT_E_NS1_11comp_targetILNS1_3genE2ELNS1_11target_archE906ELNS1_3gpuE6ELNS1_3repE0EEENS1_30default_config_static_selectorELNS0_4arch9wavefront6targetE0EEEvSP_,comdat
.Lfunc_end22:
	.size	_ZN7rocprim17ROCPRIM_400000_NS6detail17trampoline_kernelINS0_14default_configENS1_32segmented_reduce_config_selectorIdEEZNS1_21segmented_reduce_implIS3_PKdPdPKidN6hipcub16HIPCUB_304000_NS6detail27convert_result_type_wrapperIS8_S9_N2at6native12_GLOBAL__N_19CustomSumEEEEE10hipError_tPvRmT0_T1_jT2_SQ_T4_T3_P12ihipStream_tbEUlT_E_NS1_11comp_targetILNS1_3genE2ELNS1_11target_archE906ELNS1_3gpuE6ELNS1_3repE0EEENS1_30default_config_static_selectorELNS0_4arch9wavefront6targetE0EEEvSP_, .Lfunc_end22-_ZN7rocprim17ROCPRIM_400000_NS6detail17trampoline_kernelINS0_14default_configENS1_32segmented_reduce_config_selectorIdEEZNS1_21segmented_reduce_implIS3_PKdPdPKidN6hipcub16HIPCUB_304000_NS6detail27convert_result_type_wrapperIS8_S9_N2at6native12_GLOBAL__N_19CustomSumEEEEE10hipError_tPvRmT0_T1_jT2_SQ_T4_T3_P12ihipStream_tbEUlT_E_NS1_11comp_targetILNS1_3genE2ELNS1_11target_archE906ELNS1_3gpuE6ELNS1_3repE0EEENS1_30default_config_static_selectorELNS0_4arch9wavefront6targetE0EEEvSP_
                                        ; -- End function
	.set _ZN7rocprim17ROCPRIM_400000_NS6detail17trampoline_kernelINS0_14default_configENS1_32segmented_reduce_config_selectorIdEEZNS1_21segmented_reduce_implIS3_PKdPdPKidN6hipcub16HIPCUB_304000_NS6detail27convert_result_type_wrapperIS8_S9_N2at6native12_GLOBAL__N_19CustomSumEEEEE10hipError_tPvRmT0_T1_jT2_SQ_T4_T3_P12ihipStream_tbEUlT_E_NS1_11comp_targetILNS1_3genE2ELNS1_11target_archE906ELNS1_3gpuE6ELNS1_3repE0EEENS1_30default_config_static_selectorELNS0_4arch9wavefront6targetE0EEEvSP_.num_vgpr, 0
	.set _ZN7rocprim17ROCPRIM_400000_NS6detail17trampoline_kernelINS0_14default_configENS1_32segmented_reduce_config_selectorIdEEZNS1_21segmented_reduce_implIS3_PKdPdPKidN6hipcub16HIPCUB_304000_NS6detail27convert_result_type_wrapperIS8_S9_N2at6native12_GLOBAL__N_19CustomSumEEEEE10hipError_tPvRmT0_T1_jT2_SQ_T4_T3_P12ihipStream_tbEUlT_E_NS1_11comp_targetILNS1_3genE2ELNS1_11target_archE906ELNS1_3gpuE6ELNS1_3repE0EEENS1_30default_config_static_selectorELNS0_4arch9wavefront6targetE0EEEvSP_.num_agpr, 0
	.set _ZN7rocprim17ROCPRIM_400000_NS6detail17trampoline_kernelINS0_14default_configENS1_32segmented_reduce_config_selectorIdEEZNS1_21segmented_reduce_implIS3_PKdPdPKidN6hipcub16HIPCUB_304000_NS6detail27convert_result_type_wrapperIS8_S9_N2at6native12_GLOBAL__N_19CustomSumEEEEE10hipError_tPvRmT0_T1_jT2_SQ_T4_T3_P12ihipStream_tbEUlT_E_NS1_11comp_targetILNS1_3genE2ELNS1_11target_archE906ELNS1_3gpuE6ELNS1_3repE0EEENS1_30default_config_static_selectorELNS0_4arch9wavefront6targetE0EEEvSP_.numbered_sgpr, 0
	.set _ZN7rocprim17ROCPRIM_400000_NS6detail17trampoline_kernelINS0_14default_configENS1_32segmented_reduce_config_selectorIdEEZNS1_21segmented_reduce_implIS3_PKdPdPKidN6hipcub16HIPCUB_304000_NS6detail27convert_result_type_wrapperIS8_S9_N2at6native12_GLOBAL__N_19CustomSumEEEEE10hipError_tPvRmT0_T1_jT2_SQ_T4_T3_P12ihipStream_tbEUlT_E_NS1_11comp_targetILNS1_3genE2ELNS1_11target_archE906ELNS1_3gpuE6ELNS1_3repE0EEENS1_30default_config_static_selectorELNS0_4arch9wavefront6targetE0EEEvSP_.num_named_barrier, 0
	.set _ZN7rocprim17ROCPRIM_400000_NS6detail17trampoline_kernelINS0_14default_configENS1_32segmented_reduce_config_selectorIdEEZNS1_21segmented_reduce_implIS3_PKdPdPKidN6hipcub16HIPCUB_304000_NS6detail27convert_result_type_wrapperIS8_S9_N2at6native12_GLOBAL__N_19CustomSumEEEEE10hipError_tPvRmT0_T1_jT2_SQ_T4_T3_P12ihipStream_tbEUlT_E_NS1_11comp_targetILNS1_3genE2ELNS1_11target_archE906ELNS1_3gpuE6ELNS1_3repE0EEENS1_30default_config_static_selectorELNS0_4arch9wavefront6targetE0EEEvSP_.private_seg_size, 0
	.set _ZN7rocprim17ROCPRIM_400000_NS6detail17trampoline_kernelINS0_14default_configENS1_32segmented_reduce_config_selectorIdEEZNS1_21segmented_reduce_implIS3_PKdPdPKidN6hipcub16HIPCUB_304000_NS6detail27convert_result_type_wrapperIS8_S9_N2at6native12_GLOBAL__N_19CustomSumEEEEE10hipError_tPvRmT0_T1_jT2_SQ_T4_T3_P12ihipStream_tbEUlT_E_NS1_11comp_targetILNS1_3genE2ELNS1_11target_archE906ELNS1_3gpuE6ELNS1_3repE0EEENS1_30default_config_static_selectorELNS0_4arch9wavefront6targetE0EEEvSP_.uses_vcc, 0
	.set _ZN7rocprim17ROCPRIM_400000_NS6detail17trampoline_kernelINS0_14default_configENS1_32segmented_reduce_config_selectorIdEEZNS1_21segmented_reduce_implIS3_PKdPdPKidN6hipcub16HIPCUB_304000_NS6detail27convert_result_type_wrapperIS8_S9_N2at6native12_GLOBAL__N_19CustomSumEEEEE10hipError_tPvRmT0_T1_jT2_SQ_T4_T3_P12ihipStream_tbEUlT_E_NS1_11comp_targetILNS1_3genE2ELNS1_11target_archE906ELNS1_3gpuE6ELNS1_3repE0EEENS1_30default_config_static_selectorELNS0_4arch9wavefront6targetE0EEEvSP_.uses_flat_scratch, 0
	.set _ZN7rocprim17ROCPRIM_400000_NS6detail17trampoline_kernelINS0_14default_configENS1_32segmented_reduce_config_selectorIdEEZNS1_21segmented_reduce_implIS3_PKdPdPKidN6hipcub16HIPCUB_304000_NS6detail27convert_result_type_wrapperIS8_S9_N2at6native12_GLOBAL__N_19CustomSumEEEEE10hipError_tPvRmT0_T1_jT2_SQ_T4_T3_P12ihipStream_tbEUlT_E_NS1_11comp_targetILNS1_3genE2ELNS1_11target_archE906ELNS1_3gpuE6ELNS1_3repE0EEENS1_30default_config_static_selectorELNS0_4arch9wavefront6targetE0EEEvSP_.has_dyn_sized_stack, 0
	.set _ZN7rocprim17ROCPRIM_400000_NS6detail17trampoline_kernelINS0_14default_configENS1_32segmented_reduce_config_selectorIdEEZNS1_21segmented_reduce_implIS3_PKdPdPKidN6hipcub16HIPCUB_304000_NS6detail27convert_result_type_wrapperIS8_S9_N2at6native12_GLOBAL__N_19CustomSumEEEEE10hipError_tPvRmT0_T1_jT2_SQ_T4_T3_P12ihipStream_tbEUlT_E_NS1_11comp_targetILNS1_3genE2ELNS1_11target_archE906ELNS1_3gpuE6ELNS1_3repE0EEENS1_30default_config_static_selectorELNS0_4arch9wavefront6targetE0EEEvSP_.has_recursion, 0
	.set _ZN7rocprim17ROCPRIM_400000_NS6detail17trampoline_kernelINS0_14default_configENS1_32segmented_reduce_config_selectorIdEEZNS1_21segmented_reduce_implIS3_PKdPdPKidN6hipcub16HIPCUB_304000_NS6detail27convert_result_type_wrapperIS8_S9_N2at6native12_GLOBAL__N_19CustomSumEEEEE10hipError_tPvRmT0_T1_jT2_SQ_T4_T3_P12ihipStream_tbEUlT_E_NS1_11comp_targetILNS1_3genE2ELNS1_11target_archE906ELNS1_3gpuE6ELNS1_3repE0EEENS1_30default_config_static_selectorELNS0_4arch9wavefront6targetE0EEEvSP_.has_indirect_call, 0
	.section	.AMDGPU.csdata,"",@progbits
; Kernel info:
; codeLenInByte = 0
; TotalNumSgprs: 0
; NumVgprs: 0
; ScratchSize: 0
; MemoryBound: 0
; FloatMode: 240
; IeeeMode: 1
; LDSByteSize: 0 bytes/workgroup (compile time only)
; SGPRBlocks: 0
; VGPRBlocks: 0
; NumSGPRsForWavesPerEU: 1
; NumVGPRsForWavesPerEU: 1
; Occupancy: 16
; WaveLimiterHint : 0
; COMPUTE_PGM_RSRC2:SCRATCH_EN: 0
; COMPUTE_PGM_RSRC2:USER_SGPR: 6
; COMPUTE_PGM_RSRC2:TRAP_HANDLER: 0
; COMPUTE_PGM_RSRC2:TGID_X_EN: 1
; COMPUTE_PGM_RSRC2:TGID_Y_EN: 0
; COMPUTE_PGM_RSRC2:TGID_Z_EN: 0
; COMPUTE_PGM_RSRC2:TIDIG_COMP_CNT: 0
	.section	.text._ZN7rocprim17ROCPRIM_400000_NS6detail17trampoline_kernelINS0_14default_configENS1_32segmented_reduce_config_selectorIdEEZNS1_21segmented_reduce_implIS3_PKdPdPKidN6hipcub16HIPCUB_304000_NS6detail27convert_result_type_wrapperIS8_S9_N2at6native12_GLOBAL__N_19CustomSumEEEEE10hipError_tPvRmT0_T1_jT2_SQ_T4_T3_P12ihipStream_tbEUlT_E_NS1_11comp_targetILNS1_3genE9ELNS1_11target_archE1100ELNS1_3gpuE3ELNS1_3repE0EEENS1_30default_config_static_selectorELNS0_4arch9wavefront6targetE0EEEvSP_,"axG",@progbits,_ZN7rocprim17ROCPRIM_400000_NS6detail17trampoline_kernelINS0_14default_configENS1_32segmented_reduce_config_selectorIdEEZNS1_21segmented_reduce_implIS3_PKdPdPKidN6hipcub16HIPCUB_304000_NS6detail27convert_result_type_wrapperIS8_S9_N2at6native12_GLOBAL__N_19CustomSumEEEEE10hipError_tPvRmT0_T1_jT2_SQ_T4_T3_P12ihipStream_tbEUlT_E_NS1_11comp_targetILNS1_3genE9ELNS1_11target_archE1100ELNS1_3gpuE3ELNS1_3repE0EEENS1_30default_config_static_selectorELNS0_4arch9wavefront6targetE0EEEvSP_,comdat
	.globl	_ZN7rocprim17ROCPRIM_400000_NS6detail17trampoline_kernelINS0_14default_configENS1_32segmented_reduce_config_selectorIdEEZNS1_21segmented_reduce_implIS3_PKdPdPKidN6hipcub16HIPCUB_304000_NS6detail27convert_result_type_wrapperIS8_S9_N2at6native12_GLOBAL__N_19CustomSumEEEEE10hipError_tPvRmT0_T1_jT2_SQ_T4_T3_P12ihipStream_tbEUlT_E_NS1_11comp_targetILNS1_3genE9ELNS1_11target_archE1100ELNS1_3gpuE3ELNS1_3repE0EEENS1_30default_config_static_selectorELNS0_4arch9wavefront6targetE0EEEvSP_ ; -- Begin function _ZN7rocprim17ROCPRIM_400000_NS6detail17trampoline_kernelINS0_14default_configENS1_32segmented_reduce_config_selectorIdEEZNS1_21segmented_reduce_implIS3_PKdPdPKidN6hipcub16HIPCUB_304000_NS6detail27convert_result_type_wrapperIS8_S9_N2at6native12_GLOBAL__N_19CustomSumEEEEE10hipError_tPvRmT0_T1_jT2_SQ_T4_T3_P12ihipStream_tbEUlT_E_NS1_11comp_targetILNS1_3genE9ELNS1_11target_archE1100ELNS1_3gpuE3ELNS1_3repE0EEENS1_30default_config_static_selectorELNS0_4arch9wavefront6targetE0EEEvSP_
	.p2align	8
	.type	_ZN7rocprim17ROCPRIM_400000_NS6detail17trampoline_kernelINS0_14default_configENS1_32segmented_reduce_config_selectorIdEEZNS1_21segmented_reduce_implIS3_PKdPdPKidN6hipcub16HIPCUB_304000_NS6detail27convert_result_type_wrapperIS8_S9_N2at6native12_GLOBAL__N_19CustomSumEEEEE10hipError_tPvRmT0_T1_jT2_SQ_T4_T3_P12ihipStream_tbEUlT_E_NS1_11comp_targetILNS1_3genE9ELNS1_11target_archE1100ELNS1_3gpuE3ELNS1_3repE0EEENS1_30default_config_static_selectorELNS0_4arch9wavefront6targetE0EEEvSP_,@function
_ZN7rocprim17ROCPRIM_400000_NS6detail17trampoline_kernelINS0_14default_configENS1_32segmented_reduce_config_selectorIdEEZNS1_21segmented_reduce_implIS3_PKdPdPKidN6hipcub16HIPCUB_304000_NS6detail27convert_result_type_wrapperIS8_S9_N2at6native12_GLOBAL__N_19CustomSumEEEEE10hipError_tPvRmT0_T1_jT2_SQ_T4_T3_P12ihipStream_tbEUlT_E_NS1_11comp_targetILNS1_3genE9ELNS1_11target_archE1100ELNS1_3gpuE3ELNS1_3repE0EEENS1_30default_config_static_selectorELNS0_4arch9wavefront6targetE0EEEvSP_: ; @_ZN7rocprim17ROCPRIM_400000_NS6detail17trampoline_kernelINS0_14default_configENS1_32segmented_reduce_config_selectorIdEEZNS1_21segmented_reduce_implIS3_PKdPdPKidN6hipcub16HIPCUB_304000_NS6detail27convert_result_type_wrapperIS8_S9_N2at6native12_GLOBAL__N_19CustomSumEEEEE10hipError_tPvRmT0_T1_jT2_SQ_T4_T3_P12ihipStream_tbEUlT_E_NS1_11comp_targetILNS1_3genE9ELNS1_11target_archE1100ELNS1_3gpuE3ELNS1_3repE0EEENS1_30default_config_static_selectorELNS0_4arch9wavefront6targetE0EEEvSP_
; %bb.0:
	.section	.rodata,"a",@progbits
	.p2align	6, 0x0
	.amdhsa_kernel _ZN7rocprim17ROCPRIM_400000_NS6detail17trampoline_kernelINS0_14default_configENS1_32segmented_reduce_config_selectorIdEEZNS1_21segmented_reduce_implIS3_PKdPdPKidN6hipcub16HIPCUB_304000_NS6detail27convert_result_type_wrapperIS8_S9_N2at6native12_GLOBAL__N_19CustomSumEEEEE10hipError_tPvRmT0_T1_jT2_SQ_T4_T3_P12ihipStream_tbEUlT_E_NS1_11comp_targetILNS1_3genE9ELNS1_11target_archE1100ELNS1_3gpuE3ELNS1_3repE0EEENS1_30default_config_static_selectorELNS0_4arch9wavefront6targetE0EEEvSP_
		.amdhsa_group_segment_fixed_size 0
		.amdhsa_private_segment_fixed_size 0
		.amdhsa_kernarg_size 56
		.amdhsa_user_sgpr_count 6
		.amdhsa_user_sgpr_private_segment_buffer 1
		.amdhsa_user_sgpr_dispatch_ptr 0
		.amdhsa_user_sgpr_queue_ptr 0
		.amdhsa_user_sgpr_kernarg_segment_ptr 1
		.amdhsa_user_sgpr_dispatch_id 0
		.amdhsa_user_sgpr_flat_scratch_init 0
		.amdhsa_user_sgpr_private_segment_size 0
		.amdhsa_wavefront_size32 1
		.amdhsa_uses_dynamic_stack 0
		.amdhsa_system_sgpr_private_segment_wavefront_offset 0
		.amdhsa_system_sgpr_workgroup_id_x 1
		.amdhsa_system_sgpr_workgroup_id_y 0
		.amdhsa_system_sgpr_workgroup_id_z 0
		.amdhsa_system_sgpr_workgroup_info 0
		.amdhsa_system_vgpr_workitem_id 0
		.amdhsa_next_free_vgpr 1
		.amdhsa_next_free_sgpr 1
		.amdhsa_reserve_vcc 0
		.amdhsa_reserve_flat_scratch 0
		.amdhsa_float_round_mode_32 0
		.amdhsa_float_round_mode_16_64 0
		.amdhsa_float_denorm_mode_32 3
		.amdhsa_float_denorm_mode_16_64 3
		.amdhsa_dx10_clamp 1
		.amdhsa_ieee_mode 1
		.amdhsa_fp16_overflow 0
		.amdhsa_workgroup_processor_mode 1
		.amdhsa_memory_ordered 1
		.amdhsa_forward_progress 1
		.amdhsa_shared_vgpr_count 0
		.amdhsa_exception_fp_ieee_invalid_op 0
		.amdhsa_exception_fp_denorm_src 0
		.amdhsa_exception_fp_ieee_div_zero 0
		.amdhsa_exception_fp_ieee_overflow 0
		.amdhsa_exception_fp_ieee_underflow 0
		.amdhsa_exception_fp_ieee_inexact 0
		.amdhsa_exception_int_div_zero 0
	.end_amdhsa_kernel
	.section	.text._ZN7rocprim17ROCPRIM_400000_NS6detail17trampoline_kernelINS0_14default_configENS1_32segmented_reduce_config_selectorIdEEZNS1_21segmented_reduce_implIS3_PKdPdPKidN6hipcub16HIPCUB_304000_NS6detail27convert_result_type_wrapperIS8_S9_N2at6native12_GLOBAL__N_19CustomSumEEEEE10hipError_tPvRmT0_T1_jT2_SQ_T4_T3_P12ihipStream_tbEUlT_E_NS1_11comp_targetILNS1_3genE9ELNS1_11target_archE1100ELNS1_3gpuE3ELNS1_3repE0EEENS1_30default_config_static_selectorELNS0_4arch9wavefront6targetE0EEEvSP_,"axG",@progbits,_ZN7rocprim17ROCPRIM_400000_NS6detail17trampoline_kernelINS0_14default_configENS1_32segmented_reduce_config_selectorIdEEZNS1_21segmented_reduce_implIS3_PKdPdPKidN6hipcub16HIPCUB_304000_NS6detail27convert_result_type_wrapperIS8_S9_N2at6native12_GLOBAL__N_19CustomSumEEEEE10hipError_tPvRmT0_T1_jT2_SQ_T4_T3_P12ihipStream_tbEUlT_E_NS1_11comp_targetILNS1_3genE9ELNS1_11target_archE1100ELNS1_3gpuE3ELNS1_3repE0EEENS1_30default_config_static_selectorELNS0_4arch9wavefront6targetE0EEEvSP_,comdat
.Lfunc_end23:
	.size	_ZN7rocprim17ROCPRIM_400000_NS6detail17trampoline_kernelINS0_14default_configENS1_32segmented_reduce_config_selectorIdEEZNS1_21segmented_reduce_implIS3_PKdPdPKidN6hipcub16HIPCUB_304000_NS6detail27convert_result_type_wrapperIS8_S9_N2at6native12_GLOBAL__N_19CustomSumEEEEE10hipError_tPvRmT0_T1_jT2_SQ_T4_T3_P12ihipStream_tbEUlT_E_NS1_11comp_targetILNS1_3genE9ELNS1_11target_archE1100ELNS1_3gpuE3ELNS1_3repE0EEENS1_30default_config_static_selectorELNS0_4arch9wavefront6targetE0EEEvSP_, .Lfunc_end23-_ZN7rocprim17ROCPRIM_400000_NS6detail17trampoline_kernelINS0_14default_configENS1_32segmented_reduce_config_selectorIdEEZNS1_21segmented_reduce_implIS3_PKdPdPKidN6hipcub16HIPCUB_304000_NS6detail27convert_result_type_wrapperIS8_S9_N2at6native12_GLOBAL__N_19CustomSumEEEEE10hipError_tPvRmT0_T1_jT2_SQ_T4_T3_P12ihipStream_tbEUlT_E_NS1_11comp_targetILNS1_3genE9ELNS1_11target_archE1100ELNS1_3gpuE3ELNS1_3repE0EEENS1_30default_config_static_selectorELNS0_4arch9wavefront6targetE0EEEvSP_
                                        ; -- End function
	.set _ZN7rocprim17ROCPRIM_400000_NS6detail17trampoline_kernelINS0_14default_configENS1_32segmented_reduce_config_selectorIdEEZNS1_21segmented_reduce_implIS3_PKdPdPKidN6hipcub16HIPCUB_304000_NS6detail27convert_result_type_wrapperIS8_S9_N2at6native12_GLOBAL__N_19CustomSumEEEEE10hipError_tPvRmT0_T1_jT2_SQ_T4_T3_P12ihipStream_tbEUlT_E_NS1_11comp_targetILNS1_3genE9ELNS1_11target_archE1100ELNS1_3gpuE3ELNS1_3repE0EEENS1_30default_config_static_selectorELNS0_4arch9wavefront6targetE0EEEvSP_.num_vgpr, 0
	.set _ZN7rocprim17ROCPRIM_400000_NS6detail17trampoline_kernelINS0_14default_configENS1_32segmented_reduce_config_selectorIdEEZNS1_21segmented_reduce_implIS3_PKdPdPKidN6hipcub16HIPCUB_304000_NS6detail27convert_result_type_wrapperIS8_S9_N2at6native12_GLOBAL__N_19CustomSumEEEEE10hipError_tPvRmT0_T1_jT2_SQ_T4_T3_P12ihipStream_tbEUlT_E_NS1_11comp_targetILNS1_3genE9ELNS1_11target_archE1100ELNS1_3gpuE3ELNS1_3repE0EEENS1_30default_config_static_selectorELNS0_4arch9wavefront6targetE0EEEvSP_.num_agpr, 0
	.set _ZN7rocprim17ROCPRIM_400000_NS6detail17trampoline_kernelINS0_14default_configENS1_32segmented_reduce_config_selectorIdEEZNS1_21segmented_reduce_implIS3_PKdPdPKidN6hipcub16HIPCUB_304000_NS6detail27convert_result_type_wrapperIS8_S9_N2at6native12_GLOBAL__N_19CustomSumEEEEE10hipError_tPvRmT0_T1_jT2_SQ_T4_T3_P12ihipStream_tbEUlT_E_NS1_11comp_targetILNS1_3genE9ELNS1_11target_archE1100ELNS1_3gpuE3ELNS1_3repE0EEENS1_30default_config_static_selectorELNS0_4arch9wavefront6targetE0EEEvSP_.numbered_sgpr, 0
	.set _ZN7rocprim17ROCPRIM_400000_NS6detail17trampoline_kernelINS0_14default_configENS1_32segmented_reduce_config_selectorIdEEZNS1_21segmented_reduce_implIS3_PKdPdPKidN6hipcub16HIPCUB_304000_NS6detail27convert_result_type_wrapperIS8_S9_N2at6native12_GLOBAL__N_19CustomSumEEEEE10hipError_tPvRmT0_T1_jT2_SQ_T4_T3_P12ihipStream_tbEUlT_E_NS1_11comp_targetILNS1_3genE9ELNS1_11target_archE1100ELNS1_3gpuE3ELNS1_3repE0EEENS1_30default_config_static_selectorELNS0_4arch9wavefront6targetE0EEEvSP_.num_named_barrier, 0
	.set _ZN7rocprim17ROCPRIM_400000_NS6detail17trampoline_kernelINS0_14default_configENS1_32segmented_reduce_config_selectorIdEEZNS1_21segmented_reduce_implIS3_PKdPdPKidN6hipcub16HIPCUB_304000_NS6detail27convert_result_type_wrapperIS8_S9_N2at6native12_GLOBAL__N_19CustomSumEEEEE10hipError_tPvRmT0_T1_jT2_SQ_T4_T3_P12ihipStream_tbEUlT_E_NS1_11comp_targetILNS1_3genE9ELNS1_11target_archE1100ELNS1_3gpuE3ELNS1_3repE0EEENS1_30default_config_static_selectorELNS0_4arch9wavefront6targetE0EEEvSP_.private_seg_size, 0
	.set _ZN7rocprim17ROCPRIM_400000_NS6detail17trampoline_kernelINS0_14default_configENS1_32segmented_reduce_config_selectorIdEEZNS1_21segmented_reduce_implIS3_PKdPdPKidN6hipcub16HIPCUB_304000_NS6detail27convert_result_type_wrapperIS8_S9_N2at6native12_GLOBAL__N_19CustomSumEEEEE10hipError_tPvRmT0_T1_jT2_SQ_T4_T3_P12ihipStream_tbEUlT_E_NS1_11comp_targetILNS1_3genE9ELNS1_11target_archE1100ELNS1_3gpuE3ELNS1_3repE0EEENS1_30default_config_static_selectorELNS0_4arch9wavefront6targetE0EEEvSP_.uses_vcc, 0
	.set _ZN7rocprim17ROCPRIM_400000_NS6detail17trampoline_kernelINS0_14default_configENS1_32segmented_reduce_config_selectorIdEEZNS1_21segmented_reduce_implIS3_PKdPdPKidN6hipcub16HIPCUB_304000_NS6detail27convert_result_type_wrapperIS8_S9_N2at6native12_GLOBAL__N_19CustomSumEEEEE10hipError_tPvRmT0_T1_jT2_SQ_T4_T3_P12ihipStream_tbEUlT_E_NS1_11comp_targetILNS1_3genE9ELNS1_11target_archE1100ELNS1_3gpuE3ELNS1_3repE0EEENS1_30default_config_static_selectorELNS0_4arch9wavefront6targetE0EEEvSP_.uses_flat_scratch, 0
	.set _ZN7rocprim17ROCPRIM_400000_NS6detail17trampoline_kernelINS0_14default_configENS1_32segmented_reduce_config_selectorIdEEZNS1_21segmented_reduce_implIS3_PKdPdPKidN6hipcub16HIPCUB_304000_NS6detail27convert_result_type_wrapperIS8_S9_N2at6native12_GLOBAL__N_19CustomSumEEEEE10hipError_tPvRmT0_T1_jT2_SQ_T4_T3_P12ihipStream_tbEUlT_E_NS1_11comp_targetILNS1_3genE9ELNS1_11target_archE1100ELNS1_3gpuE3ELNS1_3repE0EEENS1_30default_config_static_selectorELNS0_4arch9wavefront6targetE0EEEvSP_.has_dyn_sized_stack, 0
	.set _ZN7rocprim17ROCPRIM_400000_NS6detail17trampoline_kernelINS0_14default_configENS1_32segmented_reduce_config_selectorIdEEZNS1_21segmented_reduce_implIS3_PKdPdPKidN6hipcub16HIPCUB_304000_NS6detail27convert_result_type_wrapperIS8_S9_N2at6native12_GLOBAL__N_19CustomSumEEEEE10hipError_tPvRmT0_T1_jT2_SQ_T4_T3_P12ihipStream_tbEUlT_E_NS1_11comp_targetILNS1_3genE9ELNS1_11target_archE1100ELNS1_3gpuE3ELNS1_3repE0EEENS1_30default_config_static_selectorELNS0_4arch9wavefront6targetE0EEEvSP_.has_recursion, 0
	.set _ZN7rocprim17ROCPRIM_400000_NS6detail17trampoline_kernelINS0_14default_configENS1_32segmented_reduce_config_selectorIdEEZNS1_21segmented_reduce_implIS3_PKdPdPKidN6hipcub16HIPCUB_304000_NS6detail27convert_result_type_wrapperIS8_S9_N2at6native12_GLOBAL__N_19CustomSumEEEEE10hipError_tPvRmT0_T1_jT2_SQ_T4_T3_P12ihipStream_tbEUlT_E_NS1_11comp_targetILNS1_3genE9ELNS1_11target_archE1100ELNS1_3gpuE3ELNS1_3repE0EEENS1_30default_config_static_selectorELNS0_4arch9wavefront6targetE0EEEvSP_.has_indirect_call, 0
	.section	.AMDGPU.csdata,"",@progbits
; Kernel info:
; codeLenInByte = 0
; TotalNumSgprs: 0
; NumVgprs: 0
; ScratchSize: 0
; MemoryBound: 0
; FloatMode: 240
; IeeeMode: 1
; LDSByteSize: 0 bytes/workgroup (compile time only)
; SGPRBlocks: 0
; VGPRBlocks: 0
; NumSGPRsForWavesPerEU: 1
; NumVGPRsForWavesPerEU: 1
; Occupancy: 16
; WaveLimiterHint : 0
; COMPUTE_PGM_RSRC2:SCRATCH_EN: 0
; COMPUTE_PGM_RSRC2:USER_SGPR: 6
; COMPUTE_PGM_RSRC2:TRAP_HANDLER: 0
; COMPUTE_PGM_RSRC2:TGID_X_EN: 1
; COMPUTE_PGM_RSRC2:TGID_Y_EN: 0
; COMPUTE_PGM_RSRC2:TGID_Z_EN: 0
; COMPUTE_PGM_RSRC2:TIDIG_COMP_CNT: 0
	.section	.text._ZN7rocprim17ROCPRIM_400000_NS6detail17trampoline_kernelINS0_14default_configENS1_32segmented_reduce_config_selectorIdEEZNS1_21segmented_reduce_implIS3_PKdPdPKidN6hipcub16HIPCUB_304000_NS6detail27convert_result_type_wrapperIS8_S9_N2at6native12_GLOBAL__N_19CustomSumEEEEE10hipError_tPvRmT0_T1_jT2_SQ_T4_T3_P12ihipStream_tbEUlT_E_NS1_11comp_targetILNS1_3genE8ELNS1_11target_archE1030ELNS1_3gpuE2ELNS1_3repE0EEENS1_30default_config_static_selectorELNS0_4arch9wavefront6targetE0EEEvSP_,"axG",@progbits,_ZN7rocprim17ROCPRIM_400000_NS6detail17trampoline_kernelINS0_14default_configENS1_32segmented_reduce_config_selectorIdEEZNS1_21segmented_reduce_implIS3_PKdPdPKidN6hipcub16HIPCUB_304000_NS6detail27convert_result_type_wrapperIS8_S9_N2at6native12_GLOBAL__N_19CustomSumEEEEE10hipError_tPvRmT0_T1_jT2_SQ_T4_T3_P12ihipStream_tbEUlT_E_NS1_11comp_targetILNS1_3genE8ELNS1_11target_archE1030ELNS1_3gpuE2ELNS1_3repE0EEENS1_30default_config_static_selectorELNS0_4arch9wavefront6targetE0EEEvSP_,comdat
	.globl	_ZN7rocprim17ROCPRIM_400000_NS6detail17trampoline_kernelINS0_14default_configENS1_32segmented_reduce_config_selectorIdEEZNS1_21segmented_reduce_implIS3_PKdPdPKidN6hipcub16HIPCUB_304000_NS6detail27convert_result_type_wrapperIS8_S9_N2at6native12_GLOBAL__N_19CustomSumEEEEE10hipError_tPvRmT0_T1_jT2_SQ_T4_T3_P12ihipStream_tbEUlT_E_NS1_11comp_targetILNS1_3genE8ELNS1_11target_archE1030ELNS1_3gpuE2ELNS1_3repE0EEENS1_30default_config_static_selectorELNS0_4arch9wavefront6targetE0EEEvSP_ ; -- Begin function _ZN7rocprim17ROCPRIM_400000_NS6detail17trampoline_kernelINS0_14default_configENS1_32segmented_reduce_config_selectorIdEEZNS1_21segmented_reduce_implIS3_PKdPdPKidN6hipcub16HIPCUB_304000_NS6detail27convert_result_type_wrapperIS8_S9_N2at6native12_GLOBAL__N_19CustomSumEEEEE10hipError_tPvRmT0_T1_jT2_SQ_T4_T3_P12ihipStream_tbEUlT_E_NS1_11comp_targetILNS1_3genE8ELNS1_11target_archE1030ELNS1_3gpuE2ELNS1_3repE0EEENS1_30default_config_static_selectorELNS0_4arch9wavefront6targetE0EEEvSP_
	.p2align	8
	.type	_ZN7rocprim17ROCPRIM_400000_NS6detail17trampoline_kernelINS0_14default_configENS1_32segmented_reduce_config_selectorIdEEZNS1_21segmented_reduce_implIS3_PKdPdPKidN6hipcub16HIPCUB_304000_NS6detail27convert_result_type_wrapperIS8_S9_N2at6native12_GLOBAL__N_19CustomSumEEEEE10hipError_tPvRmT0_T1_jT2_SQ_T4_T3_P12ihipStream_tbEUlT_E_NS1_11comp_targetILNS1_3genE8ELNS1_11target_archE1030ELNS1_3gpuE2ELNS1_3repE0EEENS1_30default_config_static_selectorELNS0_4arch9wavefront6targetE0EEEvSP_,@function
_ZN7rocprim17ROCPRIM_400000_NS6detail17trampoline_kernelINS0_14default_configENS1_32segmented_reduce_config_selectorIdEEZNS1_21segmented_reduce_implIS3_PKdPdPKidN6hipcub16HIPCUB_304000_NS6detail27convert_result_type_wrapperIS8_S9_N2at6native12_GLOBAL__N_19CustomSumEEEEE10hipError_tPvRmT0_T1_jT2_SQ_T4_T3_P12ihipStream_tbEUlT_E_NS1_11comp_targetILNS1_3genE8ELNS1_11target_archE1030ELNS1_3gpuE2ELNS1_3repE0EEENS1_30default_config_static_selectorELNS0_4arch9wavefront6targetE0EEEvSP_: ; @_ZN7rocprim17ROCPRIM_400000_NS6detail17trampoline_kernelINS0_14default_configENS1_32segmented_reduce_config_selectorIdEEZNS1_21segmented_reduce_implIS3_PKdPdPKidN6hipcub16HIPCUB_304000_NS6detail27convert_result_type_wrapperIS8_S9_N2at6native12_GLOBAL__N_19CustomSumEEEEE10hipError_tPvRmT0_T1_jT2_SQ_T4_T3_P12ihipStream_tbEUlT_E_NS1_11comp_targetILNS1_3genE8ELNS1_11target_archE1030ELNS1_3gpuE2ELNS1_3repE0EEENS1_30default_config_static_selectorELNS0_4arch9wavefront6targetE0EEEvSP_
; %bb.0:
	s_clause 0x2
	s_load_dwordx8 s[20:27], s[4:5], 0x0
	s_load_dwordx2 s[0:1], s[4:5], 0x20
	s_load_dwordx2 s[18:19], s[4:5], 0x30
	s_mov_b32 s7, 0
	v_cmp_eq_u32_e32 vcc_lo, 0, v0
	s_mov_b32 s17, s7
	s_waitcnt lgkmcnt(0)
	s_lshl_b64 s[2:3], s[24:25], 2
	s_add_u32 s4, s26, s2
	s_addc_u32 s5, s27, s3
	s_add_u32 s8, s0, s2
	s_addc_u32 s9, s1, s3
	s_lshl_b64 s[0:1], s[6:7], 2
	s_add_u32 s2, s4, s0
	s_addc_u32 s3, s5, s1
	s_add_u32 s0, s8, s0
	s_addc_u32 s1, s9, s1
	s_load_dword s26, s[2:3], 0x0
	s_load_dword s30, s[0:1], 0x0
	s_mov_b32 s0, -1
	s_waitcnt lgkmcnt(0)
	s_cmp_gt_i32 s30, s26
	s_cbranch_scc1 .LBB24_2
; %bb.1:
	s_mov_b32 s0, 0
	s_and_b32 s17, vcc_lo, exec_lo
.LBB24_2:
	s_andn2_b32 vcc_lo, exec_lo, s0
	s_cbranch_vccnz .LBB24_44
; %bb.3:
	s_add_i32 s0, s26, 0x1000
	s_cmp_le_i32 s0, s30
	s_cbranch_scc0 .LBB24_45
; %bb.4:
	s_ashr_i32 s27, s26, 31
	v_lshlrev_b32_e32 v35, 3, v0
	s_lshl_b64 s[2:3], s[26:27], 3
	s_add_u32 s2, s20, s2
	s_addc_u32 s3, s21, s3
	v_add_co_u32 v5, s1, s2, v35
	v_add_co_ci_u32_e64 v6, null, s3, 0, s1
	s_add_i32 s1, s26, 0x2000
	v_add_co_u32 v1, vcc_lo, v5, 0x1000
	v_add_co_ci_u32_e64 v2, null, 0, v6, vcc_lo
	s_cmp_ge_i32 s1, s30
	s_clause 0x2
	global_load_dwordx2 v[27:28], v35, s[2:3]
	global_load_dwordx2 v[31:32], v[1:2], off offset:-2048
	global_load_dwordx2 v[23:24], v[1:2], off
	v_add_co_u32 v1, vcc_lo, v5, 0x2000
	v_add_co_ci_u32_e64 v2, null, 0, v6, vcc_lo
	s_clause 0x1
	global_load_dwordx2 v[29:30], v[1:2], off offset:-2048
	global_load_dwordx2 v[19:20], v[1:2], off
	v_add_co_u32 v1, vcc_lo, v5, 0x3000
	v_add_co_ci_u32_e64 v2, null, 0, v6, vcc_lo
	s_clause 0x1
	;; [unrolled: 5-line block ×6, first 2 shown]
	global_load_dwordx2 v[9:10], v[1:2], off offset:-2048
	global_load_dwordx2 v[1:2], v[1:2], off
	v_add_co_u32 v5, vcc_lo, 0x7800, v5
	v_add_co_ci_u32_e64 v6, null, 0, v6, vcc_lo
	global_load_dwordx2 v[5:6], v[5:6], off
	s_waitcnt vmcnt(14)
	v_add_f64 v[33:34], v[27:28], v[31:32]
	s_waitcnt vmcnt(13)
	v_add_f64 v[33:34], v[33:34], v[23:24]
	;; [unrolled: 2-line block ×15, first 2 shown]
	s_cbranch_scc1 .LBB24_7
; %bb.5:
	v_add_co_u32 v36, s1, s20, v35
	v_add_co_ci_u32_e64 v37, null, s21, 0, s1
.LBB24_6:                               ; =>This Inner Loop Header: Depth=1
	s_ashr_i32 s1, s0, 31
	s_lshl_b64 s[2:3], s[0:1], 3
	s_add_i32 s1, s0, 0x2000
	v_add_co_u32 v5, vcc_lo, v36, s2
	v_add_co_ci_u32_e64 v6, null, s3, v37, vcc_lo
	s_addk_i32 s0, 0x1000
	v_add_co_u32 v1, vcc_lo, v5, 0x1000
	global_load_dwordx2 v[27:28], v[5:6], off
	v_add_co_ci_u32_e64 v2, null, 0, v6, vcc_lo
	s_cmp_lt_i32 s1, s30
	s_clause 0x1
	global_load_dwordx2 v[31:32], v[1:2], off offset:-2048
	global_load_dwordx2 v[23:24], v[1:2], off
	v_add_co_u32 v1, vcc_lo, v5, 0x2000
	v_add_co_ci_u32_e64 v2, null, 0, v6, vcc_lo
	s_clause 0x1
	global_load_dwordx2 v[29:30], v[1:2], off offset:-2048
	global_load_dwordx2 v[19:20], v[1:2], off
	v_add_co_u32 v1, vcc_lo, v5, 0x3000
	v_add_co_ci_u32_e64 v2, null, 0, v6, vcc_lo
	s_clause 0x1
	global_load_dwordx2 v[25:26], v[1:2], off offset:-2048
	global_load_dwordx2 v[15:16], v[1:2], off
	v_add_co_u32 v1, vcc_lo, v5, 0x4000
	v_add_co_ci_u32_e64 v2, null, 0, v6, vcc_lo
	s_clause 0x1
	global_load_dwordx2 v[21:22], v[1:2], off offset:-2048
	global_load_dwordx2 v[11:12], v[1:2], off
	v_add_co_u32 v1, vcc_lo, v5, 0x5000
	v_add_co_ci_u32_e64 v2, null, 0, v6, vcc_lo
	s_clause 0x1
	global_load_dwordx2 v[17:18], v[1:2], off offset:-2048
	global_load_dwordx2 v[7:8], v[1:2], off
	v_add_co_u32 v1, vcc_lo, v5, 0x6000
	v_add_co_ci_u32_e64 v2, null, 0, v6, vcc_lo
	s_clause 0x1
	global_load_dwordx2 v[13:14], v[1:2], off offset:-2048
	global_load_dwordx2 v[3:4], v[1:2], off
	v_add_co_u32 v1, vcc_lo, v5, 0x7000
	v_add_co_ci_u32_e64 v2, null, 0, v6, vcc_lo
	s_clause 0x1
	global_load_dwordx2 v[9:10], v[1:2], off offset:-2048
	global_load_dwordx2 v[1:2], v[1:2], off
	v_add_co_u32 v5, vcc_lo, 0x7800, v5
	v_add_co_ci_u32_e64 v6, null, 0, v6, vcc_lo
	global_load_dwordx2 v[5:6], v[5:6], off
	s_waitcnt vmcnt(15)
	v_add_f64 v[33:34], v[33:34], v[27:28]
	s_waitcnt vmcnt(14)
	v_add_f64 v[33:34], v[33:34], v[31:32]
	;; [unrolled: 2-line block ×16, first 2 shown]
	s_cbranch_scc1 .LBB24_6
.LBB24_7:
	s_ashr_i32 s1, s0, 31
	s_sub_i32 s16, s30, s0
	s_lshl_b64 s[0:1], s[0:1], 3
	v_cmp_gt_u32_e32 vcc_lo, s16, v0
	s_add_u32 s28, s20, s0
	s_addc_u32 s29, s21, s1
	s_and_saveexec_b32 s0, vcc_lo
	s_cbranch_execz .LBB24_9
; %bb.8:
	global_load_dwordx2 v[27:28], v35, s[28:29]
.LBB24_9:
	s_or_b32 exec_lo, exec_lo, s0
	v_or_b32_e32 v35, 0x100, v0
	v_cmp_gt_u32_e64 s0, s16, v35
	s_and_saveexec_b32 s1, s0
	s_cbranch_execz .LBB24_11
; %bb.10:
	v_lshlrev_b32_e32 v31, 3, v35
	global_load_dwordx2 v[31:32], v31, s[28:29]
.LBB24_11:
	s_or_b32 exec_lo, exec_lo, s1
	v_or_b32_e32 v35, 0x200, v0
	v_cmp_gt_u32_e64 s1, s16, v35
	s_and_saveexec_b32 s2, s1
	s_cbranch_execz .LBB24_13
; %bb.12:
	v_lshlrev_b32_e32 v23, 3, v35
	global_load_dwordx2 v[23:24], v23, s[28:29]
.LBB24_13:
	;; [unrolled: 9-line block ×15, first 2 shown]
	s_or_b32 exec_lo, exec_lo, s27
	s_waitcnt vmcnt(0)
	v_add_f64 v[27:28], v[33:34], v[27:28]
	v_cndmask_b32_e32 v28, v34, v28, vcc_lo
	v_cndmask_b32_e32 v27, v33, v27, vcc_lo
	v_add_f64 v[31:32], v[31:32], v[27:28]
	v_cndmask_b32_e64 v28, v28, v32, s0
	v_cndmask_b32_e64 v27, v27, v31, s0
	s_mov_b32 s0, exec_lo
	v_add_f64 v[23:24], v[23:24], v[27:28]
	v_cndmask_b32_e64 v24, v28, v24, s1
	v_cndmask_b32_e64 v23, v27, v23, s1
	v_add_f64 v[27:28], v[29:30], v[23:24]
	v_cndmask_b32_e64 v24, v24, v28, s2
	v_cndmask_b32_e64 v23, v23, v27, s2
	;; [unrolled: 3-line block ×14, first 2 shown]
	v_mov_b32_dpp v3, v1 quad_perm:[1,0,3,2] row_mask:0xf bank_mask:0xf
	v_mov_b32_dpp v4, v2 quad_perm:[1,0,3,2] row_mask:0xf bank_mask:0xf
	v_add_f64 v[1:2], v[1:2], v[3:4]
	v_mov_b32_dpp v3, v1 quad_perm:[2,3,0,1] row_mask:0xf bank_mask:0xf
	v_mov_b32_dpp v4, v2 quad_perm:[2,3,0,1] row_mask:0xf bank_mask:0xf
	v_add_f64 v[1:2], v[1:2], v[3:4]
	v_mov_b32_dpp v3, v1 row_ror:4 row_mask:0xf bank_mask:0xf
	v_mov_b32_dpp v4, v2 row_ror:4 row_mask:0xf bank_mask:0xf
	v_add_f64 v[1:2], v[1:2], v[3:4]
	v_mov_b32_dpp v3, v1 row_ror:8 row_mask:0xf bank_mask:0xf
	v_mov_b32_dpp v4, v2 row_ror:8 row_mask:0xf bank_mask:0xf
	v_add_f64 v[1:2], v[1:2], v[3:4]
	ds_swizzle_b32 v3, v1 offset:swizzle(BROADCAST,32,15)
	ds_swizzle_b32 v4, v2 offset:swizzle(BROADCAST,32,15)
	s_waitcnt lgkmcnt(0)
	v_add_f64 v[1:2], v[1:2], v[3:4]
	v_mov_b32_e32 v3, 0
	ds_bpermute_b32 v1, v3, v1 offset:124
	ds_bpermute_b32 v2, v3, v2 offset:124
	v_mbcnt_lo_u32_b32 v3, -1, 0
	v_cmpx_eq_u32_e32 0, v3
	s_cbranch_execz .LBB24_41
; %bb.40:
	v_lshrrev_b32_e32 v4, 2, v0
	v_and_b32_e32 v4, 56, v4
	s_waitcnt lgkmcnt(0)
	ds_write_b64 v4, v[1:2]
.LBB24_41:
	s_or_b32 exec_lo, exec_lo, s0
	s_mov_b32 s0, exec_lo
	s_waitcnt lgkmcnt(0)
	s_barrier
	buffer_gl0_inv
	v_cmpx_gt_u32_e32 32, v0
	s_cbranch_execz .LBB24_43
; %bb.42:
	v_and_b32_e32 v6, 7, v3
	v_lshlrev_b32_e32 v1, 3, v6
	v_cmp_ne_u32_e32 vcc_lo, 7, v6
	ds_read_b64 v[1:2], v1
	v_add_co_ci_u32_e64 v4, null, 0, v3, vcc_lo
	v_cmp_gt_u32_e32 vcc_lo, 6, v6
	v_lshlrev_b32_e32 v5, 2, v4
	s_waitcnt lgkmcnt(0)
	ds_bpermute_b32 v4, v5, v1
	ds_bpermute_b32 v5, v5, v2
	s_waitcnt lgkmcnt(0)
	v_add_f64 v[1:2], v[1:2], v[4:5]
	v_cndmask_b32_e64 v4, 0, 2, vcc_lo
	v_add_lshl_u32 v5, v4, v3, 2
	v_lshlrev_b32_e32 v3, 2, v3
	ds_bpermute_b32 v4, v5, v1
	ds_bpermute_b32 v5, v5, v2
	s_waitcnt lgkmcnt(0)
	v_add_f64 v[1:2], v[1:2], v[4:5]
	v_or_b32_e32 v4, 16, v3
	ds_bpermute_b32 v3, v4, v1
	ds_bpermute_b32 v4, v4, v2
	s_waitcnt lgkmcnt(0)
	v_add_f64 v[1:2], v[1:2], v[3:4]
.LBB24_43:
	s_or_b32 exec_lo, exec_lo, s0
	s_branch .LBB24_80
.LBB24_44:
	v_mov_b32_e32 v3, s18
	v_mov_b32_e32 v4, s19
	s_and_saveexec_b32 s0, s17
	s_cbranch_execnz .LBB24_83
	s_branch .LBB24_84
.LBB24_45:
                                        ; implicit-def: $vgpr1_vgpr2
	s_cbranch_execz .LBB24_80
; %bb.46:
	s_sub_i32 s0, s30, s26
	s_mov_b32 s1, exec_lo
                                        ; implicit-def: $vgpr3_vgpr4
	v_cmpx_gt_u32_e64 s0, v0
	s_cbranch_execz .LBB24_52
; %bb.47:
	v_add_nc_u32_e32 v1, s26, v0
	s_mov_b32 s2, exec_lo
	v_ashrrev_i32_e32 v2, 31, v1
	v_lshlrev_b64 v[2:3], 3, v[1:2]
	v_add_nc_u32_e32 v1, 0x100, v1
	v_add_co_u32 v2, vcc_lo, s20, v2
	v_add_co_ci_u32_e64 v3, null, s21, v3, vcc_lo
	global_load_dwordx2 v[3:4], v[2:3], off
	v_cmpx_gt_i32_e64 s30, v1
	s_cbranch_execz .LBB24_51
; %bb.48:
	s_mov_b32 s3, 0
	.p2align	6
.LBB24_49:                              ; =>This Inner Loop Header: Depth=1
	v_ashrrev_i32_e32 v2, 31, v1
	v_lshlrev_b64 v[5:6], 3, v[1:2]
	v_add_nc_u32_e32 v1, 0x100, v1
	v_add_co_u32 v5, vcc_lo, s20, v5
	v_add_co_ci_u32_e64 v6, null, s21, v6, vcc_lo
	v_cmp_le_i32_e32 vcc_lo, s30, v1
	global_load_dwordx2 v[5:6], v[5:6], off
	s_or_b32 s3, vcc_lo, s3
	s_waitcnt vmcnt(0)
	v_add_f64 v[3:4], v[3:4], v[5:6]
	s_andn2_b32 exec_lo, exec_lo, s3
	s_cbranch_execnz .LBB24_49
; %bb.50:
	s_or_b32 exec_lo, exec_lo, s3
.LBB24_51:
	s_or_b32 exec_lo, exec_lo, s2
.LBB24_52:
	s_or_b32 exec_lo, exec_lo, s1
	v_mbcnt_lo_u32_b32 v7, -1, 0
	s_cmpk_lt_u32 s0, 0x100
	s_cbranch_scc0 .LBB24_74
; %bb.53:
	v_cmp_ne_u32_e32 vcc_lo, 31, v7
	s_waitcnt vmcnt(0)
	v_mov_b32_e32 v10, v4
	v_mov_b32_e32 v11, v3
	v_add_co_ci_u32_e64 v1, null, 0, v7, vcc_lo
	v_lshlrev_b32_e32 v1, 2, v1
	ds_bpermute_b32 v5, v1, v3
	ds_bpermute_b32 v6, v1, v4
	v_and_b32_e32 v1, 0xe0, v0
	v_sub_nc_u32_e64 v8, s0, v1 clamp
	v_add_nc_u32_e32 v1, 1, v7
	v_cmp_lt_u32_e32 vcc_lo, v1, v8
	v_mov_b32_e32 v1, v3
	v_mov_b32_e32 v2, v4
	s_and_saveexec_b32 s1, vcc_lo
	s_cbranch_execz .LBB24_55
; %bb.54:
	s_waitcnt lgkmcnt(0)
	v_add_f64 v[1:2], v[3:4], v[5:6]
	v_mov_b32_e32 v10, v2
	v_mov_b32_e32 v11, v1
.LBB24_55:
	s_or_b32 exec_lo, exec_lo, s1
	v_cmp_gt_u32_e32 vcc_lo, 30, v7
	v_add_nc_u32_e32 v9, 2, v7
	s_mov_b32 s1, exec_lo
	s_waitcnt lgkmcnt(1)
	v_cndmask_b32_e64 v5, 0, 2, vcc_lo
	s_waitcnt lgkmcnt(0)
	v_add_lshl_u32 v6, v5, v7, 2
	ds_bpermute_b32 v5, v6, v11
	ds_bpermute_b32 v6, v6, v10
	v_cmpx_lt_u32_e64 v9, v8
	s_cbranch_execz .LBB24_57
; %bb.56:
	s_waitcnt lgkmcnt(0)
	v_add_f64 v[1:2], v[1:2], v[5:6]
	v_mov_b32_e32 v10, v2
	v_mov_b32_e32 v11, v1
.LBB24_57:
	s_or_b32 exec_lo, exec_lo, s1
	v_cmp_gt_u32_e32 vcc_lo, 28, v7
	v_add_nc_u32_e32 v9, 4, v7
	s_mov_b32 s1, exec_lo
	s_waitcnt lgkmcnt(1)
	v_cndmask_b32_e64 v5, 0, 4, vcc_lo
	s_waitcnt lgkmcnt(0)
	v_add_lshl_u32 v6, v5, v7, 2
	ds_bpermute_b32 v5, v6, v11
	ds_bpermute_b32 v6, v6, v10
	v_cmpx_lt_u32_e64 v9, v8
	;; [unrolled: 18-line block ×3, first 2 shown]
	s_cbranch_execz .LBB24_61
; %bb.60:
	s_waitcnt lgkmcnt(0)
	v_add_f64 v[1:2], v[1:2], v[5:6]
	v_mov_b32_e32 v10, v2
	v_mov_b32_e32 v11, v1
.LBB24_61:
	s_or_b32 exec_lo, exec_lo, s1
	v_lshlrev_b32_e32 v9, 2, v7
	s_mov_b32 s1, exec_lo
	s_waitcnt lgkmcnt(0)
	v_or_b32_e32 v6, 64, v9
	ds_bpermute_b32 v5, v6, v11
	ds_bpermute_b32 v6, v6, v10
	v_add_nc_u32_e32 v10, 16, v7
	v_cmpx_lt_u32_e64 v10, v8
	s_cbranch_execz .LBB24_63
; %bb.62:
	s_waitcnt lgkmcnt(0)
	v_add_f64 v[1:2], v[1:2], v[5:6]
.LBB24_63:
	s_or_b32 exec_lo, exec_lo, s1
	s_mov_b32 s1, exec_lo
	v_cmpx_eq_u32_e32 0, v7
	s_cbranch_execz .LBB24_65
; %bb.64:
	s_waitcnt lgkmcnt(1)
	v_lshrrev_b32_e32 v5, 2, v0
	v_and_b32_e32 v5, 56, v5
	ds_write_b64 v5, v[1:2]
.LBB24_65:
	s_or_b32 exec_lo, exec_lo, s1
	s_mov_b32 s1, exec_lo
	s_waitcnt lgkmcnt(0)
	s_barrier
	buffer_gl0_inv
	v_cmpx_gt_u32_e32 8, v0
	s_cbranch_execz .LBB24_73
; %bb.66:
	v_lshlrev_b32_e32 v1, 3, v7
	v_and_b32_e32 v8, 7, v7
	s_add_i32 s0, s0, 31
	s_mov_b32 s2, exec_lo
	s_lshr_b32 s0, s0, 5
	ds_read_b64 v[1:2], v1
	v_cmp_ne_u32_e32 vcc_lo, 7, v8
	v_add_nc_u32_e32 v10, 1, v8
	v_add_co_ci_u32_e64 v5, null, 0, v7, vcc_lo
	v_lshlrev_b32_e32 v6, 2, v5
	s_waitcnt lgkmcnt(0)
	ds_bpermute_b32 v5, v6, v1
	ds_bpermute_b32 v6, v6, v2
	v_cmpx_gt_u32_e64 s0, v10
	s_cbranch_execz .LBB24_68
; %bb.67:
	s_waitcnt lgkmcnt(0)
	v_add_f64 v[1:2], v[1:2], v[5:6]
.LBB24_68:
	s_or_b32 exec_lo, exec_lo, s2
	v_cmp_gt_u32_e32 vcc_lo, 6, v8
	v_add_nc_u32_e32 v10, 2, v8
	s_mov_b32 s2, exec_lo
	s_waitcnt lgkmcnt(1)
	v_cndmask_b32_e64 v5, 0, 2, vcc_lo
	s_waitcnt lgkmcnt(0)
	v_add_lshl_u32 v6, v5, v7, 2
	ds_bpermute_b32 v5, v6, v1
	ds_bpermute_b32 v6, v6, v2
	v_cmpx_gt_u32_e64 s0, v10
	s_cbranch_execz .LBB24_70
; %bb.69:
	s_waitcnt lgkmcnt(0)
	v_add_f64 v[1:2], v[1:2], v[5:6]
.LBB24_70:
	s_or_b32 exec_lo, exec_lo, s2
	s_waitcnt lgkmcnt(0)
	v_or_b32_e32 v6, 16, v9
	v_add_nc_u32_e32 v8, 4, v8
	ds_bpermute_b32 v5, v6, v1
	ds_bpermute_b32 v6, v6, v2
	v_cmp_gt_u32_e32 vcc_lo, s0, v8
	s_and_saveexec_b32 s0, vcc_lo
	s_cbranch_execz .LBB24_72
; %bb.71:
	s_waitcnt lgkmcnt(0)
	v_add_f64 v[1:2], v[1:2], v[5:6]
.LBB24_72:
	s_or_b32 exec_lo, exec_lo, s0
.LBB24_73:
	s_or_b32 exec_lo, exec_lo, s1
	s_branch .LBB24_80
.LBB24_74:
                                        ; implicit-def: $vgpr1_vgpr2
	s_cbranch_execz .LBB24_80
; %bb.75:
	s_waitcnt vmcnt(0)
	v_mov_b32_dpp v1, v3 quad_perm:[1,0,3,2] row_mask:0xf bank_mask:0xf
	v_mov_b32_dpp v2, v4 quad_perm:[1,0,3,2] row_mask:0xf bank_mask:0xf
	s_mov_b32 s0, exec_lo
	v_add_f64 v[1:2], v[3:4], v[1:2]
	v_mov_b32_dpp v3, v1 quad_perm:[2,3,0,1] row_mask:0xf bank_mask:0xf
	v_mov_b32_dpp v4, v2 quad_perm:[2,3,0,1] row_mask:0xf bank_mask:0xf
	v_add_f64 v[1:2], v[1:2], v[3:4]
	v_mov_b32_dpp v3, v1 row_ror:4 row_mask:0xf bank_mask:0xf
	v_mov_b32_dpp v4, v2 row_ror:4 row_mask:0xf bank_mask:0xf
	v_add_f64 v[1:2], v[1:2], v[3:4]
	v_mov_b32_dpp v3, v1 row_ror:8 row_mask:0xf bank_mask:0xf
	v_mov_b32_dpp v4, v2 row_ror:8 row_mask:0xf bank_mask:0xf
	v_add_f64 v[1:2], v[1:2], v[3:4]
	ds_swizzle_b32 v3, v1 offset:swizzle(BROADCAST,32,15)
	ds_swizzle_b32 v4, v2 offset:swizzle(BROADCAST,32,15)
	s_waitcnt lgkmcnt(0)
	v_add_f64 v[1:2], v[1:2], v[3:4]
	v_mov_b32_e32 v3, 0
	ds_bpermute_b32 v1, v3, v1 offset:124
	ds_bpermute_b32 v2, v3, v2 offset:124
	v_cmpx_eq_u32_e32 0, v7
	s_cbranch_execz .LBB24_77
; %bb.76:
	v_lshrrev_b32_e32 v3, 2, v0
	v_and_b32_e32 v3, 56, v3
	s_waitcnt lgkmcnt(0)
	ds_write_b64 v3, v[1:2]
.LBB24_77:
	s_or_b32 exec_lo, exec_lo, s0
	s_mov_b32 s0, exec_lo
	s_waitcnt lgkmcnt(0)
	s_barrier
	buffer_gl0_inv
	v_cmpx_gt_u32_e32 32, v0
	s_cbranch_execz .LBB24_79
; %bb.78:
	v_and_b32_e32 v5, 7, v7
	v_lshlrev_b32_e32 v1, 3, v5
	v_cmp_ne_u32_e32 vcc_lo, 7, v5
	ds_read_b64 v[1:2], v1
	v_add_co_ci_u32_e64 v3, null, 0, v7, vcc_lo
	v_cmp_gt_u32_e32 vcc_lo, 6, v5
	v_lshlrev_b32_e32 v4, 2, v3
	s_waitcnt lgkmcnt(0)
	ds_bpermute_b32 v3, v4, v1
	ds_bpermute_b32 v4, v4, v2
	s_waitcnt lgkmcnt(0)
	v_add_f64 v[1:2], v[1:2], v[3:4]
	v_cndmask_b32_e64 v3, 0, 2, vcc_lo
	v_add_lshl_u32 v4, v3, v7, 2
	ds_bpermute_b32 v3, v4, v1
	ds_bpermute_b32 v4, v4, v2
	s_waitcnt lgkmcnt(0)
	v_add_f64 v[1:2], v[1:2], v[3:4]
	v_lshlrev_b32_e32 v3, 2, v7
	v_or_b32_e32 v4, 16, v3
	ds_bpermute_b32 v3, v4, v1
	ds_bpermute_b32 v4, v4, v2
	s_waitcnt lgkmcnt(0)
	v_add_f64 v[1:2], v[1:2], v[3:4]
.LBB24_79:
	s_or_b32 exec_lo, exec_lo, s0
.LBB24_80:
	s_mov_b32 s0, exec_lo
                                        ; implicit-def: $vgpr3_vgpr4
	v_cmpx_eq_u32_e32 0, v0
	s_cbranch_execz .LBB24_82
; %bb.81:
	s_waitcnt vmcnt(0)
	v_add_f64 v[3:4], s[18:19], v[1:2]
	s_or_b32 s17, s17, exec_lo
.LBB24_82:
	s_or_b32 exec_lo, exec_lo, s0
	s_and_saveexec_b32 s0, s17
	s_cbranch_execz .LBB24_84
.LBB24_83:
	s_lshl_b64 s[0:1], s[24:25], 3
	v_mov_b32_e32 v0, 0
	s_add_u32 s2, s22, s0
	s_addc_u32 s3, s23, s1
	s_lshl_b64 s[0:1], s[6:7], 3
	s_add_u32 s0, s2, s0
	s_addc_u32 s1, s3, s1
	s_waitcnt vmcnt(0)
	global_store_dwordx2 v0, v[3:4], s[0:1]
.LBB24_84:
	s_endpgm
	.section	.rodata,"a",@progbits
	.p2align	6, 0x0
	.amdhsa_kernel _ZN7rocprim17ROCPRIM_400000_NS6detail17trampoline_kernelINS0_14default_configENS1_32segmented_reduce_config_selectorIdEEZNS1_21segmented_reduce_implIS3_PKdPdPKidN6hipcub16HIPCUB_304000_NS6detail27convert_result_type_wrapperIS8_S9_N2at6native12_GLOBAL__N_19CustomSumEEEEE10hipError_tPvRmT0_T1_jT2_SQ_T4_T3_P12ihipStream_tbEUlT_E_NS1_11comp_targetILNS1_3genE8ELNS1_11target_archE1030ELNS1_3gpuE2ELNS1_3repE0EEENS1_30default_config_static_selectorELNS0_4arch9wavefront6targetE0EEEvSP_
		.amdhsa_group_segment_fixed_size 64
		.amdhsa_private_segment_fixed_size 0
		.amdhsa_kernarg_size 56
		.amdhsa_user_sgpr_count 6
		.amdhsa_user_sgpr_private_segment_buffer 1
		.amdhsa_user_sgpr_dispatch_ptr 0
		.amdhsa_user_sgpr_queue_ptr 0
		.amdhsa_user_sgpr_kernarg_segment_ptr 1
		.amdhsa_user_sgpr_dispatch_id 0
		.amdhsa_user_sgpr_flat_scratch_init 0
		.amdhsa_user_sgpr_private_segment_size 0
		.amdhsa_wavefront_size32 1
		.amdhsa_uses_dynamic_stack 0
		.amdhsa_system_sgpr_private_segment_wavefront_offset 0
		.amdhsa_system_sgpr_workgroup_id_x 1
		.amdhsa_system_sgpr_workgroup_id_y 0
		.amdhsa_system_sgpr_workgroup_id_z 0
		.amdhsa_system_sgpr_workgroup_info 0
		.amdhsa_system_vgpr_workitem_id 0
		.amdhsa_next_free_vgpr 38
		.amdhsa_next_free_sgpr 31
		.amdhsa_reserve_vcc 1
		.amdhsa_reserve_flat_scratch 0
		.amdhsa_float_round_mode_32 0
		.amdhsa_float_round_mode_16_64 0
		.amdhsa_float_denorm_mode_32 3
		.amdhsa_float_denorm_mode_16_64 3
		.amdhsa_dx10_clamp 1
		.amdhsa_ieee_mode 1
		.amdhsa_fp16_overflow 0
		.amdhsa_workgroup_processor_mode 1
		.amdhsa_memory_ordered 1
		.amdhsa_forward_progress 1
		.amdhsa_shared_vgpr_count 0
		.amdhsa_exception_fp_ieee_invalid_op 0
		.amdhsa_exception_fp_denorm_src 0
		.amdhsa_exception_fp_ieee_div_zero 0
		.amdhsa_exception_fp_ieee_overflow 0
		.amdhsa_exception_fp_ieee_underflow 0
		.amdhsa_exception_fp_ieee_inexact 0
		.amdhsa_exception_int_div_zero 0
	.end_amdhsa_kernel
	.section	.text._ZN7rocprim17ROCPRIM_400000_NS6detail17trampoline_kernelINS0_14default_configENS1_32segmented_reduce_config_selectorIdEEZNS1_21segmented_reduce_implIS3_PKdPdPKidN6hipcub16HIPCUB_304000_NS6detail27convert_result_type_wrapperIS8_S9_N2at6native12_GLOBAL__N_19CustomSumEEEEE10hipError_tPvRmT0_T1_jT2_SQ_T4_T3_P12ihipStream_tbEUlT_E_NS1_11comp_targetILNS1_3genE8ELNS1_11target_archE1030ELNS1_3gpuE2ELNS1_3repE0EEENS1_30default_config_static_selectorELNS0_4arch9wavefront6targetE0EEEvSP_,"axG",@progbits,_ZN7rocprim17ROCPRIM_400000_NS6detail17trampoline_kernelINS0_14default_configENS1_32segmented_reduce_config_selectorIdEEZNS1_21segmented_reduce_implIS3_PKdPdPKidN6hipcub16HIPCUB_304000_NS6detail27convert_result_type_wrapperIS8_S9_N2at6native12_GLOBAL__N_19CustomSumEEEEE10hipError_tPvRmT0_T1_jT2_SQ_T4_T3_P12ihipStream_tbEUlT_E_NS1_11comp_targetILNS1_3genE8ELNS1_11target_archE1030ELNS1_3gpuE2ELNS1_3repE0EEENS1_30default_config_static_selectorELNS0_4arch9wavefront6targetE0EEEvSP_,comdat
.Lfunc_end24:
	.size	_ZN7rocprim17ROCPRIM_400000_NS6detail17trampoline_kernelINS0_14default_configENS1_32segmented_reduce_config_selectorIdEEZNS1_21segmented_reduce_implIS3_PKdPdPKidN6hipcub16HIPCUB_304000_NS6detail27convert_result_type_wrapperIS8_S9_N2at6native12_GLOBAL__N_19CustomSumEEEEE10hipError_tPvRmT0_T1_jT2_SQ_T4_T3_P12ihipStream_tbEUlT_E_NS1_11comp_targetILNS1_3genE8ELNS1_11target_archE1030ELNS1_3gpuE2ELNS1_3repE0EEENS1_30default_config_static_selectorELNS0_4arch9wavefront6targetE0EEEvSP_, .Lfunc_end24-_ZN7rocprim17ROCPRIM_400000_NS6detail17trampoline_kernelINS0_14default_configENS1_32segmented_reduce_config_selectorIdEEZNS1_21segmented_reduce_implIS3_PKdPdPKidN6hipcub16HIPCUB_304000_NS6detail27convert_result_type_wrapperIS8_S9_N2at6native12_GLOBAL__N_19CustomSumEEEEE10hipError_tPvRmT0_T1_jT2_SQ_T4_T3_P12ihipStream_tbEUlT_E_NS1_11comp_targetILNS1_3genE8ELNS1_11target_archE1030ELNS1_3gpuE2ELNS1_3repE0EEENS1_30default_config_static_selectorELNS0_4arch9wavefront6targetE0EEEvSP_
                                        ; -- End function
	.set _ZN7rocprim17ROCPRIM_400000_NS6detail17trampoline_kernelINS0_14default_configENS1_32segmented_reduce_config_selectorIdEEZNS1_21segmented_reduce_implIS3_PKdPdPKidN6hipcub16HIPCUB_304000_NS6detail27convert_result_type_wrapperIS8_S9_N2at6native12_GLOBAL__N_19CustomSumEEEEE10hipError_tPvRmT0_T1_jT2_SQ_T4_T3_P12ihipStream_tbEUlT_E_NS1_11comp_targetILNS1_3genE8ELNS1_11target_archE1030ELNS1_3gpuE2ELNS1_3repE0EEENS1_30default_config_static_selectorELNS0_4arch9wavefront6targetE0EEEvSP_.num_vgpr, 38
	.set _ZN7rocprim17ROCPRIM_400000_NS6detail17trampoline_kernelINS0_14default_configENS1_32segmented_reduce_config_selectorIdEEZNS1_21segmented_reduce_implIS3_PKdPdPKidN6hipcub16HIPCUB_304000_NS6detail27convert_result_type_wrapperIS8_S9_N2at6native12_GLOBAL__N_19CustomSumEEEEE10hipError_tPvRmT0_T1_jT2_SQ_T4_T3_P12ihipStream_tbEUlT_E_NS1_11comp_targetILNS1_3genE8ELNS1_11target_archE1030ELNS1_3gpuE2ELNS1_3repE0EEENS1_30default_config_static_selectorELNS0_4arch9wavefront6targetE0EEEvSP_.num_agpr, 0
	.set _ZN7rocprim17ROCPRIM_400000_NS6detail17trampoline_kernelINS0_14default_configENS1_32segmented_reduce_config_selectorIdEEZNS1_21segmented_reduce_implIS3_PKdPdPKidN6hipcub16HIPCUB_304000_NS6detail27convert_result_type_wrapperIS8_S9_N2at6native12_GLOBAL__N_19CustomSumEEEEE10hipError_tPvRmT0_T1_jT2_SQ_T4_T3_P12ihipStream_tbEUlT_E_NS1_11comp_targetILNS1_3genE8ELNS1_11target_archE1030ELNS1_3gpuE2ELNS1_3repE0EEENS1_30default_config_static_selectorELNS0_4arch9wavefront6targetE0EEEvSP_.numbered_sgpr, 31
	.set _ZN7rocprim17ROCPRIM_400000_NS6detail17trampoline_kernelINS0_14default_configENS1_32segmented_reduce_config_selectorIdEEZNS1_21segmented_reduce_implIS3_PKdPdPKidN6hipcub16HIPCUB_304000_NS6detail27convert_result_type_wrapperIS8_S9_N2at6native12_GLOBAL__N_19CustomSumEEEEE10hipError_tPvRmT0_T1_jT2_SQ_T4_T3_P12ihipStream_tbEUlT_E_NS1_11comp_targetILNS1_3genE8ELNS1_11target_archE1030ELNS1_3gpuE2ELNS1_3repE0EEENS1_30default_config_static_selectorELNS0_4arch9wavefront6targetE0EEEvSP_.num_named_barrier, 0
	.set _ZN7rocprim17ROCPRIM_400000_NS6detail17trampoline_kernelINS0_14default_configENS1_32segmented_reduce_config_selectorIdEEZNS1_21segmented_reduce_implIS3_PKdPdPKidN6hipcub16HIPCUB_304000_NS6detail27convert_result_type_wrapperIS8_S9_N2at6native12_GLOBAL__N_19CustomSumEEEEE10hipError_tPvRmT0_T1_jT2_SQ_T4_T3_P12ihipStream_tbEUlT_E_NS1_11comp_targetILNS1_3genE8ELNS1_11target_archE1030ELNS1_3gpuE2ELNS1_3repE0EEENS1_30default_config_static_selectorELNS0_4arch9wavefront6targetE0EEEvSP_.private_seg_size, 0
	.set _ZN7rocprim17ROCPRIM_400000_NS6detail17trampoline_kernelINS0_14default_configENS1_32segmented_reduce_config_selectorIdEEZNS1_21segmented_reduce_implIS3_PKdPdPKidN6hipcub16HIPCUB_304000_NS6detail27convert_result_type_wrapperIS8_S9_N2at6native12_GLOBAL__N_19CustomSumEEEEE10hipError_tPvRmT0_T1_jT2_SQ_T4_T3_P12ihipStream_tbEUlT_E_NS1_11comp_targetILNS1_3genE8ELNS1_11target_archE1030ELNS1_3gpuE2ELNS1_3repE0EEENS1_30default_config_static_selectorELNS0_4arch9wavefront6targetE0EEEvSP_.uses_vcc, 1
	.set _ZN7rocprim17ROCPRIM_400000_NS6detail17trampoline_kernelINS0_14default_configENS1_32segmented_reduce_config_selectorIdEEZNS1_21segmented_reduce_implIS3_PKdPdPKidN6hipcub16HIPCUB_304000_NS6detail27convert_result_type_wrapperIS8_S9_N2at6native12_GLOBAL__N_19CustomSumEEEEE10hipError_tPvRmT0_T1_jT2_SQ_T4_T3_P12ihipStream_tbEUlT_E_NS1_11comp_targetILNS1_3genE8ELNS1_11target_archE1030ELNS1_3gpuE2ELNS1_3repE0EEENS1_30default_config_static_selectorELNS0_4arch9wavefront6targetE0EEEvSP_.uses_flat_scratch, 0
	.set _ZN7rocprim17ROCPRIM_400000_NS6detail17trampoline_kernelINS0_14default_configENS1_32segmented_reduce_config_selectorIdEEZNS1_21segmented_reduce_implIS3_PKdPdPKidN6hipcub16HIPCUB_304000_NS6detail27convert_result_type_wrapperIS8_S9_N2at6native12_GLOBAL__N_19CustomSumEEEEE10hipError_tPvRmT0_T1_jT2_SQ_T4_T3_P12ihipStream_tbEUlT_E_NS1_11comp_targetILNS1_3genE8ELNS1_11target_archE1030ELNS1_3gpuE2ELNS1_3repE0EEENS1_30default_config_static_selectorELNS0_4arch9wavefront6targetE0EEEvSP_.has_dyn_sized_stack, 0
	.set _ZN7rocprim17ROCPRIM_400000_NS6detail17trampoline_kernelINS0_14default_configENS1_32segmented_reduce_config_selectorIdEEZNS1_21segmented_reduce_implIS3_PKdPdPKidN6hipcub16HIPCUB_304000_NS6detail27convert_result_type_wrapperIS8_S9_N2at6native12_GLOBAL__N_19CustomSumEEEEE10hipError_tPvRmT0_T1_jT2_SQ_T4_T3_P12ihipStream_tbEUlT_E_NS1_11comp_targetILNS1_3genE8ELNS1_11target_archE1030ELNS1_3gpuE2ELNS1_3repE0EEENS1_30default_config_static_selectorELNS0_4arch9wavefront6targetE0EEEvSP_.has_recursion, 0
	.set _ZN7rocprim17ROCPRIM_400000_NS6detail17trampoline_kernelINS0_14default_configENS1_32segmented_reduce_config_selectorIdEEZNS1_21segmented_reduce_implIS3_PKdPdPKidN6hipcub16HIPCUB_304000_NS6detail27convert_result_type_wrapperIS8_S9_N2at6native12_GLOBAL__N_19CustomSumEEEEE10hipError_tPvRmT0_T1_jT2_SQ_T4_T3_P12ihipStream_tbEUlT_E_NS1_11comp_targetILNS1_3genE8ELNS1_11target_archE1030ELNS1_3gpuE2ELNS1_3repE0EEENS1_30default_config_static_selectorELNS0_4arch9wavefront6targetE0EEEvSP_.has_indirect_call, 0
	.section	.AMDGPU.csdata,"",@progbits
; Kernel info:
; codeLenInByte = 4108
; TotalNumSgprs: 33
; NumVgprs: 38
; ScratchSize: 0
; MemoryBound: 0
; FloatMode: 240
; IeeeMode: 1
; LDSByteSize: 64 bytes/workgroup (compile time only)
; SGPRBlocks: 0
; VGPRBlocks: 4
; NumSGPRsForWavesPerEU: 33
; NumVGPRsForWavesPerEU: 38
; Occupancy: 16
; WaveLimiterHint : 1
; COMPUTE_PGM_RSRC2:SCRATCH_EN: 0
; COMPUTE_PGM_RSRC2:USER_SGPR: 6
; COMPUTE_PGM_RSRC2:TRAP_HANDLER: 0
; COMPUTE_PGM_RSRC2:TGID_X_EN: 1
; COMPUTE_PGM_RSRC2:TGID_Y_EN: 0
; COMPUTE_PGM_RSRC2:TGID_Z_EN: 0
; COMPUTE_PGM_RSRC2:TIDIG_COMP_CNT: 0
	.section	.text._ZN2at6native12_GLOBAL__N_119post_sum_div_kernelIdiEEvPT_PKT0_lbS3_,"axG",@progbits,_ZN2at6native12_GLOBAL__N_119post_sum_div_kernelIdiEEvPT_PKT0_lbS3_,comdat
	.globl	_ZN2at6native12_GLOBAL__N_119post_sum_div_kernelIdiEEvPT_PKT0_lbS3_ ; -- Begin function _ZN2at6native12_GLOBAL__N_119post_sum_div_kernelIdiEEvPT_PKT0_lbS3_
	.p2align	8
	.type	_ZN2at6native12_GLOBAL__N_119post_sum_div_kernelIdiEEvPT_PKT0_lbS3_,@function
_ZN2at6native12_GLOBAL__N_119post_sum_div_kernelIdiEEvPT_PKT0_lbS3_: ; @_ZN2at6native12_GLOBAL__N_119post_sum_div_kernelIdiEEvPT_PKT0_lbS3_
; %bb.0:
	s_clause 0x1
	s_load_dword s7, s[4:5], 0x34
	s_load_dwordx2 s[2:3], s[4:5], 0x10
	v_mov_b32_e32 v1, 0
	s_add_u32 s0, s4, 40
	s_addc_u32 s1, s5, 0
	s_waitcnt lgkmcnt(0)
	s_and_b32 s8, s7, 0xffff
	v_mad_u64_u32 v[2:3], null, s8, s6, v[0:1]
	s_mov_b32 s6, exec_lo
	v_cmpx_gt_i64_e64 s[2:3], v[2:3]
	s_cbranch_execz .LBB25_12
; %bb.1:
	s_load_dword s9, s[4:5], 0x18
	s_load_dword s0, s[0:1], 0x0
	s_clause 0x1
	s_load_dwordx2 s[12:13], s[4:5], 0x20
	s_load_dwordx4 s[4:7], s[4:5], 0x0
	v_mov_b32_e32 v0, v1
	v_mov_b32_e32 v1, v2
	s_mov_b32 s1, 0
                                        ; implicit-def: $sgpr11
                                        ; implicit-def: $sgpr14
	s_waitcnt lgkmcnt(0)
	s_bitcmp1_b32 s9, 0
	s_mul_i32 s10, s0, s8
	s_cselect_b32 s9, s13, 0x7ff80000
	s_cselect_b32 s8, s12, 0
	s_mov_b32 s12, s10
                                        ; implicit-def: $sgpr13
.LBB25_2:                               ; =>This Inner Loop Header: Depth=1
	v_ashrrev_i64 v[4:5], 30, v[0:1]
	s_or_b32 s13, s13, exec_lo
	s_or_b32 s14, s14, exec_lo
	s_mov_b32 s15, exec_lo
	v_add_co_u32 v4, vcc_lo, s6, v4
	v_add_co_ci_u32_e64 v5, null, s7, v5, vcc_lo
	global_load_dword v10, v[4:5], off
	s_waitcnt vmcnt(0)
	v_cmpx_lt_i32_e32 -1, v10
	s_cbranch_execz .LBB25_10
; %bb.3:                                ;   in Loop: Header=BB25_2 Depth=1
	v_ashrrev_i32_e32 v5, 31, v1
	v_mov_b32_e32 v4, v1
	v_mov_b32_e32 v6, s8
	;; [unrolled: 1-line block ×3, first 2 shown]
	s_mov_b32 s16, -1
	v_lshlrev_b64 v[4:5], 3, v[4:5]
	v_add_co_u32 v4, s0, s4, v4
	v_add_co_ci_u32_e64 v5, null, s5, v5, s0
	s_mov_b32 s0, exec_lo
	v_cmpx_ne_u32_e32 0, v10
	s_cbranch_execz .LBB25_7
; %bb.4:                                ;   in Loop: Header=BB25_2 Depth=1
	global_load_dwordx2 v[8:9], v[4:5], off
	s_mov_b32 s16, 0
	s_mov_b32 s17, exec_lo
                                        ; implicit-def: $vgpr6_vgpr7
	s_waitcnt vmcnt(0)
	v_cmpx_o_f64_e32 v[8:9], v[8:9]
	s_cbranch_execz .LBB25_6
; %bb.5:                                ;   in Loop: Header=BB25_2 Depth=1
	v_cvt_f64_u32_e32 v[6:7], v10
	s_mov_b32 s16, exec_lo
	v_div_scale_f64 v[10:11], null, v[6:7], v[6:7], v[8:9]
	v_rcp_f64_e32 v[12:13], v[10:11]
	v_fma_f64 v[14:15], -v[10:11], v[12:13], 1.0
	v_fma_f64 v[12:13], v[12:13], v[14:15], v[12:13]
	v_fma_f64 v[14:15], -v[10:11], v[12:13], 1.0
	v_fma_f64 v[12:13], v[12:13], v[14:15], v[12:13]
	v_div_scale_f64 v[14:15], vcc_lo, v[8:9], v[6:7], v[8:9]
	v_mul_f64 v[16:17], v[14:15], v[12:13]
	v_fma_f64 v[10:11], -v[10:11], v[16:17], v[14:15]
	v_div_fmas_f64 v[10:11], v[10:11], v[12:13], v[16:17]
	v_div_fixup_f64 v[6:7], v[10:11], v[6:7], v[8:9]
.LBB25_6:                               ;   in Loop: Header=BB25_2 Depth=1
	s_or_b32 exec_lo, exec_lo, s17
	s_orn2_b32 s16, s16, exec_lo
.LBB25_7:                               ;   in Loop: Header=BB25_2 Depth=1
	s_or_b32 exec_lo, exec_lo, s0
	s_and_saveexec_b32 s0, s16
	s_cbranch_execz .LBB25_9
; %bb.8:                                ;   in Loop: Header=BB25_2 Depth=1
	global_store_dwordx2 v[4:5], v[6:7], off
.LBB25_9:                               ;   in Loop: Header=BB25_2 Depth=1
	s_or_b32 exec_lo, exec_lo, s0
	v_add_co_u32 v2, vcc_lo, v2, s10
	v_add_co_ci_u32_e64 v3, null, 0, v3, vcc_lo
	v_add_co_u32 v0, s0, v0, 0
	v_add_co_ci_u32_e64 v1, null, s12, v1, s0
	v_cmp_le_i64_e32 vcc_lo, s[2:3], v[2:3]
	s_andn2_b32 s0, s14, exec_lo
	s_andn2_b32 s13, s13, exec_lo
	s_and_b32 s14, vcc_lo, exec_lo
	s_or_b32 s14, s0, s14
.LBB25_10:                              ;   in Loop: Header=BB25_2 Depth=1
	s_or_b32 exec_lo, exec_lo, s15
	s_and_b32 s0, exec_lo, s14
	s_or_b32 s1, s0, s1
	s_andn2_b32 s0, s11, exec_lo
	s_and_b32 s11, s13, exec_lo
	s_or_b32 s11, s0, s11
	s_andn2_b32 exec_lo, exec_lo, s1
	s_cbranch_execnz .LBB25_2
; %bb.11:
	s_or_b32 exec_lo, exec_lo, s1
	s_and_saveexec_b32 s0, s11
	s_xor_b32 s0, exec_lo, s0
	s_cbranch_execnz .LBB25_13
.LBB25_12:
	s_endpgm
.LBB25_13:
	s_trap 2
	; divergent unreachable
	s_endpgm
	.section	.rodata,"a",@progbits
	.p2align	6, 0x0
	.amdhsa_kernel _ZN2at6native12_GLOBAL__N_119post_sum_div_kernelIdiEEvPT_PKT0_lbS3_
		.amdhsa_group_segment_fixed_size 0
		.amdhsa_private_segment_fixed_size 0
		.amdhsa_kernarg_size 296
		.amdhsa_user_sgpr_count 6
		.amdhsa_user_sgpr_private_segment_buffer 1
		.amdhsa_user_sgpr_dispatch_ptr 0
		.amdhsa_user_sgpr_queue_ptr 0
		.amdhsa_user_sgpr_kernarg_segment_ptr 1
		.amdhsa_user_sgpr_dispatch_id 0
		.amdhsa_user_sgpr_flat_scratch_init 0
		.amdhsa_user_sgpr_private_segment_size 0
		.amdhsa_wavefront_size32 1
		.amdhsa_uses_dynamic_stack 0
		.amdhsa_system_sgpr_private_segment_wavefront_offset 0
		.amdhsa_system_sgpr_workgroup_id_x 1
		.amdhsa_system_sgpr_workgroup_id_y 0
		.amdhsa_system_sgpr_workgroup_id_z 0
		.amdhsa_system_sgpr_workgroup_info 0
		.amdhsa_system_vgpr_workitem_id 0
		.amdhsa_next_free_vgpr 18
		.amdhsa_next_free_sgpr 18
		.amdhsa_reserve_vcc 1
		.amdhsa_reserve_flat_scratch 0
		.amdhsa_float_round_mode_32 0
		.amdhsa_float_round_mode_16_64 0
		.amdhsa_float_denorm_mode_32 3
		.amdhsa_float_denorm_mode_16_64 3
		.amdhsa_dx10_clamp 1
		.amdhsa_ieee_mode 1
		.amdhsa_fp16_overflow 0
		.amdhsa_workgroup_processor_mode 1
		.amdhsa_memory_ordered 1
		.amdhsa_forward_progress 1
		.amdhsa_shared_vgpr_count 0
		.amdhsa_exception_fp_ieee_invalid_op 0
		.amdhsa_exception_fp_denorm_src 0
		.amdhsa_exception_fp_ieee_div_zero 0
		.amdhsa_exception_fp_ieee_overflow 0
		.amdhsa_exception_fp_ieee_underflow 0
		.amdhsa_exception_fp_ieee_inexact 0
		.amdhsa_exception_int_div_zero 0
	.end_amdhsa_kernel
	.section	.text._ZN2at6native12_GLOBAL__N_119post_sum_div_kernelIdiEEvPT_PKT0_lbS3_,"axG",@progbits,_ZN2at6native12_GLOBAL__N_119post_sum_div_kernelIdiEEvPT_PKT0_lbS3_,comdat
.Lfunc_end25:
	.size	_ZN2at6native12_GLOBAL__N_119post_sum_div_kernelIdiEEvPT_PKT0_lbS3_, .Lfunc_end25-_ZN2at6native12_GLOBAL__N_119post_sum_div_kernelIdiEEvPT_PKT0_lbS3_
                                        ; -- End function
	.set _ZN2at6native12_GLOBAL__N_119post_sum_div_kernelIdiEEvPT_PKT0_lbS3_.num_vgpr, 18
	.set _ZN2at6native12_GLOBAL__N_119post_sum_div_kernelIdiEEvPT_PKT0_lbS3_.num_agpr, 0
	.set _ZN2at6native12_GLOBAL__N_119post_sum_div_kernelIdiEEvPT_PKT0_lbS3_.numbered_sgpr, 18
	.set _ZN2at6native12_GLOBAL__N_119post_sum_div_kernelIdiEEvPT_PKT0_lbS3_.num_named_barrier, 0
	.set _ZN2at6native12_GLOBAL__N_119post_sum_div_kernelIdiEEvPT_PKT0_lbS3_.private_seg_size, 0
	.set _ZN2at6native12_GLOBAL__N_119post_sum_div_kernelIdiEEvPT_PKT0_lbS3_.uses_vcc, 1
	.set _ZN2at6native12_GLOBAL__N_119post_sum_div_kernelIdiEEvPT_PKT0_lbS3_.uses_flat_scratch, 0
	.set _ZN2at6native12_GLOBAL__N_119post_sum_div_kernelIdiEEvPT_PKT0_lbS3_.has_dyn_sized_stack, 0
	.set _ZN2at6native12_GLOBAL__N_119post_sum_div_kernelIdiEEvPT_PKT0_lbS3_.has_recursion, 0
	.set _ZN2at6native12_GLOBAL__N_119post_sum_div_kernelIdiEEvPT_PKT0_lbS3_.has_indirect_call, 0
	.section	.AMDGPU.csdata,"",@progbits
; Kernel info:
; codeLenInByte = 520
; TotalNumSgprs: 20
; NumVgprs: 18
; ScratchSize: 0
; MemoryBound: 0
; FloatMode: 240
; IeeeMode: 1
; LDSByteSize: 0 bytes/workgroup (compile time only)
; SGPRBlocks: 0
; VGPRBlocks: 2
; NumSGPRsForWavesPerEU: 20
; NumVGPRsForWavesPerEU: 18
; Occupancy: 16
; WaveLimiterHint : 0
; COMPUTE_PGM_RSRC2:SCRATCH_EN: 0
; COMPUTE_PGM_RSRC2:USER_SGPR: 6
; COMPUTE_PGM_RSRC2:TRAP_HANDLER: 0
; COMPUTE_PGM_RSRC2:TGID_X_EN: 1
; COMPUTE_PGM_RSRC2:TGID_Y_EN: 0
; COMPUTE_PGM_RSRC2:TGID_Z_EN: 0
; COMPUTE_PGM_RSRC2:TIDIG_COMP_CNT: 0
	.section	.text._ZN7rocprim17ROCPRIM_400000_NS6detail17trampoline_kernelINS0_14default_configENS1_32segmented_reduce_config_selectorIdEEZNS1_21segmented_reduce_implIS3_PKdPdPKidN6hipcub16HIPCUB_304000_NS6detail27convert_result_type_wrapperIS8_S9_N2at6native12_GLOBAL__N_19CustomMinEEEEE10hipError_tPvRmT0_T1_jT2_SQ_T4_T3_P12ihipStream_tbEUlT_E_NS1_11comp_targetILNS1_3genE0ELNS1_11target_archE4294967295ELNS1_3gpuE0ELNS1_3repE0EEENS1_30default_config_static_selectorELNS0_4arch9wavefront6targetE0EEEvSP_,"axG",@progbits,_ZN7rocprim17ROCPRIM_400000_NS6detail17trampoline_kernelINS0_14default_configENS1_32segmented_reduce_config_selectorIdEEZNS1_21segmented_reduce_implIS3_PKdPdPKidN6hipcub16HIPCUB_304000_NS6detail27convert_result_type_wrapperIS8_S9_N2at6native12_GLOBAL__N_19CustomMinEEEEE10hipError_tPvRmT0_T1_jT2_SQ_T4_T3_P12ihipStream_tbEUlT_E_NS1_11comp_targetILNS1_3genE0ELNS1_11target_archE4294967295ELNS1_3gpuE0ELNS1_3repE0EEENS1_30default_config_static_selectorELNS0_4arch9wavefront6targetE0EEEvSP_,comdat
	.globl	_ZN7rocprim17ROCPRIM_400000_NS6detail17trampoline_kernelINS0_14default_configENS1_32segmented_reduce_config_selectorIdEEZNS1_21segmented_reduce_implIS3_PKdPdPKidN6hipcub16HIPCUB_304000_NS6detail27convert_result_type_wrapperIS8_S9_N2at6native12_GLOBAL__N_19CustomMinEEEEE10hipError_tPvRmT0_T1_jT2_SQ_T4_T3_P12ihipStream_tbEUlT_E_NS1_11comp_targetILNS1_3genE0ELNS1_11target_archE4294967295ELNS1_3gpuE0ELNS1_3repE0EEENS1_30default_config_static_selectorELNS0_4arch9wavefront6targetE0EEEvSP_ ; -- Begin function _ZN7rocprim17ROCPRIM_400000_NS6detail17trampoline_kernelINS0_14default_configENS1_32segmented_reduce_config_selectorIdEEZNS1_21segmented_reduce_implIS3_PKdPdPKidN6hipcub16HIPCUB_304000_NS6detail27convert_result_type_wrapperIS8_S9_N2at6native12_GLOBAL__N_19CustomMinEEEEE10hipError_tPvRmT0_T1_jT2_SQ_T4_T3_P12ihipStream_tbEUlT_E_NS1_11comp_targetILNS1_3genE0ELNS1_11target_archE4294967295ELNS1_3gpuE0ELNS1_3repE0EEENS1_30default_config_static_selectorELNS0_4arch9wavefront6targetE0EEEvSP_
	.p2align	8
	.type	_ZN7rocprim17ROCPRIM_400000_NS6detail17trampoline_kernelINS0_14default_configENS1_32segmented_reduce_config_selectorIdEEZNS1_21segmented_reduce_implIS3_PKdPdPKidN6hipcub16HIPCUB_304000_NS6detail27convert_result_type_wrapperIS8_S9_N2at6native12_GLOBAL__N_19CustomMinEEEEE10hipError_tPvRmT0_T1_jT2_SQ_T4_T3_P12ihipStream_tbEUlT_E_NS1_11comp_targetILNS1_3genE0ELNS1_11target_archE4294967295ELNS1_3gpuE0ELNS1_3repE0EEENS1_30default_config_static_selectorELNS0_4arch9wavefront6targetE0EEEvSP_,@function
_ZN7rocprim17ROCPRIM_400000_NS6detail17trampoline_kernelINS0_14default_configENS1_32segmented_reduce_config_selectorIdEEZNS1_21segmented_reduce_implIS3_PKdPdPKidN6hipcub16HIPCUB_304000_NS6detail27convert_result_type_wrapperIS8_S9_N2at6native12_GLOBAL__N_19CustomMinEEEEE10hipError_tPvRmT0_T1_jT2_SQ_T4_T3_P12ihipStream_tbEUlT_E_NS1_11comp_targetILNS1_3genE0ELNS1_11target_archE4294967295ELNS1_3gpuE0ELNS1_3repE0EEENS1_30default_config_static_selectorELNS0_4arch9wavefront6targetE0EEEvSP_: ; @_ZN7rocprim17ROCPRIM_400000_NS6detail17trampoline_kernelINS0_14default_configENS1_32segmented_reduce_config_selectorIdEEZNS1_21segmented_reduce_implIS3_PKdPdPKidN6hipcub16HIPCUB_304000_NS6detail27convert_result_type_wrapperIS8_S9_N2at6native12_GLOBAL__N_19CustomMinEEEEE10hipError_tPvRmT0_T1_jT2_SQ_T4_T3_P12ihipStream_tbEUlT_E_NS1_11comp_targetILNS1_3genE0ELNS1_11target_archE4294967295ELNS1_3gpuE0ELNS1_3repE0EEENS1_30default_config_static_selectorELNS0_4arch9wavefront6targetE0EEEvSP_
; %bb.0:
	.section	.rodata,"a",@progbits
	.p2align	6, 0x0
	.amdhsa_kernel _ZN7rocprim17ROCPRIM_400000_NS6detail17trampoline_kernelINS0_14default_configENS1_32segmented_reduce_config_selectorIdEEZNS1_21segmented_reduce_implIS3_PKdPdPKidN6hipcub16HIPCUB_304000_NS6detail27convert_result_type_wrapperIS8_S9_N2at6native12_GLOBAL__N_19CustomMinEEEEE10hipError_tPvRmT0_T1_jT2_SQ_T4_T3_P12ihipStream_tbEUlT_E_NS1_11comp_targetILNS1_3genE0ELNS1_11target_archE4294967295ELNS1_3gpuE0ELNS1_3repE0EEENS1_30default_config_static_selectorELNS0_4arch9wavefront6targetE0EEEvSP_
		.amdhsa_group_segment_fixed_size 0
		.amdhsa_private_segment_fixed_size 0
		.amdhsa_kernarg_size 56
		.amdhsa_user_sgpr_count 6
		.amdhsa_user_sgpr_private_segment_buffer 1
		.amdhsa_user_sgpr_dispatch_ptr 0
		.amdhsa_user_sgpr_queue_ptr 0
		.amdhsa_user_sgpr_kernarg_segment_ptr 1
		.amdhsa_user_sgpr_dispatch_id 0
		.amdhsa_user_sgpr_flat_scratch_init 0
		.amdhsa_user_sgpr_private_segment_size 0
		.amdhsa_wavefront_size32 1
		.amdhsa_uses_dynamic_stack 0
		.amdhsa_system_sgpr_private_segment_wavefront_offset 0
		.amdhsa_system_sgpr_workgroup_id_x 1
		.amdhsa_system_sgpr_workgroup_id_y 0
		.amdhsa_system_sgpr_workgroup_id_z 0
		.amdhsa_system_sgpr_workgroup_info 0
		.amdhsa_system_vgpr_workitem_id 0
		.amdhsa_next_free_vgpr 1
		.amdhsa_next_free_sgpr 1
		.amdhsa_reserve_vcc 0
		.amdhsa_reserve_flat_scratch 0
		.amdhsa_float_round_mode_32 0
		.amdhsa_float_round_mode_16_64 0
		.amdhsa_float_denorm_mode_32 3
		.amdhsa_float_denorm_mode_16_64 3
		.amdhsa_dx10_clamp 1
		.amdhsa_ieee_mode 1
		.amdhsa_fp16_overflow 0
		.amdhsa_workgroup_processor_mode 1
		.amdhsa_memory_ordered 1
		.amdhsa_forward_progress 1
		.amdhsa_shared_vgpr_count 0
		.amdhsa_exception_fp_ieee_invalid_op 0
		.amdhsa_exception_fp_denorm_src 0
		.amdhsa_exception_fp_ieee_div_zero 0
		.amdhsa_exception_fp_ieee_overflow 0
		.amdhsa_exception_fp_ieee_underflow 0
		.amdhsa_exception_fp_ieee_inexact 0
		.amdhsa_exception_int_div_zero 0
	.end_amdhsa_kernel
	.section	.text._ZN7rocprim17ROCPRIM_400000_NS6detail17trampoline_kernelINS0_14default_configENS1_32segmented_reduce_config_selectorIdEEZNS1_21segmented_reduce_implIS3_PKdPdPKidN6hipcub16HIPCUB_304000_NS6detail27convert_result_type_wrapperIS8_S9_N2at6native12_GLOBAL__N_19CustomMinEEEEE10hipError_tPvRmT0_T1_jT2_SQ_T4_T3_P12ihipStream_tbEUlT_E_NS1_11comp_targetILNS1_3genE0ELNS1_11target_archE4294967295ELNS1_3gpuE0ELNS1_3repE0EEENS1_30default_config_static_selectorELNS0_4arch9wavefront6targetE0EEEvSP_,"axG",@progbits,_ZN7rocprim17ROCPRIM_400000_NS6detail17trampoline_kernelINS0_14default_configENS1_32segmented_reduce_config_selectorIdEEZNS1_21segmented_reduce_implIS3_PKdPdPKidN6hipcub16HIPCUB_304000_NS6detail27convert_result_type_wrapperIS8_S9_N2at6native12_GLOBAL__N_19CustomMinEEEEE10hipError_tPvRmT0_T1_jT2_SQ_T4_T3_P12ihipStream_tbEUlT_E_NS1_11comp_targetILNS1_3genE0ELNS1_11target_archE4294967295ELNS1_3gpuE0ELNS1_3repE0EEENS1_30default_config_static_selectorELNS0_4arch9wavefront6targetE0EEEvSP_,comdat
.Lfunc_end26:
	.size	_ZN7rocprim17ROCPRIM_400000_NS6detail17trampoline_kernelINS0_14default_configENS1_32segmented_reduce_config_selectorIdEEZNS1_21segmented_reduce_implIS3_PKdPdPKidN6hipcub16HIPCUB_304000_NS6detail27convert_result_type_wrapperIS8_S9_N2at6native12_GLOBAL__N_19CustomMinEEEEE10hipError_tPvRmT0_T1_jT2_SQ_T4_T3_P12ihipStream_tbEUlT_E_NS1_11comp_targetILNS1_3genE0ELNS1_11target_archE4294967295ELNS1_3gpuE0ELNS1_3repE0EEENS1_30default_config_static_selectorELNS0_4arch9wavefront6targetE0EEEvSP_, .Lfunc_end26-_ZN7rocprim17ROCPRIM_400000_NS6detail17trampoline_kernelINS0_14default_configENS1_32segmented_reduce_config_selectorIdEEZNS1_21segmented_reduce_implIS3_PKdPdPKidN6hipcub16HIPCUB_304000_NS6detail27convert_result_type_wrapperIS8_S9_N2at6native12_GLOBAL__N_19CustomMinEEEEE10hipError_tPvRmT0_T1_jT2_SQ_T4_T3_P12ihipStream_tbEUlT_E_NS1_11comp_targetILNS1_3genE0ELNS1_11target_archE4294967295ELNS1_3gpuE0ELNS1_3repE0EEENS1_30default_config_static_selectorELNS0_4arch9wavefront6targetE0EEEvSP_
                                        ; -- End function
	.set _ZN7rocprim17ROCPRIM_400000_NS6detail17trampoline_kernelINS0_14default_configENS1_32segmented_reduce_config_selectorIdEEZNS1_21segmented_reduce_implIS3_PKdPdPKidN6hipcub16HIPCUB_304000_NS6detail27convert_result_type_wrapperIS8_S9_N2at6native12_GLOBAL__N_19CustomMinEEEEE10hipError_tPvRmT0_T1_jT2_SQ_T4_T3_P12ihipStream_tbEUlT_E_NS1_11comp_targetILNS1_3genE0ELNS1_11target_archE4294967295ELNS1_3gpuE0ELNS1_3repE0EEENS1_30default_config_static_selectorELNS0_4arch9wavefront6targetE0EEEvSP_.num_vgpr, 0
	.set _ZN7rocprim17ROCPRIM_400000_NS6detail17trampoline_kernelINS0_14default_configENS1_32segmented_reduce_config_selectorIdEEZNS1_21segmented_reduce_implIS3_PKdPdPKidN6hipcub16HIPCUB_304000_NS6detail27convert_result_type_wrapperIS8_S9_N2at6native12_GLOBAL__N_19CustomMinEEEEE10hipError_tPvRmT0_T1_jT2_SQ_T4_T3_P12ihipStream_tbEUlT_E_NS1_11comp_targetILNS1_3genE0ELNS1_11target_archE4294967295ELNS1_3gpuE0ELNS1_3repE0EEENS1_30default_config_static_selectorELNS0_4arch9wavefront6targetE0EEEvSP_.num_agpr, 0
	.set _ZN7rocprim17ROCPRIM_400000_NS6detail17trampoline_kernelINS0_14default_configENS1_32segmented_reduce_config_selectorIdEEZNS1_21segmented_reduce_implIS3_PKdPdPKidN6hipcub16HIPCUB_304000_NS6detail27convert_result_type_wrapperIS8_S9_N2at6native12_GLOBAL__N_19CustomMinEEEEE10hipError_tPvRmT0_T1_jT2_SQ_T4_T3_P12ihipStream_tbEUlT_E_NS1_11comp_targetILNS1_3genE0ELNS1_11target_archE4294967295ELNS1_3gpuE0ELNS1_3repE0EEENS1_30default_config_static_selectorELNS0_4arch9wavefront6targetE0EEEvSP_.numbered_sgpr, 0
	.set _ZN7rocprim17ROCPRIM_400000_NS6detail17trampoline_kernelINS0_14default_configENS1_32segmented_reduce_config_selectorIdEEZNS1_21segmented_reduce_implIS3_PKdPdPKidN6hipcub16HIPCUB_304000_NS6detail27convert_result_type_wrapperIS8_S9_N2at6native12_GLOBAL__N_19CustomMinEEEEE10hipError_tPvRmT0_T1_jT2_SQ_T4_T3_P12ihipStream_tbEUlT_E_NS1_11comp_targetILNS1_3genE0ELNS1_11target_archE4294967295ELNS1_3gpuE0ELNS1_3repE0EEENS1_30default_config_static_selectorELNS0_4arch9wavefront6targetE0EEEvSP_.num_named_barrier, 0
	.set _ZN7rocprim17ROCPRIM_400000_NS6detail17trampoline_kernelINS0_14default_configENS1_32segmented_reduce_config_selectorIdEEZNS1_21segmented_reduce_implIS3_PKdPdPKidN6hipcub16HIPCUB_304000_NS6detail27convert_result_type_wrapperIS8_S9_N2at6native12_GLOBAL__N_19CustomMinEEEEE10hipError_tPvRmT0_T1_jT2_SQ_T4_T3_P12ihipStream_tbEUlT_E_NS1_11comp_targetILNS1_3genE0ELNS1_11target_archE4294967295ELNS1_3gpuE0ELNS1_3repE0EEENS1_30default_config_static_selectorELNS0_4arch9wavefront6targetE0EEEvSP_.private_seg_size, 0
	.set _ZN7rocprim17ROCPRIM_400000_NS6detail17trampoline_kernelINS0_14default_configENS1_32segmented_reduce_config_selectorIdEEZNS1_21segmented_reduce_implIS3_PKdPdPKidN6hipcub16HIPCUB_304000_NS6detail27convert_result_type_wrapperIS8_S9_N2at6native12_GLOBAL__N_19CustomMinEEEEE10hipError_tPvRmT0_T1_jT2_SQ_T4_T3_P12ihipStream_tbEUlT_E_NS1_11comp_targetILNS1_3genE0ELNS1_11target_archE4294967295ELNS1_3gpuE0ELNS1_3repE0EEENS1_30default_config_static_selectorELNS0_4arch9wavefront6targetE0EEEvSP_.uses_vcc, 0
	.set _ZN7rocprim17ROCPRIM_400000_NS6detail17trampoline_kernelINS0_14default_configENS1_32segmented_reduce_config_selectorIdEEZNS1_21segmented_reduce_implIS3_PKdPdPKidN6hipcub16HIPCUB_304000_NS6detail27convert_result_type_wrapperIS8_S9_N2at6native12_GLOBAL__N_19CustomMinEEEEE10hipError_tPvRmT0_T1_jT2_SQ_T4_T3_P12ihipStream_tbEUlT_E_NS1_11comp_targetILNS1_3genE0ELNS1_11target_archE4294967295ELNS1_3gpuE0ELNS1_3repE0EEENS1_30default_config_static_selectorELNS0_4arch9wavefront6targetE0EEEvSP_.uses_flat_scratch, 0
	.set _ZN7rocprim17ROCPRIM_400000_NS6detail17trampoline_kernelINS0_14default_configENS1_32segmented_reduce_config_selectorIdEEZNS1_21segmented_reduce_implIS3_PKdPdPKidN6hipcub16HIPCUB_304000_NS6detail27convert_result_type_wrapperIS8_S9_N2at6native12_GLOBAL__N_19CustomMinEEEEE10hipError_tPvRmT0_T1_jT2_SQ_T4_T3_P12ihipStream_tbEUlT_E_NS1_11comp_targetILNS1_3genE0ELNS1_11target_archE4294967295ELNS1_3gpuE0ELNS1_3repE0EEENS1_30default_config_static_selectorELNS0_4arch9wavefront6targetE0EEEvSP_.has_dyn_sized_stack, 0
	.set _ZN7rocprim17ROCPRIM_400000_NS6detail17trampoline_kernelINS0_14default_configENS1_32segmented_reduce_config_selectorIdEEZNS1_21segmented_reduce_implIS3_PKdPdPKidN6hipcub16HIPCUB_304000_NS6detail27convert_result_type_wrapperIS8_S9_N2at6native12_GLOBAL__N_19CustomMinEEEEE10hipError_tPvRmT0_T1_jT2_SQ_T4_T3_P12ihipStream_tbEUlT_E_NS1_11comp_targetILNS1_3genE0ELNS1_11target_archE4294967295ELNS1_3gpuE0ELNS1_3repE0EEENS1_30default_config_static_selectorELNS0_4arch9wavefront6targetE0EEEvSP_.has_recursion, 0
	.set _ZN7rocprim17ROCPRIM_400000_NS6detail17trampoline_kernelINS0_14default_configENS1_32segmented_reduce_config_selectorIdEEZNS1_21segmented_reduce_implIS3_PKdPdPKidN6hipcub16HIPCUB_304000_NS6detail27convert_result_type_wrapperIS8_S9_N2at6native12_GLOBAL__N_19CustomMinEEEEE10hipError_tPvRmT0_T1_jT2_SQ_T4_T3_P12ihipStream_tbEUlT_E_NS1_11comp_targetILNS1_3genE0ELNS1_11target_archE4294967295ELNS1_3gpuE0ELNS1_3repE0EEENS1_30default_config_static_selectorELNS0_4arch9wavefront6targetE0EEEvSP_.has_indirect_call, 0
	.section	.AMDGPU.csdata,"",@progbits
; Kernel info:
; codeLenInByte = 0
; TotalNumSgprs: 0
; NumVgprs: 0
; ScratchSize: 0
; MemoryBound: 0
; FloatMode: 240
; IeeeMode: 1
; LDSByteSize: 0 bytes/workgroup (compile time only)
; SGPRBlocks: 0
; VGPRBlocks: 0
; NumSGPRsForWavesPerEU: 1
; NumVGPRsForWavesPerEU: 1
; Occupancy: 16
; WaveLimiterHint : 0
; COMPUTE_PGM_RSRC2:SCRATCH_EN: 0
; COMPUTE_PGM_RSRC2:USER_SGPR: 6
; COMPUTE_PGM_RSRC2:TRAP_HANDLER: 0
; COMPUTE_PGM_RSRC2:TGID_X_EN: 1
; COMPUTE_PGM_RSRC2:TGID_Y_EN: 0
; COMPUTE_PGM_RSRC2:TGID_Z_EN: 0
; COMPUTE_PGM_RSRC2:TIDIG_COMP_CNT: 0
	.section	.text._ZN7rocprim17ROCPRIM_400000_NS6detail17trampoline_kernelINS0_14default_configENS1_32segmented_reduce_config_selectorIdEEZNS1_21segmented_reduce_implIS3_PKdPdPKidN6hipcub16HIPCUB_304000_NS6detail27convert_result_type_wrapperIS8_S9_N2at6native12_GLOBAL__N_19CustomMinEEEEE10hipError_tPvRmT0_T1_jT2_SQ_T4_T3_P12ihipStream_tbEUlT_E_NS1_11comp_targetILNS1_3genE5ELNS1_11target_archE942ELNS1_3gpuE9ELNS1_3repE0EEENS1_30default_config_static_selectorELNS0_4arch9wavefront6targetE0EEEvSP_,"axG",@progbits,_ZN7rocprim17ROCPRIM_400000_NS6detail17trampoline_kernelINS0_14default_configENS1_32segmented_reduce_config_selectorIdEEZNS1_21segmented_reduce_implIS3_PKdPdPKidN6hipcub16HIPCUB_304000_NS6detail27convert_result_type_wrapperIS8_S9_N2at6native12_GLOBAL__N_19CustomMinEEEEE10hipError_tPvRmT0_T1_jT2_SQ_T4_T3_P12ihipStream_tbEUlT_E_NS1_11comp_targetILNS1_3genE5ELNS1_11target_archE942ELNS1_3gpuE9ELNS1_3repE0EEENS1_30default_config_static_selectorELNS0_4arch9wavefront6targetE0EEEvSP_,comdat
	.globl	_ZN7rocprim17ROCPRIM_400000_NS6detail17trampoline_kernelINS0_14default_configENS1_32segmented_reduce_config_selectorIdEEZNS1_21segmented_reduce_implIS3_PKdPdPKidN6hipcub16HIPCUB_304000_NS6detail27convert_result_type_wrapperIS8_S9_N2at6native12_GLOBAL__N_19CustomMinEEEEE10hipError_tPvRmT0_T1_jT2_SQ_T4_T3_P12ihipStream_tbEUlT_E_NS1_11comp_targetILNS1_3genE5ELNS1_11target_archE942ELNS1_3gpuE9ELNS1_3repE0EEENS1_30default_config_static_selectorELNS0_4arch9wavefront6targetE0EEEvSP_ ; -- Begin function _ZN7rocprim17ROCPRIM_400000_NS6detail17trampoline_kernelINS0_14default_configENS1_32segmented_reduce_config_selectorIdEEZNS1_21segmented_reduce_implIS3_PKdPdPKidN6hipcub16HIPCUB_304000_NS6detail27convert_result_type_wrapperIS8_S9_N2at6native12_GLOBAL__N_19CustomMinEEEEE10hipError_tPvRmT0_T1_jT2_SQ_T4_T3_P12ihipStream_tbEUlT_E_NS1_11comp_targetILNS1_3genE5ELNS1_11target_archE942ELNS1_3gpuE9ELNS1_3repE0EEENS1_30default_config_static_selectorELNS0_4arch9wavefront6targetE0EEEvSP_
	.p2align	8
	.type	_ZN7rocprim17ROCPRIM_400000_NS6detail17trampoline_kernelINS0_14default_configENS1_32segmented_reduce_config_selectorIdEEZNS1_21segmented_reduce_implIS3_PKdPdPKidN6hipcub16HIPCUB_304000_NS6detail27convert_result_type_wrapperIS8_S9_N2at6native12_GLOBAL__N_19CustomMinEEEEE10hipError_tPvRmT0_T1_jT2_SQ_T4_T3_P12ihipStream_tbEUlT_E_NS1_11comp_targetILNS1_3genE5ELNS1_11target_archE942ELNS1_3gpuE9ELNS1_3repE0EEENS1_30default_config_static_selectorELNS0_4arch9wavefront6targetE0EEEvSP_,@function
_ZN7rocprim17ROCPRIM_400000_NS6detail17trampoline_kernelINS0_14default_configENS1_32segmented_reduce_config_selectorIdEEZNS1_21segmented_reduce_implIS3_PKdPdPKidN6hipcub16HIPCUB_304000_NS6detail27convert_result_type_wrapperIS8_S9_N2at6native12_GLOBAL__N_19CustomMinEEEEE10hipError_tPvRmT0_T1_jT2_SQ_T4_T3_P12ihipStream_tbEUlT_E_NS1_11comp_targetILNS1_3genE5ELNS1_11target_archE942ELNS1_3gpuE9ELNS1_3repE0EEENS1_30default_config_static_selectorELNS0_4arch9wavefront6targetE0EEEvSP_: ; @_ZN7rocprim17ROCPRIM_400000_NS6detail17trampoline_kernelINS0_14default_configENS1_32segmented_reduce_config_selectorIdEEZNS1_21segmented_reduce_implIS3_PKdPdPKidN6hipcub16HIPCUB_304000_NS6detail27convert_result_type_wrapperIS8_S9_N2at6native12_GLOBAL__N_19CustomMinEEEEE10hipError_tPvRmT0_T1_jT2_SQ_T4_T3_P12ihipStream_tbEUlT_E_NS1_11comp_targetILNS1_3genE5ELNS1_11target_archE942ELNS1_3gpuE9ELNS1_3repE0EEENS1_30default_config_static_selectorELNS0_4arch9wavefront6targetE0EEEvSP_
; %bb.0:
	.section	.rodata,"a",@progbits
	.p2align	6, 0x0
	.amdhsa_kernel _ZN7rocprim17ROCPRIM_400000_NS6detail17trampoline_kernelINS0_14default_configENS1_32segmented_reduce_config_selectorIdEEZNS1_21segmented_reduce_implIS3_PKdPdPKidN6hipcub16HIPCUB_304000_NS6detail27convert_result_type_wrapperIS8_S9_N2at6native12_GLOBAL__N_19CustomMinEEEEE10hipError_tPvRmT0_T1_jT2_SQ_T4_T3_P12ihipStream_tbEUlT_E_NS1_11comp_targetILNS1_3genE5ELNS1_11target_archE942ELNS1_3gpuE9ELNS1_3repE0EEENS1_30default_config_static_selectorELNS0_4arch9wavefront6targetE0EEEvSP_
		.amdhsa_group_segment_fixed_size 0
		.amdhsa_private_segment_fixed_size 0
		.amdhsa_kernarg_size 56
		.amdhsa_user_sgpr_count 6
		.amdhsa_user_sgpr_private_segment_buffer 1
		.amdhsa_user_sgpr_dispatch_ptr 0
		.amdhsa_user_sgpr_queue_ptr 0
		.amdhsa_user_sgpr_kernarg_segment_ptr 1
		.amdhsa_user_sgpr_dispatch_id 0
		.amdhsa_user_sgpr_flat_scratch_init 0
		.amdhsa_user_sgpr_private_segment_size 0
		.amdhsa_wavefront_size32 1
		.amdhsa_uses_dynamic_stack 0
		.amdhsa_system_sgpr_private_segment_wavefront_offset 0
		.amdhsa_system_sgpr_workgroup_id_x 1
		.amdhsa_system_sgpr_workgroup_id_y 0
		.amdhsa_system_sgpr_workgroup_id_z 0
		.amdhsa_system_sgpr_workgroup_info 0
		.amdhsa_system_vgpr_workitem_id 0
		.amdhsa_next_free_vgpr 1
		.amdhsa_next_free_sgpr 1
		.amdhsa_reserve_vcc 0
		.amdhsa_reserve_flat_scratch 0
		.amdhsa_float_round_mode_32 0
		.amdhsa_float_round_mode_16_64 0
		.amdhsa_float_denorm_mode_32 3
		.amdhsa_float_denorm_mode_16_64 3
		.amdhsa_dx10_clamp 1
		.amdhsa_ieee_mode 1
		.amdhsa_fp16_overflow 0
		.amdhsa_workgroup_processor_mode 1
		.amdhsa_memory_ordered 1
		.amdhsa_forward_progress 1
		.amdhsa_shared_vgpr_count 0
		.amdhsa_exception_fp_ieee_invalid_op 0
		.amdhsa_exception_fp_denorm_src 0
		.amdhsa_exception_fp_ieee_div_zero 0
		.amdhsa_exception_fp_ieee_overflow 0
		.amdhsa_exception_fp_ieee_underflow 0
		.amdhsa_exception_fp_ieee_inexact 0
		.amdhsa_exception_int_div_zero 0
	.end_amdhsa_kernel
	.section	.text._ZN7rocprim17ROCPRIM_400000_NS6detail17trampoline_kernelINS0_14default_configENS1_32segmented_reduce_config_selectorIdEEZNS1_21segmented_reduce_implIS3_PKdPdPKidN6hipcub16HIPCUB_304000_NS6detail27convert_result_type_wrapperIS8_S9_N2at6native12_GLOBAL__N_19CustomMinEEEEE10hipError_tPvRmT0_T1_jT2_SQ_T4_T3_P12ihipStream_tbEUlT_E_NS1_11comp_targetILNS1_3genE5ELNS1_11target_archE942ELNS1_3gpuE9ELNS1_3repE0EEENS1_30default_config_static_selectorELNS0_4arch9wavefront6targetE0EEEvSP_,"axG",@progbits,_ZN7rocprim17ROCPRIM_400000_NS6detail17trampoline_kernelINS0_14default_configENS1_32segmented_reduce_config_selectorIdEEZNS1_21segmented_reduce_implIS3_PKdPdPKidN6hipcub16HIPCUB_304000_NS6detail27convert_result_type_wrapperIS8_S9_N2at6native12_GLOBAL__N_19CustomMinEEEEE10hipError_tPvRmT0_T1_jT2_SQ_T4_T3_P12ihipStream_tbEUlT_E_NS1_11comp_targetILNS1_3genE5ELNS1_11target_archE942ELNS1_3gpuE9ELNS1_3repE0EEENS1_30default_config_static_selectorELNS0_4arch9wavefront6targetE0EEEvSP_,comdat
.Lfunc_end27:
	.size	_ZN7rocprim17ROCPRIM_400000_NS6detail17trampoline_kernelINS0_14default_configENS1_32segmented_reduce_config_selectorIdEEZNS1_21segmented_reduce_implIS3_PKdPdPKidN6hipcub16HIPCUB_304000_NS6detail27convert_result_type_wrapperIS8_S9_N2at6native12_GLOBAL__N_19CustomMinEEEEE10hipError_tPvRmT0_T1_jT2_SQ_T4_T3_P12ihipStream_tbEUlT_E_NS1_11comp_targetILNS1_3genE5ELNS1_11target_archE942ELNS1_3gpuE9ELNS1_3repE0EEENS1_30default_config_static_selectorELNS0_4arch9wavefront6targetE0EEEvSP_, .Lfunc_end27-_ZN7rocprim17ROCPRIM_400000_NS6detail17trampoline_kernelINS0_14default_configENS1_32segmented_reduce_config_selectorIdEEZNS1_21segmented_reduce_implIS3_PKdPdPKidN6hipcub16HIPCUB_304000_NS6detail27convert_result_type_wrapperIS8_S9_N2at6native12_GLOBAL__N_19CustomMinEEEEE10hipError_tPvRmT0_T1_jT2_SQ_T4_T3_P12ihipStream_tbEUlT_E_NS1_11comp_targetILNS1_3genE5ELNS1_11target_archE942ELNS1_3gpuE9ELNS1_3repE0EEENS1_30default_config_static_selectorELNS0_4arch9wavefront6targetE0EEEvSP_
                                        ; -- End function
	.set _ZN7rocprim17ROCPRIM_400000_NS6detail17trampoline_kernelINS0_14default_configENS1_32segmented_reduce_config_selectorIdEEZNS1_21segmented_reduce_implIS3_PKdPdPKidN6hipcub16HIPCUB_304000_NS6detail27convert_result_type_wrapperIS8_S9_N2at6native12_GLOBAL__N_19CustomMinEEEEE10hipError_tPvRmT0_T1_jT2_SQ_T4_T3_P12ihipStream_tbEUlT_E_NS1_11comp_targetILNS1_3genE5ELNS1_11target_archE942ELNS1_3gpuE9ELNS1_3repE0EEENS1_30default_config_static_selectorELNS0_4arch9wavefront6targetE0EEEvSP_.num_vgpr, 0
	.set _ZN7rocprim17ROCPRIM_400000_NS6detail17trampoline_kernelINS0_14default_configENS1_32segmented_reduce_config_selectorIdEEZNS1_21segmented_reduce_implIS3_PKdPdPKidN6hipcub16HIPCUB_304000_NS6detail27convert_result_type_wrapperIS8_S9_N2at6native12_GLOBAL__N_19CustomMinEEEEE10hipError_tPvRmT0_T1_jT2_SQ_T4_T3_P12ihipStream_tbEUlT_E_NS1_11comp_targetILNS1_3genE5ELNS1_11target_archE942ELNS1_3gpuE9ELNS1_3repE0EEENS1_30default_config_static_selectorELNS0_4arch9wavefront6targetE0EEEvSP_.num_agpr, 0
	.set _ZN7rocprim17ROCPRIM_400000_NS6detail17trampoline_kernelINS0_14default_configENS1_32segmented_reduce_config_selectorIdEEZNS1_21segmented_reduce_implIS3_PKdPdPKidN6hipcub16HIPCUB_304000_NS6detail27convert_result_type_wrapperIS8_S9_N2at6native12_GLOBAL__N_19CustomMinEEEEE10hipError_tPvRmT0_T1_jT2_SQ_T4_T3_P12ihipStream_tbEUlT_E_NS1_11comp_targetILNS1_3genE5ELNS1_11target_archE942ELNS1_3gpuE9ELNS1_3repE0EEENS1_30default_config_static_selectorELNS0_4arch9wavefront6targetE0EEEvSP_.numbered_sgpr, 0
	.set _ZN7rocprim17ROCPRIM_400000_NS6detail17trampoline_kernelINS0_14default_configENS1_32segmented_reduce_config_selectorIdEEZNS1_21segmented_reduce_implIS3_PKdPdPKidN6hipcub16HIPCUB_304000_NS6detail27convert_result_type_wrapperIS8_S9_N2at6native12_GLOBAL__N_19CustomMinEEEEE10hipError_tPvRmT0_T1_jT2_SQ_T4_T3_P12ihipStream_tbEUlT_E_NS1_11comp_targetILNS1_3genE5ELNS1_11target_archE942ELNS1_3gpuE9ELNS1_3repE0EEENS1_30default_config_static_selectorELNS0_4arch9wavefront6targetE0EEEvSP_.num_named_barrier, 0
	.set _ZN7rocprim17ROCPRIM_400000_NS6detail17trampoline_kernelINS0_14default_configENS1_32segmented_reduce_config_selectorIdEEZNS1_21segmented_reduce_implIS3_PKdPdPKidN6hipcub16HIPCUB_304000_NS6detail27convert_result_type_wrapperIS8_S9_N2at6native12_GLOBAL__N_19CustomMinEEEEE10hipError_tPvRmT0_T1_jT2_SQ_T4_T3_P12ihipStream_tbEUlT_E_NS1_11comp_targetILNS1_3genE5ELNS1_11target_archE942ELNS1_3gpuE9ELNS1_3repE0EEENS1_30default_config_static_selectorELNS0_4arch9wavefront6targetE0EEEvSP_.private_seg_size, 0
	.set _ZN7rocprim17ROCPRIM_400000_NS6detail17trampoline_kernelINS0_14default_configENS1_32segmented_reduce_config_selectorIdEEZNS1_21segmented_reduce_implIS3_PKdPdPKidN6hipcub16HIPCUB_304000_NS6detail27convert_result_type_wrapperIS8_S9_N2at6native12_GLOBAL__N_19CustomMinEEEEE10hipError_tPvRmT0_T1_jT2_SQ_T4_T3_P12ihipStream_tbEUlT_E_NS1_11comp_targetILNS1_3genE5ELNS1_11target_archE942ELNS1_3gpuE9ELNS1_3repE0EEENS1_30default_config_static_selectorELNS0_4arch9wavefront6targetE0EEEvSP_.uses_vcc, 0
	.set _ZN7rocprim17ROCPRIM_400000_NS6detail17trampoline_kernelINS0_14default_configENS1_32segmented_reduce_config_selectorIdEEZNS1_21segmented_reduce_implIS3_PKdPdPKidN6hipcub16HIPCUB_304000_NS6detail27convert_result_type_wrapperIS8_S9_N2at6native12_GLOBAL__N_19CustomMinEEEEE10hipError_tPvRmT0_T1_jT2_SQ_T4_T3_P12ihipStream_tbEUlT_E_NS1_11comp_targetILNS1_3genE5ELNS1_11target_archE942ELNS1_3gpuE9ELNS1_3repE0EEENS1_30default_config_static_selectorELNS0_4arch9wavefront6targetE0EEEvSP_.uses_flat_scratch, 0
	.set _ZN7rocprim17ROCPRIM_400000_NS6detail17trampoline_kernelINS0_14default_configENS1_32segmented_reduce_config_selectorIdEEZNS1_21segmented_reduce_implIS3_PKdPdPKidN6hipcub16HIPCUB_304000_NS6detail27convert_result_type_wrapperIS8_S9_N2at6native12_GLOBAL__N_19CustomMinEEEEE10hipError_tPvRmT0_T1_jT2_SQ_T4_T3_P12ihipStream_tbEUlT_E_NS1_11comp_targetILNS1_3genE5ELNS1_11target_archE942ELNS1_3gpuE9ELNS1_3repE0EEENS1_30default_config_static_selectorELNS0_4arch9wavefront6targetE0EEEvSP_.has_dyn_sized_stack, 0
	.set _ZN7rocprim17ROCPRIM_400000_NS6detail17trampoline_kernelINS0_14default_configENS1_32segmented_reduce_config_selectorIdEEZNS1_21segmented_reduce_implIS3_PKdPdPKidN6hipcub16HIPCUB_304000_NS6detail27convert_result_type_wrapperIS8_S9_N2at6native12_GLOBAL__N_19CustomMinEEEEE10hipError_tPvRmT0_T1_jT2_SQ_T4_T3_P12ihipStream_tbEUlT_E_NS1_11comp_targetILNS1_3genE5ELNS1_11target_archE942ELNS1_3gpuE9ELNS1_3repE0EEENS1_30default_config_static_selectorELNS0_4arch9wavefront6targetE0EEEvSP_.has_recursion, 0
	.set _ZN7rocprim17ROCPRIM_400000_NS6detail17trampoline_kernelINS0_14default_configENS1_32segmented_reduce_config_selectorIdEEZNS1_21segmented_reduce_implIS3_PKdPdPKidN6hipcub16HIPCUB_304000_NS6detail27convert_result_type_wrapperIS8_S9_N2at6native12_GLOBAL__N_19CustomMinEEEEE10hipError_tPvRmT0_T1_jT2_SQ_T4_T3_P12ihipStream_tbEUlT_E_NS1_11comp_targetILNS1_3genE5ELNS1_11target_archE942ELNS1_3gpuE9ELNS1_3repE0EEENS1_30default_config_static_selectorELNS0_4arch9wavefront6targetE0EEEvSP_.has_indirect_call, 0
	.section	.AMDGPU.csdata,"",@progbits
; Kernel info:
; codeLenInByte = 0
; TotalNumSgprs: 0
; NumVgprs: 0
; ScratchSize: 0
; MemoryBound: 0
; FloatMode: 240
; IeeeMode: 1
; LDSByteSize: 0 bytes/workgroup (compile time only)
; SGPRBlocks: 0
; VGPRBlocks: 0
; NumSGPRsForWavesPerEU: 1
; NumVGPRsForWavesPerEU: 1
; Occupancy: 16
; WaveLimiterHint : 0
; COMPUTE_PGM_RSRC2:SCRATCH_EN: 0
; COMPUTE_PGM_RSRC2:USER_SGPR: 6
; COMPUTE_PGM_RSRC2:TRAP_HANDLER: 0
; COMPUTE_PGM_RSRC2:TGID_X_EN: 1
; COMPUTE_PGM_RSRC2:TGID_Y_EN: 0
; COMPUTE_PGM_RSRC2:TGID_Z_EN: 0
; COMPUTE_PGM_RSRC2:TIDIG_COMP_CNT: 0
	.section	.text._ZN7rocprim17ROCPRIM_400000_NS6detail17trampoline_kernelINS0_14default_configENS1_32segmented_reduce_config_selectorIdEEZNS1_21segmented_reduce_implIS3_PKdPdPKidN6hipcub16HIPCUB_304000_NS6detail27convert_result_type_wrapperIS8_S9_N2at6native12_GLOBAL__N_19CustomMinEEEEE10hipError_tPvRmT0_T1_jT2_SQ_T4_T3_P12ihipStream_tbEUlT_E_NS1_11comp_targetILNS1_3genE10ELNS1_11target_archE1201ELNS1_3gpuE5ELNS1_3repE0EEENS1_30default_config_static_selectorELNS0_4arch9wavefront6targetE0EEEvSP_,"axG",@progbits,_ZN7rocprim17ROCPRIM_400000_NS6detail17trampoline_kernelINS0_14default_configENS1_32segmented_reduce_config_selectorIdEEZNS1_21segmented_reduce_implIS3_PKdPdPKidN6hipcub16HIPCUB_304000_NS6detail27convert_result_type_wrapperIS8_S9_N2at6native12_GLOBAL__N_19CustomMinEEEEE10hipError_tPvRmT0_T1_jT2_SQ_T4_T3_P12ihipStream_tbEUlT_E_NS1_11comp_targetILNS1_3genE10ELNS1_11target_archE1201ELNS1_3gpuE5ELNS1_3repE0EEENS1_30default_config_static_selectorELNS0_4arch9wavefront6targetE0EEEvSP_,comdat
	.globl	_ZN7rocprim17ROCPRIM_400000_NS6detail17trampoline_kernelINS0_14default_configENS1_32segmented_reduce_config_selectorIdEEZNS1_21segmented_reduce_implIS3_PKdPdPKidN6hipcub16HIPCUB_304000_NS6detail27convert_result_type_wrapperIS8_S9_N2at6native12_GLOBAL__N_19CustomMinEEEEE10hipError_tPvRmT0_T1_jT2_SQ_T4_T3_P12ihipStream_tbEUlT_E_NS1_11comp_targetILNS1_3genE10ELNS1_11target_archE1201ELNS1_3gpuE5ELNS1_3repE0EEENS1_30default_config_static_selectorELNS0_4arch9wavefront6targetE0EEEvSP_ ; -- Begin function _ZN7rocprim17ROCPRIM_400000_NS6detail17trampoline_kernelINS0_14default_configENS1_32segmented_reduce_config_selectorIdEEZNS1_21segmented_reduce_implIS3_PKdPdPKidN6hipcub16HIPCUB_304000_NS6detail27convert_result_type_wrapperIS8_S9_N2at6native12_GLOBAL__N_19CustomMinEEEEE10hipError_tPvRmT0_T1_jT2_SQ_T4_T3_P12ihipStream_tbEUlT_E_NS1_11comp_targetILNS1_3genE10ELNS1_11target_archE1201ELNS1_3gpuE5ELNS1_3repE0EEENS1_30default_config_static_selectorELNS0_4arch9wavefront6targetE0EEEvSP_
	.p2align	8
	.type	_ZN7rocprim17ROCPRIM_400000_NS6detail17trampoline_kernelINS0_14default_configENS1_32segmented_reduce_config_selectorIdEEZNS1_21segmented_reduce_implIS3_PKdPdPKidN6hipcub16HIPCUB_304000_NS6detail27convert_result_type_wrapperIS8_S9_N2at6native12_GLOBAL__N_19CustomMinEEEEE10hipError_tPvRmT0_T1_jT2_SQ_T4_T3_P12ihipStream_tbEUlT_E_NS1_11comp_targetILNS1_3genE10ELNS1_11target_archE1201ELNS1_3gpuE5ELNS1_3repE0EEENS1_30default_config_static_selectorELNS0_4arch9wavefront6targetE0EEEvSP_,@function
_ZN7rocprim17ROCPRIM_400000_NS6detail17trampoline_kernelINS0_14default_configENS1_32segmented_reduce_config_selectorIdEEZNS1_21segmented_reduce_implIS3_PKdPdPKidN6hipcub16HIPCUB_304000_NS6detail27convert_result_type_wrapperIS8_S9_N2at6native12_GLOBAL__N_19CustomMinEEEEE10hipError_tPvRmT0_T1_jT2_SQ_T4_T3_P12ihipStream_tbEUlT_E_NS1_11comp_targetILNS1_3genE10ELNS1_11target_archE1201ELNS1_3gpuE5ELNS1_3repE0EEENS1_30default_config_static_selectorELNS0_4arch9wavefront6targetE0EEEvSP_: ; @_ZN7rocprim17ROCPRIM_400000_NS6detail17trampoline_kernelINS0_14default_configENS1_32segmented_reduce_config_selectorIdEEZNS1_21segmented_reduce_implIS3_PKdPdPKidN6hipcub16HIPCUB_304000_NS6detail27convert_result_type_wrapperIS8_S9_N2at6native12_GLOBAL__N_19CustomMinEEEEE10hipError_tPvRmT0_T1_jT2_SQ_T4_T3_P12ihipStream_tbEUlT_E_NS1_11comp_targetILNS1_3genE10ELNS1_11target_archE1201ELNS1_3gpuE5ELNS1_3repE0EEENS1_30default_config_static_selectorELNS0_4arch9wavefront6targetE0EEEvSP_
; %bb.0:
	.section	.rodata,"a",@progbits
	.p2align	6, 0x0
	.amdhsa_kernel _ZN7rocprim17ROCPRIM_400000_NS6detail17trampoline_kernelINS0_14default_configENS1_32segmented_reduce_config_selectorIdEEZNS1_21segmented_reduce_implIS3_PKdPdPKidN6hipcub16HIPCUB_304000_NS6detail27convert_result_type_wrapperIS8_S9_N2at6native12_GLOBAL__N_19CustomMinEEEEE10hipError_tPvRmT0_T1_jT2_SQ_T4_T3_P12ihipStream_tbEUlT_E_NS1_11comp_targetILNS1_3genE10ELNS1_11target_archE1201ELNS1_3gpuE5ELNS1_3repE0EEENS1_30default_config_static_selectorELNS0_4arch9wavefront6targetE0EEEvSP_
		.amdhsa_group_segment_fixed_size 0
		.amdhsa_private_segment_fixed_size 0
		.amdhsa_kernarg_size 56
		.amdhsa_user_sgpr_count 6
		.amdhsa_user_sgpr_private_segment_buffer 1
		.amdhsa_user_sgpr_dispatch_ptr 0
		.amdhsa_user_sgpr_queue_ptr 0
		.amdhsa_user_sgpr_kernarg_segment_ptr 1
		.amdhsa_user_sgpr_dispatch_id 0
		.amdhsa_user_sgpr_flat_scratch_init 0
		.amdhsa_user_sgpr_private_segment_size 0
		.amdhsa_wavefront_size32 1
		.amdhsa_uses_dynamic_stack 0
		.amdhsa_system_sgpr_private_segment_wavefront_offset 0
		.amdhsa_system_sgpr_workgroup_id_x 1
		.amdhsa_system_sgpr_workgroup_id_y 0
		.amdhsa_system_sgpr_workgroup_id_z 0
		.amdhsa_system_sgpr_workgroup_info 0
		.amdhsa_system_vgpr_workitem_id 0
		.amdhsa_next_free_vgpr 1
		.amdhsa_next_free_sgpr 1
		.amdhsa_reserve_vcc 0
		.amdhsa_reserve_flat_scratch 0
		.amdhsa_float_round_mode_32 0
		.amdhsa_float_round_mode_16_64 0
		.amdhsa_float_denorm_mode_32 3
		.amdhsa_float_denorm_mode_16_64 3
		.amdhsa_dx10_clamp 1
		.amdhsa_ieee_mode 1
		.amdhsa_fp16_overflow 0
		.amdhsa_workgroup_processor_mode 1
		.amdhsa_memory_ordered 1
		.amdhsa_forward_progress 1
		.amdhsa_shared_vgpr_count 0
		.amdhsa_exception_fp_ieee_invalid_op 0
		.amdhsa_exception_fp_denorm_src 0
		.amdhsa_exception_fp_ieee_div_zero 0
		.amdhsa_exception_fp_ieee_overflow 0
		.amdhsa_exception_fp_ieee_underflow 0
		.amdhsa_exception_fp_ieee_inexact 0
		.amdhsa_exception_int_div_zero 0
	.end_amdhsa_kernel
	.section	.text._ZN7rocprim17ROCPRIM_400000_NS6detail17trampoline_kernelINS0_14default_configENS1_32segmented_reduce_config_selectorIdEEZNS1_21segmented_reduce_implIS3_PKdPdPKidN6hipcub16HIPCUB_304000_NS6detail27convert_result_type_wrapperIS8_S9_N2at6native12_GLOBAL__N_19CustomMinEEEEE10hipError_tPvRmT0_T1_jT2_SQ_T4_T3_P12ihipStream_tbEUlT_E_NS1_11comp_targetILNS1_3genE10ELNS1_11target_archE1201ELNS1_3gpuE5ELNS1_3repE0EEENS1_30default_config_static_selectorELNS0_4arch9wavefront6targetE0EEEvSP_,"axG",@progbits,_ZN7rocprim17ROCPRIM_400000_NS6detail17trampoline_kernelINS0_14default_configENS1_32segmented_reduce_config_selectorIdEEZNS1_21segmented_reduce_implIS3_PKdPdPKidN6hipcub16HIPCUB_304000_NS6detail27convert_result_type_wrapperIS8_S9_N2at6native12_GLOBAL__N_19CustomMinEEEEE10hipError_tPvRmT0_T1_jT2_SQ_T4_T3_P12ihipStream_tbEUlT_E_NS1_11comp_targetILNS1_3genE10ELNS1_11target_archE1201ELNS1_3gpuE5ELNS1_3repE0EEENS1_30default_config_static_selectorELNS0_4arch9wavefront6targetE0EEEvSP_,comdat
.Lfunc_end28:
	.size	_ZN7rocprim17ROCPRIM_400000_NS6detail17trampoline_kernelINS0_14default_configENS1_32segmented_reduce_config_selectorIdEEZNS1_21segmented_reduce_implIS3_PKdPdPKidN6hipcub16HIPCUB_304000_NS6detail27convert_result_type_wrapperIS8_S9_N2at6native12_GLOBAL__N_19CustomMinEEEEE10hipError_tPvRmT0_T1_jT2_SQ_T4_T3_P12ihipStream_tbEUlT_E_NS1_11comp_targetILNS1_3genE10ELNS1_11target_archE1201ELNS1_3gpuE5ELNS1_3repE0EEENS1_30default_config_static_selectorELNS0_4arch9wavefront6targetE0EEEvSP_, .Lfunc_end28-_ZN7rocprim17ROCPRIM_400000_NS6detail17trampoline_kernelINS0_14default_configENS1_32segmented_reduce_config_selectorIdEEZNS1_21segmented_reduce_implIS3_PKdPdPKidN6hipcub16HIPCUB_304000_NS6detail27convert_result_type_wrapperIS8_S9_N2at6native12_GLOBAL__N_19CustomMinEEEEE10hipError_tPvRmT0_T1_jT2_SQ_T4_T3_P12ihipStream_tbEUlT_E_NS1_11comp_targetILNS1_3genE10ELNS1_11target_archE1201ELNS1_3gpuE5ELNS1_3repE0EEENS1_30default_config_static_selectorELNS0_4arch9wavefront6targetE0EEEvSP_
                                        ; -- End function
	.set _ZN7rocprim17ROCPRIM_400000_NS6detail17trampoline_kernelINS0_14default_configENS1_32segmented_reduce_config_selectorIdEEZNS1_21segmented_reduce_implIS3_PKdPdPKidN6hipcub16HIPCUB_304000_NS6detail27convert_result_type_wrapperIS8_S9_N2at6native12_GLOBAL__N_19CustomMinEEEEE10hipError_tPvRmT0_T1_jT2_SQ_T4_T3_P12ihipStream_tbEUlT_E_NS1_11comp_targetILNS1_3genE10ELNS1_11target_archE1201ELNS1_3gpuE5ELNS1_3repE0EEENS1_30default_config_static_selectorELNS0_4arch9wavefront6targetE0EEEvSP_.num_vgpr, 0
	.set _ZN7rocprim17ROCPRIM_400000_NS6detail17trampoline_kernelINS0_14default_configENS1_32segmented_reduce_config_selectorIdEEZNS1_21segmented_reduce_implIS3_PKdPdPKidN6hipcub16HIPCUB_304000_NS6detail27convert_result_type_wrapperIS8_S9_N2at6native12_GLOBAL__N_19CustomMinEEEEE10hipError_tPvRmT0_T1_jT2_SQ_T4_T3_P12ihipStream_tbEUlT_E_NS1_11comp_targetILNS1_3genE10ELNS1_11target_archE1201ELNS1_3gpuE5ELNS1_3repE0EEENS1_30default_config_static_selectorELNS0_4arch9wavefront6targetE0EEEvSP_.num_agpr, 0
	.set _ZN7rocprim17ROCPRIM_400000_NS6detail17trampoline_kernelINS0_14default_configENS1_32segmented_reduce_config_selectorIdEEZNS1_21segmented_reduce_implIS3_PKdPdPKidN6hipcub16HIPCUB_304000_NS6detail27convert_result_type_wrapperIS8_S9_N2at6native12_GLOBAL__N_19CustomMinEEEEE10hipError_tPvRmT0_T1_jT2_SQ_T4_T3_P12ihipStream_tbEUlT_E_NS1_11comp_targetILNS1_3genE10ELNS1_11target_archE1201ELNS1_3gpuE5ELNS1_3repE0EEENS1_30default_config_static_selectorELNS0_4arch9wavefront6targetE0EEEvSP_.numbered_sgpr, 0
	.set _ZN7rocprim17ROCPRIM_400000_NS6detail17trampoline_kernelINS0_14default_configENS1_32segmented_reduce_config_selectorIdEEZNS1_21segmented_reduce_implIS3_PKdPdPKidN6hipcub16HIPCUB_304000_NS6detail27convert_result_type_wrapperIS8_S9_N2at6native12_GLOBAL__N_19CustomMinEEEEE10hipError_tPvRmT0_T1_jT2_SQ_T4_T3_P12ihipStream_tbEUlT_E_NS1_11comp_targetILNS1_3genE10ELNS1_11target_archE1201ELNS1_3gpuE5ELNS1_3repE0EEENS1_30default_config_static_selectorELNS0_4arch9wavefront6targetE0EEEvSP_.num_named_barrier, 0
	.set _ZN7rocprim17ROCPRIM_400000_NS6detail17trampoline_kernelINS0_14default_configENS1_32segmented_reduce_config_selectorIdEEZNS1_21segmented_reduce_implIS3_PKdPdPKidN6hipcub16HIPCUB_304000_NS6detail27convert_result_type_wrapperIS8_S9_N2at6native12_GLOBAL__N_19CustomMinEEEEE10hipError_tPvRmT0_T1_jT2_SQ_T4_T3_P12ihipStream_tbEUlT_E_NS1_11comp_targetILNS1_3genE10ELNS1_11target_archE1201ELNS1_3gpuE5ELNS1_3repE0EEENS1_30default_config_static_selectorELNS0_4arch9wavefront6targetE0EEEvSP_.private_seg_size, 0
	.set _ZN7rocprim17ROCPRIM_400000_NS6detail17trampoline_kernelINS0_14default_configENS1_32segmented_reduce_config_selectorIdEEZNS1_21segmented_reduce_implIS3_PKdPdPKidN6hipcub16HIPCUB_304000_NS6detail27convert_result_type_wrapperIS8_S9_N2at6native12_GLOBAL__N_19CustomMinEEEEE10hipError_tPvRmT0_T1_jT2_SQ_T4_T3_P12ihipStream_tbEUlT_E_NS1_11comp_targetILNS1_3genE10ELNS1_11target_archE1201ELNS1_3gpuE5ELNS1_3repE0EEENS1_30default_config_static_selectorELNS0_4arch9wavefront6targetE0EEEvSP_.uses_vcc, 0
	.set _ZN7rocprim17ROCPRIM_400000_NS6detail17trampoline_kernelINS0_14default_configENS1_32segmented_reduce_config_selectorIdEEZNS1_21segmented_reduce_implIS3_PKdPdPKidN6hipcub16HIPCUB_304000_NS6detail27convert_result_type_wrapperIS8_S9_N2at6native12_GLOBAL__N_19CustomMinEEEEE10hipError_tPvRmT0_T1_jT2_SQ_T4_T3_P12ihipStream_tbEUlT_E_NS1_11comp_targetILNS1_3genE10ELNS1_11target_archE1201ELNS1_3gpuE5ELNS1_3repE0EEENS1_30default_config_static_selectorELNS0_4arch9wavefront6targetE0EEEvSP_.uses_flat_scratch, 0
	.set _ZN7rocprim17ROCPRIM_400000_NS6detail17trampoline_kernelINS0_14default_configENS1_32segmented_reduce_config_selectorIdEEZNS1_21segmented_reduce_implIS3_PKdPdPKidN6hipcub16HIPCUB_304000_NS6detail27convert_result_type_wrapperIS8_S9_N2at6native12_GLOBAL__N_19CustomMinEEEEE10hipError_tPvRmT0_T1_jT2_SQ_T4_T3_P12ihipStream_tbEUlT_E_NS1_11comp_targetILNS1_3genE10ELNS1_11target_archE1201ELNS1_3gpuE5ELNS1_3repE0EEENS1_30default_config_static_selectorELNS0_4arch9wavefront6targetE0EEEvSP_.has_dyn_sized_stack, 0
	.set _ZN7rocprim17ROCPRIM_400000_NS6detail17trampoline_kernelINS0_14default_configENS1_32segmented_reduce_config_selectorIdEEZNS1_21segmented_reduce_implIS3_PKdPdPKidN6hipcub16HIPCUB_304000_NS6detail27convert_result_type_wrapperIS8_S9_N2at6native12_GLOBAL__N_19CustomMinEEEEE10hipError_tPvRmT0_T1_jT2_SQ_T4_T3_P12ihipStream_tbEUlT_E_NS1_11comp_targetILNS1_3genE10ELNS1_11target_archE1201ELNS1_3gpuE5ELNS1_3repE0EEENS1_30default_config_static_selectorELNS0_4arch9wavefront6targetE0EEEvSP_.has_recursion, 0
	.set _ZN7rocprim17ROCPRIM_400000_NS6detail17trampoline_kernelINS0_14default_configENS1_32segmented_reduce_config_selectorIdEEZNS1_21segmented_reduce_implIS3_PKdPdPKidN6hipcub16HIPCUB_304000_NS6detail27convert_result_type_wrapperIS8_S9_N2at6native12_GLOBAL__N_19CustomMinEEEEE10hipError_tPvRmT0_T1_jT2_SQ_T4_T3_P12ihipStream_tbEUlT_E_NS1_11comp_targetILNS1_3genE10ELNS1_11target_archE1201ELNS1_3gpuE5ELNS1_3repE0EEENS1_30default_config_static_selectorELNS0_4arch9wavefront6targetE0EEEvSP_.has_indirect_call, 0
	.section	.AMDGPU.csdata,"",@progbits
; Kernel info:
; codeLenInByte = 0
; TotalNumSgprs: 0
; NumVgprs: 0
; ScratchSize: 0
; MemoryBound: 0
; FloatMode: 240
; IeeeMode: 1
; LDSByteSize: 0 bytes/workgroup (compile time only)
; SGPRBlocks: 0
; VGPRBlocks: 0
; NumSGPRsForWavesPerEU: 1
; NumVGPRsForWavesPerEU: 1
; Occupancy: 16
; WaveLimiterHint : 0
; COMPUTE_PGM_RSRC2:SCRATCH_EN: 0
; COMPUTE_PGM_RSRC2:USER_SGPR: 6
; COMPUTE_PGM_RSRC2:TRAP_HANDLER: 0
; COMPUTE_PGM_RSRC2:TGID_X_EN: 1
; COMPUTE_PGM_RSRC2:TGID_Y_EN: 0
; COMPUTE_PGM_RSRC2:TGID_Z_EN: 0
; COMPUTE_PGM_RSRC2:TIDIG_COMP_CNT: 0
	.section	.text._ZN7rocprim17ROCPRIM_400000_NS6detail17trampoline_kernelINS0_14default_configENS1_32segmented_reduce_config_selectorIdEEZNS1_21segmented_reduce_implIS3_PKdPdPKidN6hipcub16HIPCUB_304000_NS6detail27convert_result_type_wrapperIS8_S9_N2at6native12_GLOBAL__N_19CustomMinEEEEE10hipError_tPvRmT0_T1_jT2_SQ_T4_T3_P12ihipStream_tbEUlT_E_NS1_11comp_targetILNS1_3genE4ELNS1_11target_archE910ELNS1_3gpuE8ELNS1_3repE0EEENS1_30default_config_static_selectorELNS0_4arch9wavefront6targetE0EEEvSP_,"axG",@progbits,_ZN7rocprim17ROCPRIM_400000_NS6detail17trampoline_kernelINS0_14default_configENS1_32segmented_reduce_config_selectorIdEEZNS1_21segmented_reduce_implIS3_PKdPdPKidN6hipcub16HIPCUB_304000_NS6detail27convert_result_type_wrapperIS8_S9_N2at6native12_GLOBAL__N_19CustomMinEEEEE10hipError_tPvRmT0_T1_jT2_SQ_T4_T3_P12ihipStream_tbEUlT_E_NS1_11comp_targetILNS1_3genE4ELNS1_11target_archE910ELNS1_3gpuE8ELNS1_3repE0EEENS1_30default_config_static_selectorELNS0_4arch9wavefront6targetE0EEEvSP_,comdat
	.globl	_ZN7rocprim17ROCPRIM_400000_NS6detail17trampoline_kernelINS0_14default_configENS1_32segmented_reduce_config_selectorIdEEZNS1_21segmented_reduce_implIS3_PKdPdPKidN6hipcub16HIPCUB_304000_NS6detail27convert_result_type_wrapperIS8_S9_N2at6native12_GLOBAL__N_19CustomMinEEEEE10hipError_tPvRmT0_T1_jT2_SQ_T4_T3_P12ihipStream_tbEUlT_E_NS1_11comp_targetILNS1_3genE4ELNS1_11target_archE910ELNS1_3gpuE8ELNS1_3repE0EEENS1_30default_config_static_selectorELNS0_4arch9wavefront6targetE0EEEvSP_ ; -- Begin function _ZN7rocprim17ROCPRIM_400000_NS6detail17trampoline_kernelINS0_14default_configENS1_32segmented_reduce_config_selectorIdEEZNS1_21segmented_reduce_implIS3_PKdPdPKidN6hipcub16HIPCUB_304000_NS6detail27convert_result_type_wrapperIS8_S9_N2at6native12_GLOBAL__N_19CustomMinEEEEE10hipError_tPvRmT0_T1_jT2_SQ_T4_T3_P12ihipStream_tbEUlT_E_NS1_11comp_targetILNS1_3genE4ELNS1_11target_archE910ELNS1_3gpuE8ELNS1_3repE0EEENS1_30default_config_static_selectorELNS0_4arch9wavefront6targetE0EEEvSP_
	.p2align	8
	.type	_ZN7rocprim17ROCPRIM_400000_NS6detail17trampoline_kernelINS0_14default_configENS1_32segmented_reduce_config_selectorIdEEZNS1_21segmented_reduce_implIS3_PKdPdPKidN6hipcub16HIPCUB_304000_NS6detail27convert_result_type_wrapperIS8_S9_N2at6native12_GLOBAL__N_19CustomMinEEEEE10hipError_tPvRmT0_T1_jT2_SQ_T4_T3_P12ihipStream_tbEUlT_E_NS1_11comp_targetILNS1_3genE4ELNS1_11target_archE910ELNS1_3gpuE8ELNS1_3repE0EEENS1_30default_config_static_selectorELNS0_4arch9wavefront6targetE0EEEvSP_,@function
_ZN7rocprim17ROCPRIM_400000_NS6detail17trampoline_kernelINS0_14default_configENS1_32segmented_reduce_config_selectorIdEEZNS1_21segmented_reduce_implIS3_PKdPdPKidN6hipcub16HIPCUB_304000_NS6detail27convert_result_type_wrapperIS8_S9_N2at6native12_GLOBAL__N_19CustomMinEEEEE10hipError_tPvRmT0_T1_jT2_SQ_T4_T3_P12ihipStream_tbEUlT_E_NS1_11comp_targetILNS1_3genE4ELNS1_11target_archE910ELNS1_3gpuE8ELNS1_3repE0EEENS1_30default_config_static_selectorELNS0_4arch9wavefront6targetE0EEEvSP_: ; @_ZN7rocprim17ROCPRIM_400000_NS6detail17trampoline_kernelINS0_14default_configENS1_32segmented_reduce_config_selectorIdEEZNS1_21segmented_reduce_implIS3_PKdPdPKidN6hipcub16HIPCUB_304000_NS6detail27convert_result_type_wrapperIS8_S9_N2at6native12_GLOBAL__N_19CustomMinEEEEE10hipError_tPvRmT0_T1_jT2_SQ_T4_T3_P12ihipStream_tbEUlT_E_NS1_11comp_targetILNS1_3genE4ELNS1_11target_archE910ELNS1_3gpuE8ELNS1_3repE0EEENS1_30default_config_static_selectorELNS0_4arch9wavefront6targetE0EEEvSP_
; %bb.0:
	.section	.rodata,"a",@progbits
	.p2align	6, 0x0
	.amdhsa_kernel _ZN7rocprim17ROCPRIM_400000_NS6detail17trampoline_kernelINS0_14default_configENS1_32segmented_reduce_config_selectorIdEEZNS1_21segmented_reduce_implIS3_PKdPdPKidN6hipcub16HIPCUB_304000_NS6detail27convert_result_type_wrapperIS8_S9_N2at6native12_GLOBAL__N_19CustomMinEEEEE10hipError_tPvRmT0_T1_jT2_SQ_T4_T3_P12ihipStream_tbEUlT_E_NS1_11comp_targetILNS1_3genE4ELNS1_11target_archE910ELNS1_3gpuE8ELNS1_3repE0EEENS1_30default_config_static_selectorELNS0_4arch9wavefront6targetE0EEEvSP_
		.amdhsa_group_segment_fixed_size 0
		.amdhsa_private_segment_fixed_size 0
		.amdhsa_kernarg_size 56
		.amdhsa_user_sgpr_count 6
		.amdhsa_user_sgpr_private_segment_buffer 1
		.amdhsa_user_sgpr_dispatch_ptr 0
		.amdhsa_user_sgpr_queue_ptr 0
		.amdhsa_user_sgpr_kernarg_segment_ptr 1
		.amdhsa_user_sgpr_dispatch_id 0
		.amdhsa_user_sgpr_flat_scratch_init 0
		.amdhsa_user_sgpr_private_segment_size 0
		.amdhsa_wavefront_size32 1
		.amdhsa_uses_dynamic_stack 0
		.amdhsa_system_sgpr_private_segment_wavefront_offset 0
		.amdhsa_system_sgpr_workgroup_id_x 1
		.amdhsa_system_sgpr_workgroup_id_y 0
		.amdhsa_system_sgpr_workgroup_id_z 0
		.amdhsa_system_sgpr_workgroup_info 0
		.amdhsa_system_vgpr_workitem_id 0
		.amdhsa_next_free_vgpr 1
		.amdhsa_next_free_sgpr 1
		.amdhsa_reserve_vcc 0
		.amdhsa_reserve_flat_scratch 0
		.amdhsa_float_round_mode_32 0
		.amdhsa_float_round_mode_16_64 0
		.amdhsa_float_denorm_mode_32 3
		.amdhsa_float_denorm_mode_16_64 3
		.amdhsa_dx10_clamp 1
		.amdhsa_ieee_mode 1
		.amdhsa_fp16_overflow 0
		.amdhsa_workgroup_processor_mode 1
		.amdhsa_memory_ordered 1
		.amdhsa_forward_progress 1
		.amdhsa_shared_vgpr_count 0
		.amdhsa_exception_fp_ieee_invalid_op 0
		.amdhsa_exception_fp_denorm_src 0
		.amdhsa_exception_fp_ieee_div_zero 0
		.amdhsa_exception_fp_ieee_overflow 0
		.amdhsa_exception_fp_ieee_underflow 0
		.amdhsa_exception_fp_ieee_inexact 0
		.amdhsa_exception_int_div_zero 0
	.end_amdhsa_kernel
	.section	.text._ZN7rocprim17ROCPRIM_400000_NS6detail17trampoline_kernelINS0_14default_configENS1_32segmented_reduce_config_selectorIdEEZNS1_21segmented_reduce_implIS3_PKdPdPKidN6hipcub16HIPCUB_304000_NS6detail27convert_result_type_wrapperIS8_S9_N2at6native12_GLOBAL__N_19CustomMinEEEEE10hipError_tPvRmT0_T1_jT2_SQ_T4_T3_P12ihipStream_tbEUlT_E_NS1_11comp_targetILNS1_3genE4ELNS1_11target_archE910ELNS1_3gpuE8ELNS1_3repE0EEENS1_30default_config_static_selectorELNS0_4arch9wavefront6targetE0EEEvSP_,"axG",@progbits,_ZN7rocprim17ROCPRIM_400000_NS6detail17trampoline_kernelINS0_14default_configENS1_32segmented_reduce_config_selectorIdEEZNS1_21segmented_reduce_implIS3_PKdPdPKidN6hipcub16HIPCUB_304000_NS6detail27convert_result_type_wrapperIS8_S9_N2at6native12_GLOBAL__N_19CustomMinEEEEE10hipError_tPvRmT0_T1_jT2_SQ_T4_T3_P12ihipStream_tbEUlT_E_NS1_11comp_targetILNS1_3genE4ELNS1_11target_archE910ELNS1_3gpuE8ELNS1_3repE0EEENS1_30default_config_static_selectorELNS0_4arch9wavefront6targetE0EEEvSP_,comdat
.Lfunc_end29:
	.size	_ZN7rocprim17ROCPRIM_400000_NS6detail17trampoline_kernelINS0_14default_configENS1_32segmented_reduce_config_selectorIdEEZNS1_21segmented_reduce_implIS3_PKdPdPKidN6hipcub16HIPCUB_304000_NS6detail27convert_result_type_wrapperIS8_S9_N2at6native12_GLOBAL__N_19CustomMinEEEEE10hipError_tPvRmT0_T1_jT2_SQ_T4_T3_P12ihipStream_tbEUlT_E_NS1_11comp_targetILNS1_3genE4ELNS1_11target_archE910ELNS1_3gpuE8ELNS1_3repE0EEENS1_30default_config_static_selectorELNS0_4arch9wavefront6targetE0EEEvSP_, .Lfunc_end29-_ZN7rocprim17ROCPRIM_400000_NS6detail17trampoline_kernelINS0_14default_configENS1_32segmented_reduce_config_selectorIdEEZNS1_21segmented_reduce_implIS3_PKdPdPKidN6hipcub16HIPCUB_304000_NS6detail27convert_result_type_wrapperIS8_S9_N2at6native12_GLOBAL__N_19CustomMinEEEEE10hipError_tPvRmT0_T1_jT2_SQ_T4_T3_P12ihipStream_tbEUlT_E_NS1_11comp_targetILNS1_3genE4ELNS1_11target_archE910ELNS1_3gpuE8ELNS1_3repE0EEENS1_30default_config_static_selectorELNS0_4arch9wavefront6targetE0EEEvSP_
                                        ; -- End function
	.set _ZN7rocprim17ROCPRIM_400000_NS6detail17trampoline_kernelINS0_14default_configENS1_32segmented_reduce_config_selectorIdEEZNS1_21segmented_reduce_implIS3_PKdPdPKidN6hipcub16HIPCUB_304000_NS6detail27convert_result_type_wrapperIS8_S9_N2at6native12_GLOBAL__N_19CustomMinEEEEE10hipError_tPvRmT0_T1_jT2_SQ_T4_T3_P12ihipStream_tbEUlT_E_NS1_11comp_targetILNS1_3genE4ELNS1_11target_archE910ELNS1_3gpuE8ELNS1_3repE0EEENS1_30default_config_static_selectorELNS0_4arch9wavefront6targetE0EEEvSP_.num_vgpr, 0
	.set _ZN7rocprim17ROCPRIM_400000_NS6detail17trampoline_kernelINS0_14default_configENS1_32segmented_reduce_config_selectorIdEEZNS1_21segmented_reduce_implIS3_PKdPdPKidN6hipcub16HIPCUB_304000_NS6detail27convert_result_type_wrapperIS8_S9_N2at6native12_GLOBAL__N_19CustomMinEEEEE10hipError_tPvRmT0_T1_jT2_SQ_T4_T3_P12ihipStream_tbEUlT_E_NS1_11comp_targetILNS1_3genE4ELNS1_11target_archE910ELNS1_3gpuE8ELNS1_3repE0EEENS1_30default_config_static_selectorELNS0_4arch9wavefront6targetE0EEEvSP_.num_agpr, 0
	.set _ZN7rocprim17ROCPRIM_400000_NS6detail17trampoline_kernelINS0_14default_configENS1_32segmented_reduce_config_selectorIdEEZNS1_21segmented_reduce_implIS3_PKdPdPKidN6hipcub16HIPCUB_304000_NS6detail27convert_result_type_wrapperIS8_S9_N2at6native12_GLOBAL__N_19CustomMinEEEEE10hipError_tPvRmT0_T1_jT2_SQ_T4_T3_P12ihipStream_tbEUlT_E_NS1_11comp_targetILNS1_3genE4ELNS1_11target_archE910ELNS1_3gpuE8ELNS1_3repE0EEENS1_30default_config_static_selectorELNS0_4arch9wavefront6targetE0EEEvSP_.numbered_sgpr, 0
	.set _ZN7rocprim17ROCPRIM_400000_NS6detail17trampoline_kernelINS0_14default_configENS1_32segmented_reduce_config_selectorIdEEZNS1_21segmented_reduce_implIS3_PKdPdPKidN6hipcub16HIPCUB_304000_NS6detail27convert_result_type_wrapperIS8_S9_N2at6native12_GLOBAL__N_19CustomMinEEEEE10hipError_tPvRmT0_T1_jT2_SQ_T4_T3_P12ihipStream_tbEUlT_E_NS1_11comp_targetILNS1_3genE4ELNS1_11target_archE910ELNS1_3gpuE8ELNS1_3repE0EEENS1_30default_config_static_selectorELNS0_4arch9wavefront6targetE0EEEvSP_.num_named_barrier, 0
	.set _ZN7rocprim17ROCPRIM_400000_NS6detail17trampoline_kernelINS0_14default_configENS1_32segmented_reduce_config_selectorIdEEZNS1_21segmented_reduce_implIS3_PKdPdPKidN6hipcub16HIPCUB_304000_NS6detail27convert_result_type_wrapperIS8_S9_N2at6native12_GLOBAL__N_19CustomMinEEEEE10hipError_tPvRmT0_T1_jT2_SQ_T4_T3_P12ihipStream_tbEUlT_E_NS1_11comp_targetILNS1_3genE4ELNS1_11target_archE910ELNS1_3gpuE8ELNS1_3repE0EEENS1_30default_config_static_selectorELNS0_4arch9wavefront6targetE0EEEvSP_.private_seg_size, 0
	.set _ZN7rocprim17ROCPRIM_400000_NS6detail17trampoline_kernelINS0_14default_configENS1_32segmented_reduce_config_selectorIdEEZNS1_21segmented_reduce_implIS3_PKdPdPKidN6hipcub16HIPCUB_304000_NS6detail27convert_result_type_wrapperIS8_S9_N2at6native12_GLOBAL__N_19CustomMinEEEEE10hipError_tPvRmT0_T1_jT2_SQ_T4_T3_P12ihipStream_tbEUlT_E_NS1_11comp_targetILNS1_3genE4ELNS1_11target_archE910ELNS1_3gpuE8ELNS1_3repE0EEENS1_30default_config_static_selectorELNS0_4arch9wavefront6targetE0EEEvSP_.uses_vcc, 0
	.set _ZN7rocprim17ROCPRIM_400000_NS6detail17trampoline_kernelINS0_14default_configENS1_32segmented_reduce_config_selectorIdEEZNS1_21segmented_reduce_implIS3_PKdPdPKidN6hipcub16HIPCUB_304000_NS6detail27convert_result_type_wrapperIS8_S9_N2at6native12_GLOBAL__N_19CustomMinEEEEE10hipError_tPvRmT0_T1_jT2_SQ_T4_T3_P12ihipStream_tbEUlT_E_NS1_11comp_targetILNS1_3genE4ELNS1_11target_archE910ELNS1_3gpuE8ELNS1_3repE0EEENS1_30default_config_static_selectorELNS0_4arch9wavefront6targetE0EEEvSP_.uses_flat_scratch, 0
	.set _ZN7rocprim17ROCPRIM_400000_NS6detail17trampoline_kernelINS0_14default_configENS1_32segmented_reduce_config_selectorIdEEZNS1_21segmented_reduce_implIS3_PKdPdPKidN6hipcub16HIPCUB_304000_NS6detail27convert_result_type_wrapperIS8_S9_N2at6native12_GLOBAL__N_19CustomMinEEEEE10hipError_tPvRmT0_T1_jT2_SQ_T4_T3_P12ihipStream_tbEUlT_E_NS1_11comp_targetILNS1_3genE4ELNS1_11target_archE910ELNS1_3gpuE8ELNS1_3repE0EEENS1_30default_config_static_selectorELNS0_4arch9wavefront6targetE0EEEvSP_.has_dyn_sized_stack, 0
	.set _ZN7rocprim17ROCPRIM_400000_NS6detail17trampoline_kernelINS0_14default_configENS1_32segmented_reduce_config_selectorIdEEZNS1_21segmented_reduce_implIS3_PKdPdPKidN6hipcub16HIPCUB_304000_NS6detail27convert_result_type_wrapperIS8_S9_N2at6native12_GLOBAL__N_19CustomMinEEEEE10hipError_tPvRmT0_T1_jT2_SQ_T4_T3_P12ihipStream_tbEUlT_E_NS1_11comp_targetILNS1_3genE4ELNS1_11target_archE910ELNS1_3gpuE8ELNS1_3repE0EEENS1_30default_config_static_selectorELNS0_4arch9wavefront6targetE0EEEvSP_.has_recursion, 0
	.set _ZN7rocprim17ROCPRIM_400000_NS6detail17trampoline_kernelINS0_14default_configENS1_32segmented_reduce_config_selectorIdEEZNS1_21segmented_reduce_implIS3_PKdPdPKidN6hipcub16HIPCUB_304000_NS6detail27convert_result_type_wrapperIS8_S9_N2at6native12_GLOBAL__N_19CustomMinEEEEE10hipError_tPvRmT0_T1_jT2_SQ_T4_T3_P12ihipStream_tbEUlT_E_NS1_11comp_targetILNS1_3genE4ELNS1_11target_archE910ELNS1_3gpuE8ELNS1_3repE0EEENS1_30default_config_static_selectorELNS0_4arch9wavefront6targetE0EEEvSP_.has_indirect_call, 0
	.section	.AMDGPU.csdata,"",@progbits
; Kernel info:
; codeLenInByte = 0
; TotalNumSgprs: 0
; NumVgprs: 0
; ScratchSize: 0
; MemoryBound: 0
; FloatMode: 240
; IeeeMode: 1
; LDSByteSize: 0 bytes/workgroup (compile time only)
; SGPRBlocks: 0
; VGPRBlocks: 0
; NumSGPRsForWavesPerEU: 1
; NumVGPRsForWavesPerEU: 1
; Occupancy: 16
; WaveLimiterHint : 0
; COMPUTE_PGM_RSRC2:SCRATCH_EN: 0
; COMPUTE_PGM_RSRC2:USER_SGPR: 6
; COMPUTE_PGM_RSRC2:TRAP_HANDLER: 0
; COMPUTE_PGM_RSRC2:TGID_X_EN: 1
; COMPUTE_PGM_RSRC2:TGID_Y_EN: 0
; COMPUTE_PGM_RSRC2:TGID_Z_EN: 0
; COMPUTE_PGM_RSRC2:TIDIG_COMP_CNT: 0
	.section	.text._ZN7rocprim17ROCPRIM_400000_NS6detail17trampoline_kernelINS0_14default_configENS1_32segmented_reduce_config_selectorIdEEZNS1_21segmented_reduce_implIS3_PKdPdPKidN6hipcub16HIPCUB_304000_NS6detail27convert_result_type_wrapperIS8_S9_N2at6native12_GLOBAL__N_19CustomMinEEEEE10hipError_tPvRmT0_T1_jT2_SQ_T4_T3_P12ihipStream_tbEUlT_E_NS1_11comp_targetILNS1_3genE3ELNS1_11target_archE908ELNS1_3gpuE7ELNS1_3repE0EEENS1_30default_config_static_selectorELNS0_4arch9wavefront6targetE0EEEvSP_,"axG",@progbits,_ZN7rocprim17ROCPRIM_400000_NS6detail17trampoline_kernelINS0_14default_configENS1_32segmented_reduce_config_selectorIdEEZNS1_21segmented_reduce_implIS3_PKdPdPKidN6hipcub16HIPCUB_304000_NS6detail27convert_result_type_wrapperIS8_S9_N2at6native12_GLOBAL__N_19CustomMinEEEEE10hipError_tPvRmT0_T1_jT2_SQ_T4_T3_P12ihipStream_tbEUlT_E_NS1_11comp_targetILNS1_3genE3ELNS1_11target_archE908ELNS1_3gpuE7ELNS1_3repE0EEENS1_30default_config_static_selectorELNS0_4arch9wavefront6targetE0EEEvSP_,comdat
	.globl	_ZN7rocprim17ROCPRIM_400000_NS6detail17trampoline_kernelINS0_14default_configENS1_32segmented_reduce_config_selectorIdEEZNS1_21segmented_reduce_implIS3_PKdPdPKidN6hipcub16HIPCUB_304000_NS6detail27convert_result_type_wrapperIS8_S9_N2at6native12_GLOBAL__N_19CustomMinEEEEE10hipError_tPvRmT0_T1_jT2_SQ_T4_T3_P12ihipStream_tbEUlT_E_NS1_11comp_targetILNS1_3genE3ELNS1_11target_archE908ELNS1_3gpuE7ELNS1_3repE0EEENS1_30default_config_static_selectorELNS0_4arch9wavefront6targetE0EEEvSP_ ; -- Begin function _ZN7rocprim17ROCPRIM_400000_NS6detail17trampoline_kernelINS0_14default_configENS1_32segmented_reduce_config_selectorIdEEZNS1_21segmented_reduce_implIS3_PKdPdPKidN6hipcub16HIPCUB_304000_NS6detail27convert_result_type_wrapperIS8_S9_N2at6native12_GLOBAL__N_19CustomMinEEEEE10hipError_tPvRmT0_T1_jT2_SQ_T4_T3_P12ihipStream_tbEUlT_E_NS1_11comp_targetILNS1_3genE3ELNS1_11target_archE908ELNS1_3gpuE7ELNS1_3repE0EEENS1_30default_config_static_selectorELNS0_4arch9wavefront6targetE0EEEvSP_
	.p2align	8
	.type	_ZN7rocprim17ROCPRIM_400000_NS6detail17trampoline_kernelINS0_14default_configENS1_32segmented_reduce_config_selectorIdEEZNS1_21segmented_reduce_implIS3_PKdPdPKidN6hipcub16HIPCUB_304000_NS6detail27convert_result_type_wrapperIS8_S9_N2at6native12_GLOBAL__N_19CustomMinEEEEE10hipError_tPvRmT0_T1_jT2_SQ_T4_T3_P12ihipStream_tbEUlT_E_NS1_11comp_targetILNS1_3genE3ELNS1_11target_archE908ELNS1_3gpuE7ELNS1_3repE0EEENS1_30default_config_static_selectorELNS0_4arch9wavefront6targetE0EEEvSP_,@function
_ZN7rocprim17ROCPRIM_400000_NS6detail17trampoline_kernelINS0_14default_configENS1_32segmented_reduce_config_selectorIdEEZNS1_21segmented_reduce_implIS3_PKdPdPKidN6hipcub16HIPCUB_304000_NS6detail27convert_result_type_wrapperIS8_S9_N2at6native12_GLOBAL__N_19CustomMinEEEEE10hipError_tPvRmT0_T1_jT2_SQ_T4_T3_P12ihipStream_tbEUlT_E_NS1_11comp_targetILNS1_3genE3ELNS1_11target_archE908ELNS1_3gpuE7ELNS1_3repE0EEENS1_30default_config_static_selectorELNS0_4arch9wavefront6targetE0EEEvSP_: ; @_ZN7rocprim17ROCPRIM_400000_NS6detail17trampoline_kernelINS0_14default_configENS1_32segmented_reduce_config_selectorIdEEZNS1_21segmented_reduce_implIS3_PKdPdPKidN6hipcub16HIPCUB_304000_NS6detail27convert_result_type_wrapperIS8_S9_N2at6native12_GLOBAL__N_19CustomMinEEEEE10hipError_tPvRmT0_T1_jT2_SQ_T4_T3_P12ihipStream_tbEUlT_E_NS1_11comp_targetILNS1_3genE3ELNS1_11target_archE908ELNS1_3gpuE7ELNS1_3repE0EEENS1_30default_config_static_selectorELNS0_4arch9wavefront6targetE0EEEvSP_
; %bb.0:
	.section	.rodata,"a",@progbits
	.p2align	6, 0x0
	.amdhsa_kernel _ZN7rocprim17ROCPRIM_400000_NS6detail17trampoline_kernelINS0_14default_configENS1_32segmented_reduce_config_selectorIdEEZNS1_21segmented_reduce_implIS3_PKdPdPKidN6hipcub16HIPCUB_304000_NS6detail27convert_result_type_wrapperIS8_S9_N2at6native12_GLOBAL__N_19CustomMinEEEEE10hipError_tPvRmT0_T1_jT2_SQ_T4_T3_P12ihipStream_tbEUlT_E_NS1_11comp_targetILNS1_3genE3ELNS1_11target_archE908ELNS1_3gpuE7ELNS1_3repE0EEENS1_30default_config_static_selectorELNS0_4arch9wavefront6targetE0EEEvSP_
		.amdhsa_group_segment_fixed_size 0
		.amdhsa_private_segment_fixed_size 0
		.amdhsa_kernarg_size 56
		.amdhsa_user_sgpr_count 6
		.amdhsa_user_sgpr_private_segment_buffer 1
		.amdhsa_user_sgpr_dispatch_ptr 0
		.amdhsa_user_sgpr_queue_ptr 0
		.amdhsa_user_sgpr_kernarg_segment_ptr 1
		.amdhsa_user_sgpr_dispatch_id 0
		.amdhsa_user_sgpr_flat_scratch_init 0
		.amdhsa_user_sgpr_private_segment_size 0
		.amdhsa_wavefront_size32 1
		.amdhsa_uses_dynamic_stack 0
		.amdhsa_system_sgpr_private_segment_wavefront_offset 0
		.amdhsa_system_sgpr_workgroup_id_x 1
		.amdhsa_system_sgpr_workgroup_id_y 0
		.amdhsa_system_sgpr_workgroup_id_z 0
		.amdhsa_system_sgpr_workgroup_info 0
		.amdhsa_system_vgpr_workitem_id 0
		.amdhsa_next_free_vgpr 1
		.amdhsa_next_free_sgpr 1
		.amdhsa_reserve_vcc 0
		.amdhsa_reserve_flat_scratch 0
		.amdhsa_float_round_mode_32 0
		.amdhsa_float_round_mode_16_64 0
		.amdhsa_float_denorm_mode_32 3
		.amdhsa_float_denorm_mode_16_64 3
		.amdhsa_dx10_clamp 1
		.amdhsa_ieee_mode 1
		.amdhsa_fp16_overflow 0
		.amdhsa_workgroup_processor_mode 1
		.amdhsa_memory_ordered 1
		.amdhsa_forward_progress 1
		.amdhsa_shared_vgpr_count 0
		.amdhsa_exception_fp_ieee_invalid_op 0
		.amdhsa_exception_fp_denorm_src 0
		.amdhsa_exception_fp_ieee_div_zero 0
		.amdhsa_exception_fp_ieee_overflow 0
		.amdhsa_exception_fp_ieee_underflow 0
		.amdhsa_exception_fp_ieee_inexact 0
		.amdhsa_exception_int_div_zero 0
	.end_amdhsa_kernel
	.section	.text._ZN7rocprim17ROCPRIM_400000_NS6detail17trampoline_kernelINS0_14default_configENS1_32segmented_reduce_config_selectorIdEEZNS1_21segmented_reduce_implIS3_PKdPdPKidN6hipcub16HIPCUB_304000_NS6detail27convert_result_type_wrapperIS8_S9_N2at6native12_GLOBAL__N_19CustomMinEEEEE10hipError_tPvRmT0_T1_jT2_SQ_T4_T3_P12ihipStream_tbEUlT_E_NS1_11comp_targetILNS1_3genE3ELNS1_11target_archE908ELNS1_3gpuE7ELNS1_3repE0EEENS1_30default_config_static_selectorELNS0_4arch9wavefront6targetE0EEEvSP_,"axG",@progbits,_ZN7rocprim17ROCPRIM_400000_NS6detail17trampoline_kernelINS0_14default_configENS1_32segmented_reduce_config_selectorIdEEZNS1_21segmented_reduce_implIS3_PKdPdPKidN6hipcub16HIPCUB_304000_NS6detail27convert_result_type_wrapperIS8_S9_N2at6native12_GLOBAL__N_19CustomMinEEEEE10hipError_tPvRmT0_T1_jT2_SQ_T4_T3_P12ihipStream_tbEUlT_E_NS1_11comp_targetILNS1_3genE3ELNS1_11target_archE908ELNS1_3gpuE7ELNS1_3repE0EEENS1_30default_config_static_selectorELNS0_4arch9wavefront6targetE0EEEvSP_,comdat
.Lfunc_end30:
	.size	_ZN7rocprim17ROCPRIM_400000_NS6detail17trampoline_kernelINS0_14default_configENS1_32segmented_reduce_config_selectorIdEEZNS1_21segmented_reduce_implIS3_PKdPdPKidN6hipcub16HIPCUB_304000_NS6detail27convert_result_type_wrapperIS8_S9_N2at6native12_GLOBAL__N_19CustomMinEEEEE10hipError_tPvRmT0_T1_jT2_SQ_T4_T3_P12ihipStream_tbEUlT_E_NS1_11comp_targetILNS1_3genE3ELNS1_11target_archE908ELNS1_3gpuE7ELNS1_3repE0EEENS1_30default_config_static_selectorELNS0_4arch9wavefront6targetE0EEEvSP_, .Lfunc_end30-_ZN7rocprim17ROCPRIM_400000_NS6detail17trampoline_kernelINS0_14default_configENS1_32segmented_reduce_config_selectorIdEEZNS1_21segmented_reduce_implIS3_PKdPdPKidN6hipcub16HIPCUB_304000_NS6detail27convert_result_type_wrapperIS8_S9_N2at6native12_GLOBAL__N_19CustomMinEEEEE10hipError_tPvRmT0_T1_jT2_SQ_T4_T3_P12ihipStream_tbEUlT_E_NS1_11comp_targetILNS1_3genE3ELNS1_11target_archE908ELNS1_3gpuE7ELNS1_3repE0EEENS1_30default_config_static_selectorELNS0_4arch9wavefront6targetE0EEEvSP_
                                        ; -- End function
	.set _ZN7rocprim17ROCPRIM_400000_NS6detail17trampoline_kernelINS0_14default_configENS1_32segmented_reduce_config_selectorIdEEZNS1_21segmented_reduce_implIS3_PKdPdPKidN6hipcub16HIPCUB_304000_NS6detail27convert_result_type_wrapperIS8_S9_N2at6native12_GLOBAL__N_19CustomMinEEEEE10hipError_tPvRmT0_T1_jT2_SQ_T4_T3_P12ihipStream_tbEUlT_E_NS1_11comp_targetILNS1_3genE3ELNS1_11target_archE908ELNS1_3gpuE7ELNS1_3repE0EEENS1_30default_config_static_selectorELNS0_4arch9wavefront6targetE0EEEvSP_.num_vgpr, 0
	.set _ZN7rocprim17ROCPRIM_400000_NS6detail17trampoline_kernelINS0_14default_configENS1_32segmented_reduce_config_selectorIdEEZNS1_21segmented_reduce_implIS3_PKdPdPKidN6hipcub16HIPCUB_304000_NS6detail27convert_result_type_wrapperIS8_S9_N2at6native12_GLOBAL__N_19CustomMinEEEEE10hipError_tPvRmT0_T1_jT2_SQ_T4_T3_P12ihipStream_tbEUlT_E_NS1_11comp_targetILNS1_3genE3ELNS1_11target_archE908ELNS1_3gpuE7ELNS1_3repE0EEENS1_30default_config_static_selectorELNS0_4arch9wavefront6targetE0EEEvSP_.num_agpr, 0
	.set _ZN7rocprim17ROCPRIM_400000_NS6detail17trampoline_kernelINS0_14default_configENS1_32segmented_reduce_config_selectorIdEEZNS1_21segmented_reduce_implIS3_PKdPdPKidN6hipcub16HIPCUB_304000_NS6detail27convert_result_type_wrapperIS8_S9_N2at6native12_GLOBAL__N_19CustomMinEEEEE10hipError_tPvRmT0_T1_jT2_SQ_T4_T3_P12ihipStream_tbEUlT_E_NS1_11comp_targetILNS1_3genE3ELNS1_11target_archE908ELNS1_3gpuE7ELNS1_3repE0EEENS1_30default_config_static_selectorELNS0_4arch9wavefront6targetE0EEEvSP_.numbered_sgpr, 0
	.set _ZN7rocprim17ROCPRIM_400000_NS6detail17trampoline_kernelINS0_14default_configENS1_32segmented_reduce_config_selectorIdEEZNS1_21segmented_reduce_implIS3_PKdPdPKidN6hipcub16HIPCUB_304000_NS6detail27convert_result_type_wrapperIS8_S9_N2at6native12_GLOBAL__N_19CustomMinEEEEE10hipError_tPvRmT0_T1_jT2_SQ_T4_T3_P12ihipStream_tbEUlT_E_NS1_11comp_targetILNS1_3genE3ELNS1_11target_archE908ELNS1_3gpuE7ELNS1_3repE0EEENS1_30default_config_static_selectorELNS0_4arch9wavefront6targetE0EEEvSP_.num_named_barrier, 0
	.set _ZN7rocprim17ROCPRIM_400000_NS6detail17trampoline_kernelINS0_14default_configENS1_32segmented_reduce_config_selectorIdEEZNS1_21segmented_reduce_implIS3_PKdPdPKidN6hipcub16HIPCUB_304000_NS6detail27convert_result_type_wrapperIS8_S9_N2at6native12_GLOBAL__N_19CustomMinEEEEE10hipError_tPvRmT0_T1_jT2_SQ_T4_T3_P12ihipStream_tbEUlT_E_NS1_11comp_targetILNS1_3genE3ELNS1_11target_archE908ELNS1_3gpuE7ELNS1_3repE0EEENS1_30default_config_static_selectorELNS0_4arch9wavefront6targetE0EEEvSP_.private_seg_size, 0
	.set _ZN7rocprim17ROCPRIM_400000_NS6detail17trampoline_kernelINS0_14default_configENS1_32segmented_reduce_config_selectorIdEEZNS1_21segmented_reduce_implIS3_PKdPdPKidN6hipcub16HIPCUB_304000_NS6detail27convert_result_type_wrapperIS8_S9_N2at6native12_GLOBAL__N_19CustomMinEEEEE10hipError_tPvRmT0_T1_jT2_SQ_T4_T3_P12ihipStream_tbEUlT_E_NS1_11comp_targetILNS1_3genE3ELNS1_11target_archE908ELNS1_3gpuE7ELNS1_3repE0EEENS1_30default_config_static_selectorELNS0_4arch9wavefront6targetE0EEEvSP_.uses_vcc, 0
	.set _ZN7rocprim17ROCPRIM_400000_NS6detail17trampoline_kernelINS0_14default_configENS1_32segmented_reduce_config_selectorIdEEZNS1_21segmented_reduce_implIS3_PKdPdPKidN6hipcub16HIPCUB_304000_NS6detail27convert_result_type_wrapperIS8_S9_N2at6native12_GLOBAL__N_19CustomMinEEEEE10hipError_tPvRmT0_T1_jT2_SQ_T4_T3_P12ihipStream_tbEUlT_E_NS1_11comp_targetILNS1_3genE3ELNS1_11target_archE908ELNS1_3gpuE7ELNS1_3repE0EEENS1_30default_config_static_selectorELNS0_4arch9wavefront6targetE0EEEvSP_.uses_flat_scratch, 0
	.set _ZN7rocprim17ROCPRIM_400000_NS6detail17trampoline_kernelINS0_14default_configENS1_32segmented_reduce_config_selectorIdEEZNS1_21segmented_reduce_implIS3_PKdPdPKidN6hipcub16HIPCUB_304000_NS6detail27convert_result_type_wrapperIS8_S9_N2at6native12_GLOBAL__N_19CustomMinEEEEE10hipError_tPvRmT0_T1_jT2_SQ_T4_T3_P12ihipStream_tbEUlT_E_NS1_11comp_targetILNS1_3genE3ELNS1_11target_archE908ELNS1_3gpuE7ELNS1_3repE0EEENS1_30default_config_static_selectorELNS0_4arch9wavefront6targetE0EEEvSP_.has_dyn_sized_stack, 0
	.set _ZN7rocprim17ROCPRIM_400000_NS6detail17trampoline_kernelINS0_14default_configENS1_32segmented_reduce_config_selectorIdEEZNS1_21segmented_reduce_implIS3_PKdPdPKidN6hipcub16HIPCUB_304000_NS6detail27convert_result_type_wrapperIS8_S9_N2at6native12_GLOBAL__N_19CustomMinEEEEE10hipError_tPvRmT0_T1_jT2_SQ_T4_T3_P12ihipStream_tbEUlT_E_NS1_11comp_targetILNS1_3genE3ELNS1_11target_archE908ELNS1_3gpuE7ELNS1_3repE0EEENS1_30default_config_static_selectorELNS0_4arch9wavefront6targetE0EEEvSP_.has_recursion, 0
	.set _ZN7rocprim17ROCPRIM_400000_NS6detail17trampoline_kernelINS0_14default_configENS1_32segmented_reduce_config_selectorIdEEZNS1_21segmented_reduce_implIS3_PKdPdPKidN6hipcub16HIPCUB_304000_NS6detail27convert_result_type_wrapperIS8_S9_N2at6native12_GLOBAL__N_19CustomMinEEEEE10hipError_tPvRmT0_T1_jT2_SQ_T4_T3_P12ihipStream_tbEUlT_E_NS1_11comp_targetILNS1_3genE3ELNS1_11target_archE908ELNS1_3gpuE7ELNS1_3repE0EEENS1_30default_config_static_selectorELNS0_4arch9wavefront6targetE0EEEvSP_.has_indirect_call, 0
	.section	.AMDGPU.csdata,"",@progbits
; Kernel info:
; codeLenInByte = 0
; TotalNumSgprs: 0
; NumVgprs: 0
; ScratchSize: 0
; MemoryBound: 0
; FloatMode: 240
; IeeeMode: 1
; LDSByteSize: 0 bytes/workgroup (compile time only)
; SGPRBlocks: 0
; VGPRBlocks: 0
; NumSGPRsForWavesPerEU: 1
; NumVGPRsForWavesPerEU: 1
; Occupancy: 16
; WaveLimiterHint : 0
; COMPUTE_PGM_RSRC2:SCRATCH_EN: 0
; COMPUTE_PGM_RSRC2:USER_SGPR: 6
; COMPUTE_PGM_RSRC2:TRAP_HANDLER: 0
; COMPUTE_PGM_RSRC2:TGID_X_EN: 1
; COMPUTE_PGM_RSRC2:TGID_Y_EN: 0
; COMPUTE_PGM_RSRC2:TGID_Z_EN: 0
; COMPUTE_PGM_RSRC2:TIDIG_COMP_CNT: 0
	.section	.text._ZN7rocprim17ROCPRIM_400000_NS6detail17trampoline_kernelINS0_14default_configENS1_32segmented_reduce_config_selectorIdEEZNS1_21segmented_reduce_implIS3_PKdPdPKidN6hipcub16HIPCUB_304000_NS6detail27convert_result_type_wrapperIS8_S9_N2at6native12_GLOBAL__N_19CustomMinEEEEE10hipError_tPvRmT0_T1_jT2_SQ_T4_T3_P12ihipStream_tbEUlT_E_NS1_11comp_targetILNS1_3genE2ELNS1_11target_archE906ELNS1_3gpuE6ELNS1_3repE0EEENS1_30default_config_static_selectorELNS0_4arch9wavefront6targetE0EEEvSP_,"axG",@progbits,_ZN7rocprim17ROCPRIM_400000_NS6detail17trampoline_kernelINS0_14default_configENS1_32segmented_reduce_config_selectorIdEEZNS1_21segmented_reduce_implIS3_PKdPdPKidN6hipcub16HIPCUB_304000_NS6detail27convert_result_type_wrapperIS8_S9_N2at6native12_GLOBAL__N_19CustomMinEEEEE10hipError_tPvRmT0_T1_jT2_SQ_T4_T3_P12ihipStream_tbEUlT_E_NS1_11comp_targetILNS1_3genE2ELNS1_11target_archE906ELNS1_3gpuE6ELNS1_3repE0EEENS1_30default_config_static_selectorELNS0_4arch9wavefront6targetE0EEEvSP_,comdat
	.globl	_ZN7rocprim17ROCPRIM_400000_NS6detail17trampoline_kernelINS0_14default_configENS1_32segmented_reduce_config_selectorIdEEZNS1_21segmented_reduce_implIS3_PKdPdPKidN6hipcub16HIPCUB_304000_NS6detail27convert_result_type_wrapperIS8_S9_N2at6native12_GLOBAL__N_19CustomMinEEEEE10hipError_tPvRmT0_T1_jT2_SQ_T4_T3_P12ihipStream_tbEUlT_E_NS1_11comp_targetILNS1_3genE2ELNS1_11target_archE906ELNS1_3gpuE6ELNS1_3repE0EEENS1_30default_config_static_selectorELNS0_4arch9wavefront6targetE0EEEvSP_ ; -- Begin function _ZN7rocprim17ROCPRIM_400000_NS6detail17trampoline_kernelINS0_14default_configENS1_32segmented_reduce_config_selectorIdEEZNS1_21segmented_reduce_implIS3_PKdPdPKidN6hipcub16HIPCUB_304000_NS6detail27convert_result_type_wrapperIS8_S9_N2at6native12_GLOBAL__N_19CustomMinEEEEE10hipError_tPvRmT0_T1_jT2_SQ_T4_T3_P12ihipStream_tbEUlT_E_NS1_11comp_targetILNS1_3genE2ELNS1_11target_archE906ELNS1_3gpuE6ELNS1_3repE0EEENS1_30default_config_static_selectorELNS0_4arch9wavefront6targetE0EEEvSP_
	.p2align	8
	.type	_ZN7rocprim17ROCPRIM_400000_NS6detail17trampoline_kernelINS0_14default_configENS1_32segmented_reduce_config_selectorIdEEZNS1_21segmented_reduce_implIS3_PKdPdPKidN6hipcub16HIPCUB_304000_NS6detail27convert_result_type_wrapperIS8_S9_N2at6native12_GLOBAL__N_19CustomMinEEEEE10hipError_tPvRmT0_T1_jT2_SQ_T4_T3_P12ihipStream_tbEUlT_E_NS1_11comp_targetILNS1_3genE2ELNS1_11target_archE906ELNS1_3gpuE6ELNS1_3repE0EEENS1_30default_config_static_selectorELNS0_4arch9wavefront6targetE0EEEvSP_,@function
_ZN7rocprim17ROCPRIM_400000_NS6detail17trampoline_kernelINS0_14default_configENS1_32segmented_reduce_config_selectorIdEEZNS1_21segmented_reduce_implIS3_PKdPdPKidN6hipcub16HIPCUB_304000_NS6detail27convert_result_type_wrapperIS8_S9_N2at6native12_GLOBAL__N_19CustomMinEEEEE10hipError_tPvRmT0_T1_jT2_SQ_T4_T3_P12ihipStream_tbEUlT_E_NS1_11comp_targetILNS1_3genE2ELNS1_11target_archE906ELNS1_3gpuE6ELNS1_3repE0EEENS1_30default_config_static_selectorELNS0_4arch9wavefront6targetE0EEEvSP_: ; @_ZN7rocprim17ROCPRIM_400000_NS6detail17trampoline_kernelINS0_14default_configENS1_32segmented_reduce_config_selectorIdEEZNS1_21segmented_reduce_implIS3_PKdPdPKidN6hipcub16HIPCUB_304000_NS6detail27convert_result_type_wrapperIS8_S9_N2at6native12_GLOBAL__N_19CustomMinEEEEE10hipError_tPvRmT0_T1_jT2_SQ_T4_T3_P12ihipStream_tbEUlT_E_NS1_11comp_targetILNS1_3genE2ELNS1_11target_archE906ELNS1_3gpuE6ELNS1_3repE0EEENS1_30default_config_static_selectorELNS0_4arch9wavefront6targetE0EEEvSP_
; %bb.0:
	.section	.rodata,"a",@progbits
	.p2align	6, 0x0
	.amdhsa_kernel _ZN7rocprim17ROCPRIM_400000_NS6detail17trampoline_kernelINS0_14default_configENS1_32segmented_reduce_config_selectorIdEEZNS1_21segmented_reduce_implIS3_PKdPdPKidN6hipcub16HIPCUB_304000_NS6detail27convert_result_type_wrapperIS8_S9_N2at6native12_GLOBAL__N_19CustomMinEEEEE10hipError_tPvRmT0_T1_jT2_SQ_T4_T3_P12ihipStream_tbEUlT_E_NS1_11comp_targetILNS1_3genE2ELNS1_11target_archE906ELNS1_3gpuE6ELNS1_3repE0EEENS1_30default_config_static_selectorELNS0_4arch9wavefront6targetE0EEEvSP_
		.amdhsa_group_segment_fixed_size 0
		.amdhsa_private_segment_fixed_size 0
		.amdhsa_kernarg_size 56
		.amdhsa_user_sgpr_count 6
		.amdhsa_user_sgpr_private_segment_buffer 1
		.amdhsa_user_sgpr_dispatch_ptr 0
		.amdhsa_user_sgpr_queue_ptr 0
		.amdhsa_user_sgpr_kernarg_segment_ptr 1
		.amdhsa_user_sgpr_dispatch_id 0
		.amdhsa_user_sgpr_flat_scratch_init 0
		.amdhsa_user_sgpr_private_segment_size 0
		.amdhsa_wavefront_size32 1
		.amdhsa_uses_dynamic_stack 0
		.amdhsa_system_sgpr_private_segment_wavefront_offset 0
		.amdhsa_system_sgpr_workgroup_id_x 1
		.amdhsa_system_sgpr_workgroup_id_y 0
		.amdhsa_system_sgpr_workgroup_id_z 0
		.amdhsa_system_sgpr_workgroup_info 0
		.amdhsa_system_vgpr_workitem_id 0
		.amdhsa_next_free_vgpr 1
		.amdhsa_next_free_sgpr 1
		.amdhsa_reserve_vcc 0
		.amdhsa_reserve_flat_scratch 0
		.amdhsa_float_round_mode_32 0
		.amdhsa_float_round_mode_16_64 0
		.amdhsa_float_denorm_mode_32 3
		.amdhsa_float_denorm_mode_16_64 3
		.amdhsa_dx10_clamp 1
		.amdhsa_ieee_mode 1
		.amdhsa_fp16_overflow 0
		.amdhsa_workgroup_processor_mode 1
		.amdhsa_memory_ordered 1
		.amdhsa_forward_progress 1
		.amdhsa_shared_vgpr_count 0
		.amdhsa_exception_fp_ieee_invalid_op 0
		.amdhsa_exception_fp_denorm_src 0
		.amdhsa_exception_fp_ieee_div_zero 0
		.amdhsa_exception_fp_ieee_overflow 0
		.amdhsa_exception_fp_ieee_underflow 0
		.amdhsa_exception_fp_ieee_inexact 0
		.amdhsa_exception_int_div_zero 0
	.end_amdhsa_kernel
	.section	.text._ZN7rocprim17ROCPRIM_400000_NS6detail17trampoline_kernelINS0_14default_configENS1_32segmented_reduce_config_selectorIdEEZNS1_21segmented_reduce_implIS3_PKdPdPKidN6hipcub16HIPCUB_304000_NS6detail27convert_result_type_wrapperIS8_S9_N2at6native12_GLOBAL__N_19CustomMinEEEEE10hipError_tPvRmT0_T1_jT2_SQ_T4_T3_P12ihipStream_tbEUlT_E_NS1_11comp_targetILNS1_3genE2ELNS1_11target_archE906ELNS1_3gpuE6ELNS1_3repE0EEENS1_30default_config_static_selectorELNS0_4arch9wavefront6targetE0EEEvSP_,"axG",@progbits,_ZN7rocprim17ROCPRIM_400000_NS6detail17trampoline_kernelINS0_14default_configENS1_32segmented_reduce_config_selectorIdEEZNS1_21segmented_reduce_implIS3_PKdPdPKidN6hipcub16HIPCUB_304000_NS6detail27convert_result_type_wrapperIS8_S9_N2at6native12_GLOBAL__N_19CustomMinEEEEE10hipError_tPvRmT0_T1_jT2_SQ_T4_T3_P12ihipStream_tbEUlT_E_NS1_11comp_targetILNS1_3genE2ELNS1_11target_archE906ELNS1_3gpuE6ELNS1_3repE0EEENS1_30default_config_static_selectorELNS0_4arch9wavefront6targetE0EEEvSP_,comdat
.Lfunc_end31:
	.size	_ZN7rocprim17ROCPRIM_400000_NS6detail17trampoline_kernelINS0_14default_configENS1_32segmented_reduce_config_selectorIdEEZNS1_21segmented_reduce_implIS3_PKdPdPKidN6hipcub16HIPCUB_304000_NS6detail27convert_result_type_wrapperIS8_S9_N2at6native12_GLOBAL__N_19CustomMinEEEEE10hipError_tPvRmT0_T1_jT2_SQ_T4_T3_P12ihipStream_tbEUlT_E_NS1_11comp_targetILNS1_3genE2ELNS1_11target_archE906ELNS1_3gpuE6ELNS1_3repE0EEENS1_30default_config_static_selectorELNS0_4arch9wavefront6targetE0EEEvSP_, .Lfunc_end31-_ZN7rocprim17ROCPRIM_400000_NS6detail17trampoline_kernelINS0_14default_configENS1_32segmented_reduce_config_selectorIdEEZNS1_21segmented_reduce_implIS3_PKdPdPKidN6hipcub16HIPCUB_304000_NS6detail27convert_result_type_wrapperIS8_S9_N2at6native12_GLOBAL__N_19CustomMinEEEEE10hipError_tPvRmT0_T1_jT2_SQ_T4_T3_P12ihipStream_tbEUlT_E_NS1_11comp_targetILNS1_3genE2ELNS1_11target_archE906ELNS1_3gpuE6ELNS1_3repE0EEENS1_30default_config_static_selectorELNS0_4arch9wavefront6targetE0EEEvSP_
                                        ; -- End function
	.set _ZN7rocprim17ROCPRIM_400000_NS6detail17trampoline_kernelINS0_14default_configENS1_32segmented_reduce_config_selectorIdEEZNS1_21segmented_reduce_implIS3_PKdPdPKidN6hipcub16HIPCUB_304000_NS6detail27convert_result_type_wrapperIS8_S9_N2at6native12_GLOBAL__N_19CustomMinEEEEE10hipError_tPvRmT0_T1_jT2_SQ_T4_T3_P12ihipStream_tbEUlT_E_NS1_11comp_targetILNS1_3genE2ELNS1_11target_archE906ELNS1_3gpuE6ELNS1_3repE0EEENS1_30default_config_static_selectorELNS0_4arch9wavefront6targetE0EEEvSP_.num_vgpr, 0
	.set _ZN7rocprim17ROCPRIM_400000_NS6detail17trampoline_kernelINS0_14default_configENS1_32segmented_reduce_config_selectorIdEEZNS1_21segmented_reduce_implIS3_PKdPdPKidN6hipcub16HIPCUB_304000_NS6detail27convert_result_type_wrapperIS8_S9_N2at6native12_GLOBAL__N_19CustomMinEEEEE10hipError_tPvRmT0_T1_jT2_SQ_T4_T3_P12ihipStream_tbEUlT_E_NS1_11comp_targetILNS1_3genE2ELNS1_11target_archE906ELNS1_3gpuE6ELNS1_3repE0EEENS1_30default_config_static_selectorELNS0_4arch9wavefront6targetE0EEEvSP_.num_agpr, 0
	.set _ZN7rocprim17ROCPRIM_400000_NS6detail17trampoline_kernelINS0_14default_configENS1_32segmented_reduce_config_selectorIdEEZNS1_21segmented_reduce_implIS3_PKdPdPKidN6hipcub16HIPCUB_304000_NS6detail27convert_result_type_wrapperIS8_S9_N2at6native12_GLOBAL__N_19CustomMinEEEEE10hipError_tPvRmT0_T1_jT2_SQ_T4_T3_P12ihipStream_tbEUlT_E_NS1_11comp_targetILNS1_3genE2ELNS1_11target_archE906ELNS1_3gpuE6ELNS1_3repE0EEENS1_30default_config_static_selectorELNS0_4arch9wavefront6targetE0EEEvSP_.numbered_sgpr, 0
	.set _ZN7rocprim17ROCPRIM_400000_NS6detail17trampoline_kernelINS0_14default_configENS1_32segmented_reduce_config_selectorIdEEZNS1_21segmented_reduce_implIS3_PKdPdPKidN6hipcub16HIPCUB_304000_NS6detail27convert_result_type_wrapperIS8_S9_N2at6native12_GLOBAL__N_19CustomMinEEEEE10hipError_tPvRmT0_T1_jT2_SQ_T4_T3_P12ihipStream_tbEUlT_E_NS1_11comp_targetILNS1_3genE2ELNS1_11target_archE906ELNS1_3gpuE6ELNS1_3repE0EEENS1_30default_config_static_selectorELNS0_4arch9wavefront6targetE0EEEvSP_.num_named_barrier, 0
	.set _ZN7rocprim17ROCPRIM_400000_NS6detail17trampoline_kernelINS0_14default_configENS1_32segmented_reduce_config_selectorIdEEZNS1_21segmented_reduce_implIS3_PKdPdPKidN6hipcub16HIPCUB_304000_NS6detail27convert_result_type_wrapperIS8_S9_N2at6native12_GLOBAL__N_19CustomMinEEEEE10hipError_tPvRmT0_T1_jT2_SQ_T4_T3_P12ihipStream_tbEUlT_E_NS1_11comp_targetILNS1_3genE2ELNS1_11target_archE906ELNS1_3gpuE6ELNS1_3repE0EEENS1_30default_config_static_selectorELNS0_4arch9wavefront6targetE0EEEvSP_.private_seg_size, 0
	.set _ZN7rocprim17ROCPRIM_400000_NS6detail17trampoline_kernelINS0_14default_configENS1_32segmented_reduce_config_selectorIdEEZNS1_21segmented_reduce_implIS3_PKdPdPKidN6hipcub16HIPCUB_304000_NS6detail27convert_result_type_wrapperIS8_S9_N2at6native12_GLOBAL__N_19CustomMinEEEEE10hipError_tPvRmT0_T1_jT2_SQ_T4_T3_P12ihipStream_tbEUlT_E_NS1_11comp_targetILNS1_3genE2ELNS1_11target_archE906ELNS1_3gpuE6ELNS1_3repE0EEENS1_30default_config_static_selectorELNS0_4arch9wavefront6targetE0EEEvSP_.uses_vcc, 0
	.set _ZN7rocprim17ROCPRIM_400000_NS6detail17trampoline_kernelINS0_14default_configENS1_32segmented_reduce_config_selectorIdEEZNS1_21segmented_reduce_implIS3_PKdPdPKidN6hipcub16HIPCUB_304000_NS6detail27convert_result_type_wrapperIS8_S9_N2at6native12_GLOBAL__N_19CustomMinEEEEE10hipError_tPvRmT0_T1_jT2_SQ_T4_T3_P12ihipStream_tbEUlT_E_NS1_11comp_targetILNS1_3genE2ELNS1_11target_archE906ELNS1_3gpuE6ELNS1_3repE0EEENS1_30default_config_static_selectorELNS0_4arch9wavefront6targetE0EEEvSP_.uses_flat_scratch, 0
	.set _ZN7rocprim17ROCPRIM_400000_NS6detail17trampoline_kernelINS0_14default_configENS1_32segmented_reduce_config_selectorIdEEZNS1_21segmented_reduce_implIS3_PKdPdPKidN6hipcub16HIPCUB_304000_NS6detail27convert_result_type_wrapperIS8_S9_N2at6native12_GLOBAL__N_19CustomMinEEEEE10hipError_tPvRmT0_T1_jT2_SQ_T4_T3_P12ihipStream_tbEUlT_E_NS1_11comp_targetILNS1_3genE2ELNS1_11target_archE906ELNS1_3gpuE6ELNS1_3repE0EEENS1_30default_config_static_selectorELNS0_4arch9wavefront6targetE0EEEvSP_.has_dyn_sized_stack, 0
	.set _ZN7rocprim17ROCPRIM_400000_NS6detail17trampoline_kernelINS0_14default_configENS1_32segmented_reduce_config_selectorIdEEZNS1_21segmented_reduce_implIS3_PKdPdPKidN6hipcub16HIPCUB_304000_NS6detail27convert_result_type_wrapperIS8_S9_N2at6native12_GLOBAL__N_19CustomMinEEEEE10hipError_tPvRmT0_T1_jT2_SQ_T4_T3_P12ihipStream_tbEUlT_E_NS1_11comp_targetILNS1_3genE2ELNS1_11target_archE906ELNS1_3gpuE6ELNS1_3repE0EEENS1_30default_config_static_selectorELNS0_4arch9wavefront6targetE0EEEvSP_.has_recursion, 0
	.set _ZN7rocprim17ROCPRIM_400000_NS6detail17trampoline_kernelINS0_14default_configENS1_32segmented_reduce_config_selectorIdEEZNS1_21segmented_reduce_implIS3_PKdPdPKidN6hipcub16HIPCUB_304000_NS6detail27convert_result_type_wrapperIS8_S9_N2at6native12_GLOBAL__N_19CustomMinEEEEE10hipError_tPvRmT0_T1_jT2_SQ_T4_T3_P12ihipStream_tbEUlT_E_NS1_11comp_targetILNS1_3genE2ELNS1_11target_archE906ELNS1_3gpuE6ELNS1_3repE0EEENS1_30default_config_static_selectorELNS0_4arch9wavefront6targetE0EEEvSP_.has_indirect_call, 0
	.section	.AMDGPU.csdata,"",@progbits
; Kernel info:
; codeLenInByte = 0
; TotalNumSgprs: 0
; NumVgprs: 0
; ScratchSize: 0
; MemoryBound: 0
; FloatMode: 240
; IeeeMode: 1
; LDSByteSize: 0 bytes/workgroup (compile time only)
; SGPRBlocks: 0
; VGPRBlocks: 0
; NumSGPRsForWavesPerEU: 1
; NumVGPRsForWavesPerEU: 1
; Occupancy: 16
; WaveLimiterHint : 0
; COMPUTE_PGM_RSRC2:SCRATCH_EN: 0
; COMPUTE_PGM_RSRC2:USER_SGPR: 6
; COMPUTE_PGM_RSRC2:TRAP_HANDLER: 0
; COMPUTE_PGM_RSRC2:TGID_X_EN: 1
; COMPUTE_PGM_RSRC2:TGID_Y_EN: 0
; COMPUTE_PGM_RSRC2:TGID_Z_EN: 0
; COMPUTE_PGM_RSRC2:TIDIG_COMP_CNT: 0
	.section	.text._ZN7rocprim17ROCPRIM_400000_NS6detail17trampoline_kernelINS0_14default_configENS1_32segmented_reduce_config_selectorIdEEZNS1_21segmented_reduce_implIS3_PKdPdPKidN6hipcub16HIPCUB_304000_NS6detail27convert_result_type_wrapperIS8_S9_N2at6native12_GLOBAL__N_19CustomMinEEEEE10hipError_tPvRmT0_T1_jT2_SQ_T4_T3_P12ihipStream_tbEUlT_E_NS1_11comp_targetILNS1_3genE9ELNS1_11target_archE1100ELNS1_3gpuE3ELNS1_3repE0EEENS1_30default_config_static_selectorELNS0_4arch9wavefront6targetE0EEEvSP_,"axG",@progbits,_ZN7rocprim17ROCPRIM_400000_NS6detail17trampoline_kernelINS0_14default_configENS1_32segmented_reduce_config_selectorIdEEZNS1_21segmented_reduce_implIS3_PKdPdPKidN6hipcub16HIPCUB_304000_NS6detail27convert_result_type_wrapperIS8_S9_N2at6native12_GLOBAL__N_19CustomMinEEEEE10hipError_tPvRmT0_T1_jT2_SQ_T4_T3_P12ihipStream_tbEUlT_E_NS1_11comp_targetILNS1_3genE9ELNS1_11target_archE1100ELNS1_3gpuE3ELNS1_3repE0EEENS1_30default_config_static_selectorELNS0_4arch9wavefront6targetE0EEEvSP_,comdat
	.globl	_ZN7rocprim17ROCPRIM_400000_NS6detail17trampoline_kernelINS0_14default_configENS1_32segmented_reduce_config_selectorIdEEZNS1_21segmented_reduce_implIS3_PKdPdPKidN6hipcub16HIPCUB_304000_NS6detail27convert_result_type_wrapperIS8_S9_N2at6native12_GLOBAL__N_19CustomMinEEEEE10hipError_tPvRmT0_T1_jT2_SQ_T4_T3_P12ihipStream_tbEUlT_E_NS1_11comp_targetILNS1_3genE9ELNS1_11target_archE1100ELNS1_3gpuE3ELNS1_3repE0EEENS1_30default_config_static_selectorELNS0_4arch9wavefront6targetE0EEEvSP_ ; -- Begin function _ZN7rocprim17ROCPRIM_400000_NS6detail17trampoline_kernelINS0_14default_configENS1_32segmented_reduce_config_selectorIdEEZNS1_21segmented_reduce_implIS3_PKdPdPKidN6hipcub16HIPCUB_304000_NS6detail27convert_result_type_wrapperIS8_S9_N2at6native12_GLOBAL__N_19CustomMinEEEEE10hipError_tPvRmT0_T1_jT2_SQ_T4_T3_P12ihipStream_tbEUlT_E_NS1_11comp_targetILNS1_3genE9ELNS1_11target_archE1100ELNS1_3gpuE3ELNS1_3repE0EEENS1_30default_config_static_selectorELNS0_4arch9wavefront6targetE0EEEvSP_
	.p2align	8
	.type	_ZN7rocprim17ROCPRIM_400000_NS6detail17trampoline_kernelINS0_14default_configENS1_32segmented_reduce_config_selectorIdEEZNS1_21segmented_reduce_implIS3_PKdPdPKidN6hipcub16HIPCUB_304000_NS6detail27convert_result_type_wrapperIS8_S9_N2at6native12_GLOBAL__N_19CustomMinEEEEE10hipError_tPvRmT0_T1_jT2_SQ_T4_T3_P12ihipStream_tbEUlT_E_NS1_11comp_targetILNS1_3genE9ELNS1_11target_archE1100ELNS1_3gpuE3ELNS1_3repE0EEENS1_30default_config_static_selectorELNS0_4arch9wavefront6targetE0EEEvSP_,@function
_ZN7rocprim17ROCPRIM_400000_NS6detail17trampoline_kernelINS0_14default_configENS1_32segmented_reduce_config_selectorIdEEZNS1_21segmented_reduce_implIS3_PKdPdPKidN6hipcub16HIPCUB_304000_NS6detail27convert_result_type_wrapperIS8_S9_N2at6native12_GLOBAL__N_19CustomMinEEEEE10hipError_tPvRmT0_T1_jT2_SQ_T4_T3_P12ihipStream_tbEUlT_E_NS1_11comp_targetILNS1_3genE9ELNS1_11target_archE1100ELNS1_3gpuE3ELNS1_3repE0EEENS1_30default_config_static_selectorELNS0_4arch9wavefront6targetE0EEEvSP_: ; @_ZN7rocprim17ROCPRIM_400000_NS6detail17trampoline_kernelINS0_14default_configENS1_32segmented_reduce_config_selectorIdEEZNS1_21segmented_reduce_implIS3_PKdPdPKidN6hipcub16HIPCUB_304000_NS6detail27convert_result_type_wrapperIS8_S9_N2at6native12_GLOBAL__N_19CustomMinEEEEE10hipError_tPvRmT0_T1_jT2_SQ_T4_T3_P12ihipStream_tbEUlT_E_NS1_11comp_targetILNS1_3genE9ELNS1_11target_archE1100ELNS1_3gpuE3ELNS1_3repE0EEENS1_30default_config_static_selectorELNS0_4arch9wavefront6targetE0EEEvSP_
; %bb.0:
	.section	.rodata,"a",@progbits
	.p2align	6, 0x0
	.amdhsa_kernel _ZN7rocprim17ROCPRIM_400000_NS6detail17trampoline_kernelINS0_14default_configENS1_32segmented_reduce_config_selectorIdEEZNS1_21segmented_reduce_implIS3_PKdPdPKidN6hipcub16HIPCUB_304000_NS6detail27convert_result_type_wrapperIS8_S9_N2at6native12_GLOBAL__N_19CustomMinEEEEE10hipError_tPvRmT0_T1_jT2_SQ_T4_T3_P12ihipStream_tbEUlT_E_NS1_11comp_targetILNS1_3genE9ELNS1_11target_archE1100ELNS1_3gpuE3ELNS1_3repE0EEENS1_30default_config_static_selectorELNS0_4arch9wavefront6targetE0EEEvSP_
		.amdhsa_group_segment_fixed_size 0
		.amdhsa_private_segment_fixed_size 0
		.amdhsa_kernarg_size 56
		.amdhsa_user_sgpr_count 6
		.amdhsa_user_sgpr_private_segment_buffer 1
		.amdhsa_user_sgpr_dispatch_ptr 0
		.amdhsa_user_sgpr_queue_ptr 0
		.amdhsa_user_sgpr_kernarg_segment_ptr 1
		.amdhsa_user_sgpr_dispatch_id 0
		.amdhsa_user_sgpr_flat_scratch_init 0
		.amdhsa_user_sgpr_private_segment_size 0
		.amdhsa_wavefront_size32 1
		.amdhsa_uses_dynamic_stack 0
		.amdhsa_system_sgpr_private_segment_wavefront_offset 0
		.amdhsa_system_sgpr_workgroup_id_x 1
		.amdhsa_system_sgpr_workgroup_id_y 0
		.amdhsa_system_sgpr_workgroup_id_z 0
		.amdhsa_system_sgpr_workgroup_info 0
		.amdhsa_system_vgpr_workitem_id 0
		.amdhsa_next_free_vgpr 1
		.amdhsa_next_free_sgpr 1
		.amdhsa_reserve_vcc 0
		.amdhsa_reserve_flat_scratch 0
		.amdhsa_float_round_mode_32 0
		.amdhsa_float_round_mode_16_64 0
		.amdhsa_float_denorm_mode_32 3
		.amdhsa_float_denorm_mode_16_64 3
		.amdhsa_dx10_clamp 1
		.amdhsa_ieee_mode 1
		.amdhsa_fp16_overflow 0
		.amdhsa_workgroup_processor_mode 1
		.amdhsa_memory_ordered 1
		.amdhsa_forward_progress 1
		.amdhsa_shared_vgpr_count 0
		.amdhsa_exception_fp_ieee_invalid_op 0
		.amdhsa_exception_fp_denorm_src 0
		.amdhsa_exception_fp_ieee_div_zero 0
		.amdhsa_exception_fp_ieee_overflow 0
		.amdhsa_exception_fp_ieee_underflow 0
		.amdhsa_exception_fp_ieee_inexact 0
		.amdhsa_exception_int_div_zero 0
	.end_amdhsa_kernel
	.section	.text._ZN7rocprim17ROCPRIM_400000_NS6detail17trampoline_kernelINS0_14default_configENS1_32segmented_reduce_config_selectorIdEEZNS1_21segmented_reduce_implIS3_PKdPdPKidN6hipcub16HIPCUB_304000_NS6detail27convert_result_type_wrapperIS8_S9_N2at6native12_GLOBAL__N_19CustomMinEEEEE10hipError_tPvRmT0_T1_jT2_SQ_T4_T3_P12ihipStream_tbEUlT_E_NS1_11comp_targetILNS1_3genE9ELNS1_11target_archE1100ELNS1_3gpuE3ELNS1_3repE0EEENS1_30default_config_static_selectorELNS0_4arch9wavefront6targetE0EEEvSP_,"axG",@progbits,_ZN7rocprim17ROCPRIM_400000_NS6detail17trampoline_kernelINS0_14default_configENS1_32segmented_reduce_config_selectorIdEEZNS1_21segmented_reduce_implIS3_PKdPdPKidN6hipcub16HIPCUB_304000_NS6detail27convert_result_type_wrapperIS8_S9_N2at6native12_GLOBAL__N_19CustomMinEEEEE10hipError_tPvRmT0_T1_jT2_SQ_T4_T3_P12ihipStream_tbEUlT_E_NS1_11comp_targetILNS1_3genE9ELNS1_11target_archE1100ELNS1_3gpuE3ELNS1_3repE0EEENS1_30default_config_static_selectorELNS0_4arch9wavefront6targetE0EEEvSP_,comdat
.Lfunc_end32:
	.size	_ZN7rocprim17ROCPRIM_400000_NS6detail17trampoline_kernelINS0_14default_configENS1_32segmented_reduce_config_selectorIdEEZNS1_21segmented_reduce_implIS3_PKdPdPKidN6hipcub16HIPCUB_304000_NS6detail27convert_result_type_wrapperIS8_S9_N2at6native12_GLOBAL__N_19CustomMinEEEEE10hipError_tPvRmT0_T1_jT2_SQ_T4_T3_P12ihipStream_tbEUlT_E_NS1_11comp_targetILNS1_3genE9ELNS1_11target_archE1100ELNS1_3gpuE3ELNS1_3repE0EEENS1_30default_config_static_selectorELNS0_4arch9wavefront6targetE0EEEvSP_, .Lfunc_end32-_ZN7rocprim17ROCPRIM_400000_NS6detail17trampoline_kernelINS0_14default_configENS1_32segmented_reduce_config_selectorIdEEZNS1_21segmented_reduce_implIS3_PKdPdPKidN6hipcub16HIPCUB_304000_NS6detail27convert_result_type_wrapperIS8_S9_N2at6native12_GLOBAL__N_19CustomMinEEEEE10hipError_tPvRmT0_T1_jT2_SQ_T4_T3_P12ihipStream_tbEUlT_E_NS1_11comp_targetILNS1_3genE9ELNS1_11target_archE1100ELNS1_3gpuE3ELNS1_3repE0EEENS1_30default_config_static_selectorELNS0_4arch9wavefront6targetE0EEEvSP_
                                        ; -- End function
	.set _ZN7rocprim17ROCPRIM_400000_NS6detail17trampoline_kernelINS0_14default_configENS1_32segmented_reduce_config_selectorIdEEZNS1_21segmented_reduce_implIS3_PKdPdPKidN6hipcub16HIPCUB_304000_NS6detail27convert_result_type_wrapperIS8_S9_N2at6native12_GLOBAL__N_19CustomMinEEEEE10hipError_tPvRmT0_T1_jT2_SQ_T4_T3_P12ihipStream_tbEUlT_E_NS1_11comp_targetILNS1_3genE9ELNS1_11target_archE1100ELNS1_3gpuE3ELNS1_3repE0EEENS1_30default_config_static_selectorELNS0_4arch9wavefront6targetE0EEEvSP_.num_vgpr, 0
	.set _ZN7rocprim17ROCPRIM_400000_NS6detail17trampoline_kernelINS0_14default_configENS1_32segmented_reduce_config_selectorIdEEZNS1_21segmented_reduce_implIS3_PKdPdPKidN6hipcub16HIPCUB_304000_NS6detail27convert_result_type_wrapperIS8_S9_N2at6native12_GLOBAL__N_19CustomMinEEEEE10hipError_tPvRmT0_T1_jT2_SQ_T4_T3_P12ihipStream_tbEUlT_E_NS1_11comp_targetILNS1_3genE9ELNS1_11target_archE1100ELNS1_3gpuE3ELNS1_3repE0EEENS1_30default_config_static_selectorELNS0_4arch9wavefront6targetE0EEEvSP_.num_agpr, 0
	.set _ZN7rocprim17ROCPRIM_400000_NS6detail17trampoline_kernelINS0_14default_configENS1_32segmented_reduce_config_selectorIdEEZNS1_21segmented_reduce_implIS3_PKdPdPKidN6hipcub16HIPCUB_304000_NS6detail27convert_result_type_wrapperIS8_S9_N2at6native12_GLOBAL__N_19CustomMinEEEEE10hipError_tPvRmT0_T1_jT2_SQ_T4_T3_P12ihipStream_tbEUlT_E_NS1_11comp_targetILNS1_3genE9ELNS1_11target_archE1100ELNS1_3gpuE3ELNS1_3repE0EEENS1_30default_config_static_selectorELNS0_4arch9wavefront6targetE0EEEvSP_.numbered_sgpr, 0
	.set _ZN7rocprim17ROCPRIM_400000_NS6detail17trampoline_kernelINS0_14default_configENS1_32segmented_reduce_config_selectorIdEEZNS1_21segmented_reduce_implIS3_PKdPdPKidN6hipcub16HIPCUB_304000_NS6detail27convert_result_type_wrapperIS8_S9_N2at6native12_GLOBAL__N_19CustomMinEEEEE10hipError_tPvRmT0_T1_jT2_SQ_T4_T3_P12ihipStream_tbEUlT_E_NS1_11comp_targetILNS1_3genE9ELNS1_11target_archE1100ELNS1_3gpuE3ELNS1_3repE0EEENS1_30default_config_static_selectorELNS0_4arch9wavefront6targetE0EEEvSP_.num_named_barrier, 0
	.set _ZN7rocprim17ROCPRIM_400000_NS6detail17trampoline_kernelINS0_14default_configENS1_32segmented_reduce_config_selectorIdEEZNS1_21segmented_reduce_implIS3_PKdPdPKidN6hipcub16HIPCUB_304000_NS6detail27convert_result_type_wrapperIS8_S9_N2at6native12_GLOBAL__N_19CustomMinEEEEE10hipError_tPvRmT0_T1_jT2_SQ_T4_T3_P12ihipStream_tbEUlT_E_NS1_11comp_targetILNS1_3genE9ELNS1_11target_archE1100ELNS1_3gpuE3ELNS1_3repE0EEENS1_30default_config_static_selectorELNS0_4arch9wavefront6targetE0EEEvSP_.private_seg_size, 0
	.set _ZN7rocprim17ROCPRIM_400000_NS6detail17trampoline_kernelINS0_14default_configENS1_32segmented_reduce_config_selectorIdEEZNS1_21segmented_reduce_implIS3_PKdPdPKidN6hipcub16HIPCUB_304000_NS6detail27convert_result_type_wrapperIS8_S9_N2at6native12_GLOBAL__N_19CustomMinEEEEE10hipError_tPvRmT0_T1_jT2_SQ_T4_T3_P12ihipStream_tbEUlT_E_NS1_11comp_targetILNS1_3genE9ELNS1_11target_archE1100ELNS1_3gpuE3ELNS1_3repE0EEENS1_30default_config_static_selectorELNS0_4arch9wavefront6targetE0EEEvSP_.uses_vcc, 0
	.set _ZN7rocprim17ROCPRIM_400000_NS6detail17trampoline_kernelINS0_14default_configENS1_32segmented_reduce_config_selectorIdEEZNS1_21segmented_reduce_implIS3_PKdPdPKidN6hipcub16HIPCUB_304000_NS6detail27convert_result_type_wrapperIS8_S9_N2at6native12_GLOBAL__N_19CustomMinEEEEE10hipError_tPvRmT0_T1_jT2_SQ_T4_T3_P12ihipStream_tbEUlT_E_NS1_11comp_targetILNS1_3genE9ELNS1_11target_archE1100ELNS1_3gpuE3ELNS1_3repE0EEENS1_30default_config_static_selectorELNS0_4arch9wavefront6targetE0EEEvSP_.uses_flat_scratch, 0
	.set _ZN7rocprim17ROCPRIM_400000_NS6detail17trampoline_kernelINS0_14default_configENS1_32segmented_reduce_config_selectorIdEEZNS1_21segmented_reduce_implIS3_PKdPdPKidN6hipcub16HIPCUB_304000_NS6detail27convert_result_type_wrapperIS8_S9_N2at6native12_GLOBAL__N_19CustomMinEEEEE10hipError_tPvRmT0_T1_jT2_SQ_T4_T3_P12ihipStream_tbEUlT_E_NS1_11comp_targetILNS1_3genE9ELNS1_11target_archE1100ELNS1_3gpuE3ELNS1_3repE0EEENS1_30default_config_static_selectorELNS0_4arch9wavefront6targetE0EEEvSP_.has_dyn_sized_stack, 0
	.set _ZN7rocprim17ROCPRIM_400000_NS6detail17trampoline_kernelINS0_14default_configENS1_32segmented_reduce_config_selectorIdEEZNS1_21segmented_reduce_implIS3_PKdPdPKidN6hipcub16HIPCUB_304000_NS6detail27convert_result_type_wrapperIS8_S9_N2at6native12_GLOBAL__N_19CustomMinEEEEE10hipError_tPvRmT0_T1_jT2_SQ_T4_T3_P12ihipStream_tbEUlT_E_NS1_11comp_targetILNS1_3genE9ELNS1_11target_archE1100ELNS1_3gpuE3ELNS1_3repE0EEENS1_30default_config_static_selectorELNS0_4arch9wavefront6targetE0EEEvSP_.has_recursion, 0
	.set _ZN7rocprim17ROCPRIM_400000_NS6detail17trampoline_kernelINS0_14default_configENS1_32segmented_reduce_config_selectorIdEEZNS1_21segmented_reduce_implIS3_PKdPdPKidN6hipcub16HIPCUB_304000_NS6detail27convert_result_type_wrapperIS8_S9_N2at6native12_GLOBAL__N_19CustomMinEEEEE10hipError_tPvRmT0_T1_jT2_SQ_T4_T3_P12ihipStream_tbEUlT_E_NS1_11comp_targetILNS1_3genE9ELNS1_11target_archE1100ELNS1_3gpuE3ELNS1_3repE0EEENS1_30default_config_static_selectorELNS0_4arch9wavefront6targetE0EEEvSP_.has_indirect_call, 0
	.section	.AMDGPU.csdata,"",@progbits
; Kernel info:
; codeLenInByte = 0
; TotalNumSgprs: 0
; NumVgprs: 0
; ScratchSize: 0
; MemoryBound: 0
; FloatMode: 240
; IeeeMode: 1
; LDSByteSize: 0 bytes/workgroup (compile time only)
; SGPRBlocks: 0
; VGPRBlocks: 0
; NumSGPRsForWavesPerEU: 1
; NumVGPRsForWavesPerEU: 1
; Occupancy: 16
; WaveLimiterHint : 0
; COMPUTE_PGM_RSRC2:SCRATCH_EN: 0
; COMPUTE_PGM_RSRC2:USER_SGPR: 6
; COMPUTE_PGM_RSRC2:TRAP_HANDLER: 0
; COMPUTE_PGM_RSRC2:TGID_X_EN: 1
; COMPUTE_PGM_RSRC2:TGID_Y_EN: 0
; COMPUTE_PGM_RSRC2:TGID_Z_EN: 0
; COMPUTE_PGM_RSRC2:TIDIG_COMP_CNT: 0
	.section	.text._ZN7rocprim17ROCPRIM_400000_NS6detail17trampoline_kernelINS0_14default_configENS1_32segmented_reduce_config_selectorIdEEZNS1_21segmented_reduce_implIS3_PKdPdPKidN6hipcub16HIPCUB_304000_NS6detail27convert_result_type_wrapperIS8_S9_N2at6native12_GLOBAL__N_19CustomMinEEEEE10hipError_tPvRmT0_T1_jT2_SQ_T4_T3_P12ihipStream_tbEUlT_E_NS1_11comp_targetILNS1_3genE8ELNS1_11target_archE1030ELNS1_3gpuE2ELNS1_3repE0EEENS1_30default_config_static_selectorELNS0_4arch9wavefront6targetE0EEEvSP_,"axG",@progbits,_ZN7rocprim17ROCPRIM_400000_NS6detail17trampoline_kernelINS0_14default_configENS1_32segmented_reduce_config_selectorIdEEZNS1_21segmented_reduce_implIS3_PKdPdPKidN6hipcub16HIPCUB_304000_NS6detail27convert_result_type_wrapperIS8_S9_N2at6native12_GLOBAL__N_19CustomMinEEEEE10hipError_tPvRmT0_T1_jT2_SQ_T4_T3_P12ihipStream_tbEUlT_E_NS1_11comp_targetILNS1_3genE8ELNS1_11target_archE1030ELNS1_3gpuE2ELNS1_3repE0EEENS1_30default_config_static_selectorELNS0_4arch9wavefront6targetE0EEEvSP_,comdat
	.globl	_ZN7rocprim17ROCPRIM_400000_NS6detail17trampoline_kernelINS0_14default_configENS1_32segmented_reduce_config_selectorIdEEZNS1_21segmented_reduce_implIS3_PKdPdPKidN6hipcub16HIPCUB_304000_NS6detail27convert_result_type_wrapperIS8_S9_N2at6native12_GLOBAL__N_19CustomMinEEEEE10hipError_tPvRmT0_T1_jT2_SQ_T4_T3_P12ihipStream_tbEUlT_E_NS1_11comp_targetILNS1_3genE8ELNS1_11target_archE1030ELNS1_3gpuE2ELNS1_3repE0EEENS1_30default_config_static_selectorELNS0_4arch9wavefront6targetE0EEEvSP_ ; -- Begin function _ZN7rocprim17ROCPRIM_400000_NS6detail17trampoline_kernelINS0_14default_configENS1_32segmented_reduce_config_selectorIdEEZNS1_21segmented_reduce_implIS3_PKdPdPKidN6hipcub16HIPCUB_304000_NS6detail27convert_result_type_wrapperIS8_S9_N2at6native12_GLOBAL__N_19CustomMinEEEEE10hipError_tPvRmT0_T1_jT2_SQ_T4_T3_P12ihipStream_tbEUlT_E_NS1_11comp_targetILNS1_3genE8ELNS1_11target_archE1030ELNS1_3gpuE2ELNS1_3repE0EEENS1_30default_config_static_selectorELNS0_4arch9wavefront6targetE0EEEvSP_
	.p2align	8
	.type	_ZN7rocprim17ROCPRIM_400000_NS6detail17trampoline_kernelINS0_14default_configENS1_32segmented_reduce_config_selectorIdEEZNS1_21segmented_reduce_implIS3_PKdPdPKidN6hipcub16HIPCUB_304000_NS6detail27convert_result_type_wrapperIS8_S9_N2at6native12_GLOBAL__N_19CustomMinEEEEE10hipError_tPvRmT0_T1_jT2_SQ_T4_T3_P12ihipStream_tbEUlT_E_NS1_11comp_targetILNS1_3genE8ELNS1_11target_archE1030ELNS1_3gpuE2ELNS1_3repE0EEENS1_30default_config_static_selectorELNS0_4arch9wavefront6targetE0EEEvSP_,@function
_ZN7rocprim17ROCPRIM_400000_NS6detail17trampoline_kernelINS0_14default_configENS1_32segmented_reduce_config_selectorIdEEZNS1_21segmented_reduce_implIS3_PKdPdPKidN6hipcub16HIPCUB_304000_NS6detail27convert_result_type_wrapperIS8_S9_N2at6native12_GLOBAL__N_19CustomMinEEEEE10hipError_tPvRmT0_T1_jT2_SQ_T4_T3_P12ihipStream_tbEUlT_E_NS1_11comp_targetILNS1_3genE8ELNS1_11target_archE1030ELNS1_3gpuE2ELNS1_3repE0EEENS1_30default_config_static_selectorELNS0_4arch9wavefront6targetE0EEEvSP_: ; @_ZN7rocprim17ROCPRIM_400000_NS6detail17trampoline_kernelINS0_14default_configENS1_32segmented_reduce_config_selectorIdEEZNS1_21segmented_reduce_implIS3_PKdPdPKidN6hipcub16HIPCUB_304000_NS6detail27convert_result_type_wrapperIS8_S9_N2at6native12_GLOBAL__N_19CustomMinEEEEE10hipError_tPvRmT0_T1_jT2_SQ_T4_T3_P12ihipStream_tbEUlT_E_NS1_11comp_targetILNS1_3genE8ELNS1_11target_archE1030ELNS1_3gpuE2ELNS1_3repE0EEENS1_30default_config_static_selectorELNS0_4arch9wavefront6targetE0EEEvSP_
; %bb.0:
	s_clause 0x2
	s_load_dwordx8 s[8:15], s[4:5], 0x0
	s_load_dwordx2 s[0:1], s[4:5], 0x20
	s_load_dwordx2 s[2:3], s[4:5], 0x30
	s_mov_b32 s7, 0
	v_cmp_eq_u32_e32 vcc_lo, 0, v0
	s_waitcnt lgkmcnt(0)
	s_lshl_b64 s[16:17], s[12:13], 2
	s_add_u32 s4, s14, s16
	s_addc_u32 s5, s15, s17
	s_add_u32 s14, s0, s16
	s_addc_u32 s15, s1, s17
	s_lshl_b64 s[0:1], s[6:7], 2
	s_add_u32 s4, s4, s0
	s_addc_u32 s5, s5, s1
	s_add_u32 s0, s14, s0
	s_addc_u32 s1, s15, s1
	s_load_dword s4, s[4:5], 0x0
	s_load_dword s15, s[0:1], 0x0
	s_mov_b32 s0, -1
	s_mov_b32 s14, s7
	s_waitcnt lgkmcnt(0)
	s_cmp_gt_i32 s15, s4
	s_cbranch_scc1 .LBB33_2
; %bb.1:
	s_mov_b32 s0, 0
	s_and_b32 s14, vcc_lo, exec_lo
.LBB33_2:
	s_andn2_b32 vcc_lo, exec_lo, s0
	s_cbranch_vccnz .LBB33_131
; %bb.3:
	s_add_i32 s0, s4, 0x1000
	s_cmp_le_i32 s0, s15
	s_cbranch_scc0 .LBB33_132
; %bb.4:
	s_ashr_i32 s5, s4, 31
	v_lshlrev_b32_e32 v37, 3, v0
	s_lshl_b64 s[16:17], s[4:5], 3
	s_add_u32 s16, s8, s16
	s_addc_u32 s17, s9, s17
	v_add_co_u32 v29, s1, s16, v37
	v_add_co_ci_u32_e64 v30, null, s17, 0, s1
	global_load_dwordx2 v[31:32], v37, s[16:17]
	v_add_co_u32 v1, vcc_lo, v29, 0x1000
	v_add_co_ci_u32_e64 v2, null, 0, v30, vcc_lo
	v_add_co_u32 v3, vcc_lo, v29, 0x2000
	v_add_co_ci_u32_e64 v4, null, 0, v30, vcc_lo
	;; [unrolled: 2-line block ×5, first 2 shown]
	s_clause 0x7
	global_load_dwordx2 v[27:28], v[3:4], off offset:-2048
	global_load_dwordx2 v[25:26], v[3:4], off
	global_load_dwordx2 v[23:24], v[5:6], off offset:-2048
	global_load_dwordx2 v[21:22], v[5:6], off
	;; [unrolled: 2-line block ×4, first 2 shown]
	v_add_co_u32 v3, vcc_lo, v29, 0x6000
	v_add_co_ci_u32_e64 v4, null, 0, v30, vcc_lo
	v_add_co_u32 v19, vcc_lo, v29, 0x7000
	v_add_co_ci_u32_e64 v20, null, 0, v30, vcc_lo
	;; [unrolled: 2-line block ×3, first 2 shown]
	s_clause 0x6
	global_load_dwordx2 v[9:10], v[3:4], off offset:-2048
	global_load_dwordx2 v[7:8], v[3:4], off
	global_load_dwordx2 v[5:6], v[19:20], off offset:-2048
	global_load_dwordx2 v[3:4], v[19:20], off
	;; [unrolled: 2-line block ×3, first 2 shown]
	global_load_dwordx2 v[1:2], v[35:36], off
	s_mov_b32 s1, exec_lo
	s_waitcnt vmcnt(15)
	v_mov_b32_e32 v19, v31
	v_mov_b32_e32 v20, v32
	v_cmpx_o_f64_e32 v[31:32], v[31:32]
	s_cbranch_execz .LBB33_8
; %bb.5:
	s_waitcnt vmcnt(2)
	v_mov_b32_e32 v19, v33
	v_mov_b32_e32 v20, v34
	s_mov_b32 s5, exec_lo
	v_cmpx_o_f64_e32 v[33:34], v[33:34]
; %bb.6:
	v_cmp_lt_f64_e32 vcc_lo, v[33:34], v[31:32]
	v_cndmask_b32_e32 v20, v32, v34, vcc_lo
	v_cndmask_b32_e32 v19, v31, v33, vcc_lo
; %bb.7:
	s_or_b32 exec_lo, exec_lo, s5
.LBB33_8:
	s_or_b32 exec_lo, exec_lo, s1
	s_mov_b32 s1, exec_lo
	v_cmpx_o_f64_e32 v[19:20], v[19:20]
	s_cbranch_execz .LBB33_12
; %bb.9:
	s_waitcnt vmcnt(1)
	v_mov_b32_e32 v36, v30
	v_mov_b32_e32 v35, v29
	s_mov_b32 s5, exec_lo
	v_cmpx_o_f64_e32 v[29:30], v[29:30]
; %bb.10:
	v_cmp_lt_f64_e32 vcc_lo, v[29:30], v[19:20]
	v_cndmask_b32_e32 v36, v20, v30, vcc_lo
	v_cndmask_b32_e32 v35, v19, v29, vcc_lo
; %bb.11:
	s_or_b32 exec_lo, exec_lo, s5
	v_mov_b32_e32 v19, v35
	v_mov_b32_e32 v20, v36
.LBB33_12:
	s_or_b32 exec_lo, exec_lo, s1
	s_mov_b32 s1, exec_lo
	v_cmpx_o_f64_e32 v[19:20], v[19:20]
	s_cbranch_execz .LBB33_16
; %bb.13:
	s_waitcnt vmcnt(14)
	v_mov_b32_e32 v36, v28
	v_mov_b32_e32 v35, v27
	s_mov_b32 s5, exec_lo
	v_cmpx_o_f64_e32 v[27:28], v[27:28]
; %bb.14:
	v_cmp_lt_f64_e32 vcc_lo, v[27:28], v[19:20]
	v_cndmask_b32_e32 v36, v20, v28, vcc_lo
	v_cndmask_b32_e32 v35, v19, v27, vcc_lo
; %bb.15:
	s_or_b32 exec_lo, exec_lo, s5
	v_mov_b32_e32 v19, v35
	v_mov_b32_e32 v20, v36
.LBB33_16:
	;; [unrolled: 19-line block ×14, first 2 shown]
	s_or_b32 exec_lo, exec_lo, s1
	s_add_i32 s1, s4, 0x2000
	s_cmp_ge_i32 s1, s15
	s_cbranch_scc1 .LBB33_133
; %bb.65:
	v_add_co_u32 v38, s1, s8, v37
	v_add_co_ci_u32_e64 v39, null, s9, 0, s1
	s_branch .LBB33_68
.LBB33_66:                              ;   in Loop: Header=BB33_68 Depth=1
	s_or_b32 exec_lo, exec_lo, s5
	v_mov_b32_e32 v19, v35
	v_mov_b32_e32 v20, v36
.LBB33_67:                              ;   in Loop: Header=BB33_68 Depth=1
	s_or_b32 exec_lo, exec_lo, s1
	s_add_i32 s1, s0, 0x2000
	s_addk_i32 s0, 0x1000
	s_cmp_lt_i32 s1, s15
	s_cbranch_scc0 .LBB33_133
.LBB33_68:                              ; =>This Inner Loop Header: Depth=1
	s_ashr_i32 s1, s0, 31
	s_lshl_b64 s[16:17], s[0:1], 3
	s_mov_b32 s1, exec_lo
	s_waitcnt vmcnt(0)
	v_add_co_u32 v1, vcc_lo, v38, s16
	v_add_co_ci_u32_e64 v2, null, s17, v39, vcc_lo
	v_add_co_u32 v29, vcc_lo, v1, 0x1000
	v_add_co_ci_u32_e64 v30, null, 0, v2, vcc_lo
	;; [unrolled: 2-line block ×6, first 2 shown]
	s_clause 0x7
	global_load_dwordx2 v[27:28], v[3:4], off offset:-2048
	global_load_dwordx2 v[25:26], v[3:4], off
	global_load_dwordx2 v[23:24], v[5:6], off offset:-2048
	global_load_dwordx2 v[21:22], v[5:6], off
	;; [unrolled: 2-line block ×4, first 2 shown]
	v_add_co_u32 v3, vcc_lo, v1, 0x6000
	v_add_co_ci_u32_e64 v4, null, 0, v2, vcc_lo
	v_add_co_u32 v31, vcc_lo, v1, 0x7000
	v_add_co_ci_u32_e64 v32, null, 0, v2, vcc_lo
	;; [unrolled: 2-line block ×3, first 2 shown]
	s_clause 0x7
	global_load_dwordx2 v[9:10], v[3:4], off offset:-2048
	global_load_dwordx2 v[7:8], v[3:4], off
	global_load_dwordx2 v[5:6], v[31:32], off offset:-2048
	global_load_dwordx2 v[3:4], v[31:32], off
	global_load_dwordx2 v[31:32], v[1:2], off
	global_load_dwordx2 v[33:34], v[29:30], off offset:-2048
	global_load_dwordx2 v[29:30], v[29:30], off
	global_load_dwordx2 v[1:2], v[35:36], off
	v_cmpx_o_f64_e32 v[19:20], v[19:20]
	s_cbranch_execz .LBB33_72
; %bb.69:                               ;   in Loop: Header=BB33_68 Depth=1
	s_waitcnt vmcnt(3)
	v_mov_b32_e32 v36, v32
	v_mov_b32_e32 v35, v31
	s_mov_b32 s5, exec_lo
	v_cmpx_o_f64_e32 v[31:32], v[31:32]
; %bb.70:                               ;   in Loop: Header=BB33_68 Depth=1
	v_cmp_lt_f64_e32 vcc_lo, v[31:32], v[19:20]
	v_cndmask_b32_e32 v36, v20, v32, vcc_lo
	v_cndmask_b32_e32 v35, v19, v31, vcc_lo
; %bb.71:                               ;   in Loop: Header=BB33_68 Depth=1
	s_or_b32 exec_lo, exec_lo, s5
	v_mov_b32_e32 v19, v35
	v_mov_b32_e32 v20, v36
.LBB33_72:                              ;   in Loop: Header=BB33_68 Depth=1
	s_or_b32 exec_lo, exec_lo, s1
	s_mov_b32 s1, exec_lo
	v_cmpx_o_f64_e32 v[19:20], v[19:20]
	s_cbranch_execz .LBB33_76
; %bb.73:                               ;   in Loop: Header=BB33_68 Depth=1
	s_waitcnt vmcnt(2)
	v_mov_b32_e32 v36, v34
	v_mov_b32_e32 v35, v33
	s_mov_b32 s5, exec_lo
	v_cmpx_o_f64_e32 v[33:34], v[33:34]
; %bb.74:                               ;   in Loop: Header=BB33_68 Depth=1
	v_cmp_lt_f64_e32 vcc_lo, v[33:34], v[19:20]
	v_cndmask_b32_e32 v36, v20, v34, vcc_lo
	v_cndmask_b32_e32 v35, v19, v33, vcc_lo
; %bb.75:                               ;   in Loop: Header=BB33_68 Depth=1
	s_or_b32 exec_lo, exec_lo, s5
	v_mov_b32_e32 v19, v35
	v_mov_b32_e32 v20, v36
.LBB33_76:                              ;   in Loop: Header=BB33_68 Depth=1
	s_or_b32 exec_lo, exec_lo, s1
	s_mov_b32 s1, exec_lo
	v_cmpx_o_f64_e32 v[19:20], v[19:20]
	s_cbranch_execz .LBB33_80
; %bb.77:                               ;   in Loop: Header=BB33_68 Depth=1
	s_waitcnt vmcnt(1)
	v_mov_b32_e32 v36, v30
	v_mov_b32_e32 v35, v29
	s_mov_b32 s5, exec_lo
	v_cmpx_o_f64_e32 v[29:30], v[29:30]
; %bb.78:                               ;   in Loop: Header=BB33_68 Depth=1
	v_cmp_lt_f64_e32 vcc_lo, v[29:30], v[19:20]
	v_cndmask_b32_e32 v36, v20, v30, vcc_lo
	v_cndmask_b32_e32 v35, v19, v29, vcc_lo
; %bb.79:                               ;   in Loop: Header=BB33_68 Depth=1
	s_or_b32 exec_lo, exec_lo, s5
	v_mov_b32_e32 v19, v35
	v_mov_b32_e32 v20, v36
.LBB33_80:                              ;   in Loop: Header=BB33_68 Depth=1
	s_or_b32 exec_lo, exec_lo, s1
	s_mov_b32 s1, exec_lo
	v_cmpx_o_f64_e32 v[19:20], v[19:20]
	s_cbranch_execz .LBB33_84
; %bb.81:                               ;   in Loop: Header=BB33_68 Depth=1
	s_waitcnt vmcnt(15)
	v_mov_b32_e32 v36, v28
	v_mov_b32_e32 v35, v27
	s_mov_b32 s5, exec_lo
	v_cmpx_o_f64_e32 v[27:28], v[27:28]
; %bb.82:                               ;   in Loop: Header=BB33_68 Depth=1
	v_cmp_lt_f64_e32 vcc_lo, v[27:28], v[19:20]
	v_cndmask_b32_e32 v36, v20, v28, vcc_lo
	v_cndmask_b32_e32 v35, v19, v27, vcc_lo
; %bb.83:                               ;   in Loop: Header=BB33_68 Depth=1
	s_or_b32 exec_lo, exec_lo, s5
	v_mov_b32_e32 v19, v35
	v_mov_b32_e32 v20, v36
.LBB33_84:                              ;   in Loop: Header=BB33_68 Depth=1
	s_or_b32 exec_lo, exec_lo, s1
	s_mov_b32 s1, exec_lo
	v_cmpx_o_f64_e32 v[19:20], v[19:20]
	s_cbranch_execz .LBB33_88
; %bb.85:                               ;   in Loop: Header=BB33_68 Depth=1
	s_waitcnt vmcnt(14)
	v_mov_b32_e32 v36, v26
	v_mov_b32_e32 v35, v25
	s_mov_b32 s5, exec_lo
	v_cmpx_o_f64_e32 v[25:26], v[25:26]
; %bb.86:                               ;   in Loop: Header=BB33_68 Depth=1
	v_cmp_lt_f64_e32 vcc_lo, v[25:26], v[19:20]
	v_cndmask_b32_e32 v36, v20, v26, vcc_lo
	v_cndmask_b32_e32 v35, v19, v25, vcc_lo
; %bb.87:                               ;   in Loop: Header=BB33_68 Depth=1
	s_or_b32 exec_lo, exec_lo, s5
	v_mov_b32_e32 v19, v35
	v_mov_b32_e32 v20, v36
.LBB33_88:                              ;   in Loop: Header=BB33_68 Depth=1
	s_or_b32 exec_lo, exec_lo, s1
	s_mov_b32 s1, exec_lo
	v_cmpx_o_f64_e32 v[19:20], v[19:20]
	s_cbranch_execz .LBB33_92
; %bb.89:                               ;   in Loop: Header=BB33_68 Depth=1
	s_waitcnt vmcnt(13)
	v_mov_b32_e32 v36, v24
	v_mov_b32_e32 v35, v23
	s_mov_b32 s5, exec_lo
	v_cmpx_o_f64_e32 v[23:24], v[23:24]
; %bb.90:                               ;   in Loop: Header=BB33_68 Depth=1
	v_cmp_lt_f64_e32 vcc_lo, v[23:24], v[19:20]
	v_cndmask_b32_e32 v36, v20, v24, vcc_lo
	v_cndmask_b32_e32 v35, v19, v23, vcc_lo
; %bb.91:                               ;   in Loop: Header=BB33_68 Depth=1
	s_or_b32 exec_lo, exec_lo, s5
	v_mov_b32_e32 v19, v35
	v_mov_b32_e32 v20, v36
.LBB33_92:                              ;   in Loop: Header=BB33_68 Depth=1
	s_or_b32 exec_lo, exec_lo, s1
	s_mov_b32 s1, exec_lo
	v_cmpx_o_f64_e32 v[19:20], v[19:20]
	s_cbranch_execz .LBB33_96
; %bb.93:                               ;   in Loop: Header=BB33_68 Depth=1
	s_waitcnt vmcnt(12)
	v_mov_b32_e32 v36, v22
	v_mov_b32_e32 v35, v21
	s_mov_b32 s5, exec_lo
	v_cmpx_o_f64_e32 v[21:22], v[21:22]
; %bb.94:                               ;   in Loop: Header=BB33_68 Depth=1
	v_cmp_lt_f64_e32 vcc_lo, v[21:22], v[19:20]
	v_cndmask_b32_e32 v36, v20, v22, vcc_lo
	v_cndmask_b32_e32 v35, v19, v21, vcc_lo
; %bb.95:                               ;   in Loop: Header=BB33_68 Depth=1
	s_or_b32 exec_lo, exec_lo, s5
	v_mov_b32_e32 v19, v35
	v_mov_b32_e32 v20, v36
.LBB33_96:                              ;   in Loop: Header=BB33_68 Depth=1
	s_or_b32 exec_lo, exec_lo, s1
	s_mov_b32 s1, exec_lo
	v_cmpx_o_f64_e32 v[19:20], v[19:20]
	s_cbranch_execz .LBB33_100
; %bb.97:                               ;   in Loop: Header=BB33_68 Depth=1
	s_waitcnt vmcnt(11)
	v_mov_b32_e32 v36, v18
	v_mov_b32_e32 v35, v17
	s_mov_b32 s5, exec_lo
	v_cmpx_o_f64_e32 v[17:18], v[17:18]
; %bb.98:                               ;   in Loop: Header=BB33_68 Depth=1
	v_cmp_lt_f64_e32 vcc_lo, v[17:18], v[19:20]
	v_cndmask_b32_e32 v36, v20, v18, vcc_lo
	v_cndmask_b32_e32 v35, v19, v17, vcc_lo
; %bb.99:                               ;   in Loop: Header=BB33_68 Depth=1
	s_or_b32 exec_lo, exec_lo, s5
	v_mov_b32_e32 v19, v35
	v_mov_b32_e32 v20, v36
.LBB33_100:                             ;   in Loop: Header=BB33_68 Depth=1
	s_or_b32 exec_lo, exec_lo, s1
	s_mov_b32 s1, exec_lo
	v_cmpx_o_f64_e32 v[19:20], v[19:20]
	s_cbranch_execz .LBB33_104
; %bb.101:                              ;   in Loop: Header=BB33_68 Depth=1
	s_waitcnt vmcnt(10)
	v_mov_b32_e32 v36, v16
	v_mov_b32_e32 v35, v15
	s_mov_b32 s5, exec_lo
	v_cmpx_o_f64_e32 v[15:16], v[15:16]
; %bb.102:                              ;   in Loop: Header=BB33_68 Depth=1
	v_cmp_lt_f64_e32 vcc_lo, v[15:16], v[19:20]
	v_cndmask_b32_e32 v36, v20, v16, vcc_lo
	v_cndmask_b32_e32 v35, v19, v15, vcc_lo
; %bb.103:                              ;   in Loop: Header=BB33_68 Depth=1
	s_or_b32 exec_lo, exec_lo, s5
	v_mov_b32_e32 v19, v35
	v_mov_b32_e32 v20, v36
.LBB33_104:                             ;   in Loop: Header=BB33_68 Depth=1
	s_or_b32 exec_lo, exec_lo, s1
	s_mov_b32 s1, exec_lo
	v_cmpx_o_f64_e32 v[19:20], v[19:20]
	s_cbranch_execz .LBB33_108
; %bb.105:                              ;   in Loop: Header=BB33_68 Depth=1
	s_waitcnt vmcnt(9)
	v_mov_b32_e32 v36, v14
	v_mov_b32_e32 v35, v13
	s_mov_b32 s5, exec_lo
	v_cmpx_o_f64_e32 v[13:14], v[13:14]
; %bb.106:                              ;   in Loop: Header=BB33_68 Depth=1
	v_cmp_lt_f64_e32 vcc_lo, v[13:14], v[19:20]
	v_cndmask_b32_e32 v36, v20, v14, vcc_lo
	v_cndmask_b32_e32 v35, v19, v13, vcc_lo
; %bb.107:                              ;   in Loop: Header=BB33_68 Depth=1
	s_or_b32 exec_lo, exec_lo, s5
	v_mov_b32_e32 v19, v35
	v_mov_b32_e32 v20, v36
.LBB33_108:                             ;   in Loop: Header=BB33_68 Depth=1
	;; [unrolled: 19-line block ×7, first 2 shown]
	s_or_b32 exec_lo, exec_lo, s1
	s_mov_b32 s1, exec_lo
	v_cmpx_o_f64_e32 v[19:20], v[19:20]
	s_cbranch_execz .LBB33_67
; %bb.129:                              ;   in Loop: Header=BB33_68 Depth=1
	s_waitcnt vmcnt(0)
	v_mov_b32_e32 v36, v2
	v_mov_b32_e32 v35, v1
	s_mov_b32 s5, exec_lo
	v_cmpx_o_f64_e32 v[1:2], v[1:2]
	s_cbranch_execz .LBB33_66
; %bb.130:                              ;   in Loop: Header=BB33_68 Depth=1
	v_cmp_lt_f64_e32 vcc_lo, v[1:2], v[19:20]
	v_cndmask_b32_e32 v36, v20, v2, vcc_lo
	v_cndmask_b32_e32 v35, v19, v1, vcc_lo
	s_branch .LBB33_66
.LBB33_131:
	v_mov_b32_e32 v4, s3
	v_mov_b32_e32 v3, s2
	s_and_saveexec_b32 s0, s14
	s_cbranch_execnz .LBB33_371
	s_branch .LBB33_372
.LBB33_132:
                                        ; implicit-def: $vgpr1_vgpr2
	s_cbranch_execnz .LBB33_266
	s_branch .LBB33_364
.LBB33_133:
	s_ashr_i32 s1, s0, 31
	s_sub_i32 s5, s15, s0
	s_lshl_b64 s[0:1], s[0:1], 3
	s_mov_b32 s16, exec_lo
	s_add_u32 s0, s8, s0
	s_addc_u32 s1, s9, s1
	v_cmpx_gt_u32_e64 s5, v0
	s_cbranch_execz .LBB33_135
; %bb.134:
	global_load_dwordx2 v[31:32], v37, s[0:1]
.LBB33_135:
	s_or_b32 exec_lo, exec_lo, s16
	v_or_b32_e32 v49, 0x100, v0
	s_mov_b32 s16, exec_lo
	v_cmpx_gt_u32_e64 s5, v49
	s_cbranch_execz .LBB33_137
; %bb.136:
	s_waitcnt vmcnt(2)
	v_lshlrev_b32_e32 v33, 3, v49
	global_load_dwordx2 v[33:34], v33, s[0:1]
.LBB33_137:
	s_or_b32 exec_lo, exec_lo, s16
	v_or_b32_e32 v48, 0x200, v0
	s_mov_b32 s16, exec_lo
	v_cmpx_gt_u32_e64 s5, v48
	s_cbranch_execz .LBB33_139
; %bb.138:
	s_waitcnt vmcnt(1)
	v_lshlrev_b32_e32 v29, 3, v48
	global_load_dwordx2 v[29:30], v29, s[0:1]
.LBB33_139:
	;; [unrolled: 10-line block ×15, first 2 shown]
	s_or_b32 exec_lo, exec_lo, s16
	v_cmp_o_f64_e32 vcc_lo, v[19:20], v[19:20]
	v_cmp_gt_u32_e64 s0, s5, v0
	s_and_b32 s1, s0, vcc_lo
	s_and_saveexec_b32 s0, s1
	s_cbranch_execz .LBB33_169
; %bb.166:
	s_mov_b32 s1, exec_lo
	s_waitcnt vmcnt(0)
	v_cmpx_o_f64_e32 v[31:32], v[31:32]
; %bb.167:
	v_cmp_lt_f64_e32 vcc_lo, v[31:32], v[19:20]
	v_cndmask_b32_e32 v32, v20, v32, vcc_lo
	v_cndmask_b32_e32 v31, v19, v31, vcc_lo
; %bb.168:
	s_or_b32 exec_lo, exec_lo, s1
	v_mov_b32_e32 v19, v31
	v_mov_b32_e32 v20, v32
.LBB33_169:
	s_or_b32 exec_lo, exec_lo, s0
	v_cmp_o_f64_e32 vcc_lo, v[19:20], v[19:20]
	v_cmp_gt_u32_e64 s0, s5, v49
	s_and_b32 s1, s0, vcc_lo
	s_and_saveexec_b32 s0, s1
	s_cbranch_execz .LBB33_173
; %bb.170:
	s_mov_b32 s1, exec_lo
	s_waitcnt vmcnt(0)
	v_cmpx_o_f64_e32 v[33:34], v[33:34]
; %bb.171:
	v_cmp_lt_f64_e32 vcc_lo, v[33:34], v[19:20]
	v_cndmask_b32_e32 v34, v20, v34, vcc_lo
	v_cndmask_b32_e32 v33, v19, v33, vcc_lo
; %bb.172:
	s_or_b32 exec_lo, exec_lo, s1
	v_mov_b32_e32 v19, v33
	v_mov_b32_e32 v20, v34
.LBB33_173:
	s_or_b32 exec_lo, exec_lo, s0
	v_cmp_o_f64_e32 vcc_lo, v[19:20], v[19:20]
	v_cmp_gt_u32_e64 s0, s5, v48
	s_and_b32 s1, s0, vcc_lo
	s_and_saveexec_b32 s0, s1
	s_cbranch_execz .LBB33_177
; %bb.174:
	s_mov_b32 s1, exec_lo
	s_waitcnt vmcnt(0)
	v_cmpx_o_f64_e32 v[29:30], v[29:30]
; %bb.175:
	v_cmp_lt_f64_e32 vcc_lo, v[29:30], v[19:20]
	v_cndmask_b32_e32 v30, v20, v30, vcc_lo
	v_cndmask_b32_e32 v29, v19, v29, vcc_lo
; %bb.176:
	s_or_b32 exec_lo, exec_lo, s1
	v_mov_b32_e32 v19, v29
	v_mov_b32_e32 v20, v30
.LBB33_177:
	s_or_b32 exec_lo, exec_lo, s0
	v_cmp_o_f64_e32 vcc_lo, v[19:20], v[19:20]
	v_cmp_gt_u32_e64 s0, s5, v47
	s_and_b32 s1, s0, vcc_lo
	s_and_saveexec_b32 s0, s1
	s_cbranch_execz .LBB33_181
; %bb.178:
	s_mov_b32 s1, exec_lo
	s_waitcnt vmcnt(0)
	v_cmpx_o_f64_e32 v[27:28], v[27:28]
; %bb.179:
	v_cmp_lt_f64_e32 vcc_lo, v[27:28], v[19:20]
	v_cndmask_b32_e32 v28, v20, v28, vcc_lo
	v_cndmask_b32_e32 v27, v19, v27, vcc_lo
; %bb.180:
	s_or_b32 exec_lo, exec_lo, s1
	v_mov_b32_e32 v19, v27
	v_mov_b32_e32 v20, v28
.LBB33_181:
	s_or_b32 exec_lo, exec_lo, s0
	v_cmp_o_f64_e32 vcc_lo, v[19:20], v[19:20]
	v_cmp_gt_u32_e64 s0, s5, v46
	s_and_b32 s1, s0, vcc_lo
	s_and_saveexec_b32 s0, s1
	s_cbranch_execz .LBB33_185
; %bb.182:
	s_mov_b32 s1, exec_lo
	s_waitcnt vmcnt(0)
	v_cmpx_o_f64_e32 v[25:26], v[25:26]
; %bb.183:
	v_cmp_lt_f64_e32 vcc_lo, v[25:26], v[19:20]
	v_cndmask_b32_e32 v26, v20, v26, vcc_lo
	v_cndmask_b32_e32 v25, v19, v25, vcc_lo
; %bb.184:
	s_or_b32 exec_lo, exec_lo, s1
	v_mov_b32_e32 v19, v25
	v_mov_b32_e32 v20, v26
.LBB33_185:
	s_or_b32 exec_lo, exec_lo, s0
	v_cmp_o_f64_e32 vcc_lo, v[19:20], v[19:20]
	v_cmp_gt_u32_e64 s0, s5, v45
	s_and_b32 s1, s0, vcc_lo
	s_and_saveexec_b32 s0, s1
	s_cbranch_execz .LBB33_189
; %bb.186:
	s_mov_b32 s1, exec_lo
	s_waitcnt vmcnt(0)
	v_cmpx_o_f64_e32 v[23:24], v[23:24]
; %bb.187:
	v_cmp_lt_f64_e32 vcc_lo, v[23:24], v[19:20]
	v_cndmask_b32_e32 v24, v20, v24, vcc_lo
	v_cndmask_b32_e32 v23, v19, v23, vcc_lo
; %bb.188:
	s_or_b32 exec_lo, exec_lo, s1
	v_mov_b32_e32 v19, v23
	v_mov_b32_e32 v20, v24
.LBB33_189:
	s_or_b32 exec_lo, exec_lo, s0
	v_cmp_o_f64_e32 vcc_lo, v[19:20], v[19:20]
	v_cmp_gt_u32_e64 s0, s5, v44
	s_and_b32 s1, s0, vcc_lo
	s_and_saveexec_b32 s0, s1
	s_cbranch_execz .LBB33_193
; %bb.190:
	s_mov_b32 s1, exec_lo
	s_waitcnt vmcnt(0)
	v_cmpx_o_f64_e32 v[21:22], v[21:22]
; %bb.191:
	v_cmp_lt_f64_e32 vcc_lo, v[21:22], v[19:20]
	v_cndmask_b32_e32 v22, v20, v22, vcc_lo
	v_cndmask_b32_e32 v21, v19, v21, vcc_lo
; %bb.192:
	s_or_b32 exec_lo, exec_lo, s1
	v_mov_b32_e32 v19, v21
	v_mov_b32_e32 v20, v22
.LBB33_193:
	s_or_b32 exec_lo, exec_lo, s0
	v_cmp_o_f64_e32 vcc_lo, v[19:20], v[19:20]
	v_cmp_gt_u32_e64 s0, s5, v43
	s_and_b32 s1, s0, vcc_lo
	s_and_saveexec_b32 s0, s1
	s_cbranch_execz .LBB33_197
; %bb.194:
	s_mov_b32 s1, exec_lo
	s_waitcnt vmcnt(0)
	v_cmpx_o_f64_e32 v[17:18], v[17:18]
; %bb.195:
	v_cmp_lt_f64_e32 vcc_lo, v[17:18], v[19:20]
	v_cndmask_b32_e32 v18, v20, v18, vcc_lo
	v_cndmask_b32_e32 v17, v19, v17, vcc_lo
; %bb.196:
	s_or_b32 exec_lo, exec_lo, s1
	v_mov_b32_e32 v20, v18
	v_mov_b32_e32 v19, v17
.LBB33_197:
	s_or_b32 exec_lo, exec_lo, s0
	v_cmp_o_f64_e32 vcc_lo, v[19:20], v[19:20]
	v_cmp_gt_u32_e64 s0, s5, v42
	s_and_b32 s1, s0, vcc_lo
	s_and_saveexec_b32 s0, s1
	s_cbranch_execz .LBB33_201
; %bb.198:
	s_mov_b32 s1, exec_lo
	s_waitcnt vmcnt(0)
	v_cmpx_o_f64_e32 v[15:16], v[15:16]
; %bb.199:
	v_cmp_lt_f64_e32 vcc_lo, v[15:16], v[19:20]
	v_cndmask_b32_e32 v16, v20, v16, vcc_lo
	v_cndmask_b32_e32 v15, v19, v15, vcc_lo
; %bb.200:
	s_or_b32 exec_lo, exec_lo, s1
	v_mov_b32_e32 v20, v16
	v_mov_b32_e32 v19, v15
.LBB33_201:
	s_or_b32 exec_lo, exec_lo, s0
	v_cmp_o_f64_e32 vcc_lo, v[19:20], v[19:20]
	v_cmp_gt_u32_e64 s0, s5, v41
	s_and_b32 s1, s0, vcc_lo
	s_and_saveexec_b32 s0, s1
	s_cbranch_execz .LBB33_205
; %bb.202:
	s_mov_b32 s1, exec_lo
	s_waitcnt vmcnt(0)
	v_cmpx_o_f64_e32 v[13:14], v[13:14]
; %bb.203:
	v_cmp_lt_f64_e32 vcc_lo, v[13:14], v[19:20]
	v_cndmask_b32_e32 v14, v20, v14, vcc_lo
	v_cndmask_b32_e32 v13, v19, v13, vcc_lo
; %bb.204:
	s_or_b32 exec_lo, exec_lo, s1
	v_mov_b32_e32 v20, v14
	v_mov_b32_e32 v19, v13
.LBB33_205:
	s_or_b32 exec_lo, exec_lo, s0
	v_cmp_o_f64_e32 vcc_lo, v[19:20], v[19:20]
	v_cmp_gt_u32_e64 s0, s5, v40
	s_and_b32 s1, s0, vcc_lo
	s_and_saveexec_b32 s0, s1
	s_cbranch_execz .LBB33_209
; %bb.206:
	s_mov_b32 s1, exec_lo
	s_waitcnt vmcnt(0)
	v_cmpx_o_f64_e32 v[11:12], v[11:12]
; %bb.207:
	v_cmp_lt_f64_e32 vcc_lo, v[11:12], v[19:20]
	v_cndmask_b32_e32 v12, v20, v12, vcc_lo
	v_cndmask_b32_e32 v11, v19, v11, vcc_lo
; %bb.208:
	s_or_b32 exec_lo, exec_lo, s1
	v_mov_b32_e32 v20, v12
	v_mov_b32_e32 v19, v11
.LBB33_209:
	s_or_b32 exec_lo, exec_lo, s0
	v_cmp_o_f64_e32 vcc_lo, v[19:20], v[19:20]
	v_cmp_gt_u32_e64 s0, s5, v39
	s_and_b32 s1, s0, vcc_lo
	s_and_saveexec_b32 s0, s1
	s_cbranch_execz .LBB33_213
; %bb.210:
	s_mov_b32 s1, exec_lo
	s_waitcnt vmcnt(0)
	v_cmpx_o_f64_e32 v[9:10], v[9:10]
; %bb.211:
	v_cmp_lt_f64_e32 vcc_lo, v[9:10], v[19:20]
	v_cndmask_b32_e32 v10, v20, v10, vcc_lo
	v_cndmask_b32_e32 v9, v19, v9, vcc_lo
; %bb.212:
	s_or_b32 exec_lo, exec_lo, s1
	v_mov_b32_e32 v20, v10
	v_mov_b32_e32 v19, v9
.LBB33_213:
	s_or_b32 exec_lo, exec_lo, s0
	v_cmp_o_f64_e32 vcc_lo, v[19:20], v[19:20]
	v_cmp_gt_u32_e64 s0, s5, v38
	s_and_b32 s1, s0, vcc_lo
	s_and_saveexec_b32 s0, s1
	s_cbranch_execz .LBB33_217
; %bb.214:
	s_mov_b32 s1, exec_lo
	s_waitcnt vmcnt(0)
	v_cmpx_o_f64_e32 v[7:8], v[7:8]
; %bb.215:
	v_cmp_lt_f64_e32 vcc_lo, v[7:8], v[19:20]
	v_cndmask_b32_e32 v8, v20, v8, vcc_lo
	v_cndmask_b32_e32 v7, v19, v7, vcc_lo
; %bb.216:
	s_or_b32 exec_lo, exec_lo, s1
	v_mov_b32_e32 v20, v8
	v_mov_b32_e32 v19, v7
.LBB33_217:
	s_or_b32 exec_lo, exec_lo, s0
	v_cmp_o_f64_e32 vcc_lo, v[19:20], v[19:20]
	v_cmp_gt_u32_e64 s0, s5, v37
	s_and_b32 s1, s0, vcc_lo
	s_and_saveexec_b32 s0, s1
	s_cbranch_execz .LBB33_221
; %bb.218:
	s_mov_b32 s1, exec_lo
	s_waitcnt vmcnt(0)
	v_cmpx_o_f64_e32 v[5:6], v[5:6]
; %bb.219:
	v_cmp_lt_f64_e32 vcc_lo, v[5:6], v[19:20]
	v_cndmask_b32_e32 v6, v20, v6, vcc_lo
	v_cndmask_b32_e32 v5, v19, v5, vcc_lo
; %bb.220:
	s_or_b32 exec_lo, exec_lo, s1
	v_mov_b32_e32 v20, v6
	v_mov_b32_e32 v19, v5
.LBB33_221:
	s_or_b32 exec_lo, exec_lo, s0
	v_cmp_o_f64_e32 vcc_lo, v[19:20], v[19:20]
	v_cmp_gt_u32_e64 s0, s5, v36
	s_and_b32 s1, s0, vcc_lo
	s_and_saveexec_b32 s0, s1
	s_cbranch_execz .LBB33_225
; %bb.222:
	s_mov_b32 s1, exec_lo
	s_waitcnt vmcnt(0)
	v_cmpx_o_f64_e32 v[3:4], v[3:4]
; %bb.223:
	v_cmp_lt_f64_e32 vcc_lo, v[3:4], v[19:20]
	v_cndmask_b32_e32 v4, v20, v4, vcc_lo
	v_cndmask_b32_e32 v3, v19, v3, vcc_lo
; %bb.224:
	s_or_b32 exec_lo, exec_lo, s1
	v_mov_b32_e32 v20, v4
	v_mov_b32_e32 v19, v3
.LBB33_225:
	s_or_b32 exec_lo, exec_lo, s0
	v_cmp_o_f64_e32 vcc_lo, v[19:20], v[19:20]
	v_cmp_gt_u32_e64 s0, s5, v35
	s_and_b32 s1, s0, vcc_lo
	s_and_saveexec_b32 s0, s1
	s_cbranch_execz .LBB33_229
; %bb.226:
	s_mov_b32 s1, exec_lo
	s_waitcnt vmcnt(0)
	v_cmpx_o_f64_e32 v[1:2], v[1:2]
; %bb.227:
	v_cmp_lt_f64_e32 vcc_lo, v[1:2], v[19:20]
	v_cndmask_b32_e32 v2, v20, v2, vcc_lo
	v_cndmask_b32_e32 v1, v19, v1, vcc_lo
; %bb.228:
	s_or_b32 exec_lo, exec_lo, s1
	v_mov_b32_e32 v20, v2
	v_mov_b32_e32 v19, v1
.LBB33_229:
	s_or_b32 exec_lo, exec_lo, s0
	s_waitcnt vmcnt(0)
	v_mov_b32_dpp v1, v19 quad_perm:[1,0,3,2] row_mask:0xf bank_mask:0xf
	v_mov_b32_dpp v2, v20 quad_perm:[1,0,3,2] row_mask:0xf bank_mask:0xf
	s_mov_b32 s0, exec_lo
	v_cmpx_o_f64_e32 v[1:2], v[1:2]
	s_xor_b32 s0, exec_lo, s0
	s_cbranch_execz .LBB33_233
; %bb.230:
	s_mov_b32 s1, exec_lo
	v_cmpx_o_f64_e32 v[19:20], v[19:20]
; %bb.231:
	v_cmp_lt_f64_e32 vcc_lo, v[19:20], v[1:2]
	v_cndmask_b32_e32 v20, v2, v20, vcc_lo
	v_cndmask_b32_e32 v19, v1, v19, vcc_lo
; %bb.232:
	s_or_b32 exec_lo, exec_lo, s1
	v_mov_b32_e32 v1, v19
	v_mov_b32_e32 v2, v20
.LBB33_233:
	s_or_b32 exec_lo, exec_lo, s0
	v_mov_b32_dpp v3, v1 quad_perm:[2,3,0,1] row_mask:0xf bank_mask:0xf
	v_mov_b32_dpp v4, v2 quad_perm:[2,3,0,1] row_mask:0xf bank_mask:0xf
	s_mov_b32 s0, exec_lo
	v_cmpx_o_f64_e32 v[3:4], v[3:4]
	s_cbranch_execz .LBB33_237
; %bb.234:
	s_mov_b32 s1, exec_lo
	v_cmpx_o_f64_e32 v[1:2], v[1:2]
; %bb.235:
	v_cmp_lt_f64_e32 vcc_lo, v[1:2], v[3:4]
	v_cndmask_b32_e32 v2, v4, v2, vcc_lo
	v_cndmask_b32_e32 v1, v3, v1, vcc_lo
; %bb.236:
	s_or_b32 exec_lo, exec_lo, s1
	v_mov_b32_e32 v4, v2
	v_mov_b32_e32 v3, v1
.LBB33_237:
	s_or_b32 exec_lo, exec_lo, s0
	v_mov_b32_dpp v1, v3 row_ror:4 row_mask:0xf bank_mask:0xf
	v_mov_b32_dpp v2, v4 row_ror:4 row_mask:0xf bank_mask:0xf
	s_mov_b32 s0, exec_lo
	v_cmpx_o_f64_e32 v[1:2], v[1:2]
	s_cbranch_execz .LBB33_241
; %bb.238:
	s_mov_b32 s1, exec_lo
	v_cmpx_o_f64_e32 v[3:4], v[3:4]
; %bb.239:
	v_cmp_lt_f64_e32 vcc_lo, v[3:4], v[1:2]
	v_cndmask_b32_e32 v4, v2, v4, vcc_lo
	v_cndmask_b32_e32 v3, v1, v3, vcc_lo
; %bb.240:
	s_or_b32 exec_lo, exec_lo, s1
	v_mov_b32_e32 v1, v3
	v_mov_b32_e32 v2, v4
.LBB33_241:
	s_or_b32 exec_lo, exec_lo, s0
	v_mov_b32_dpp v3, v1 row_ror:8 row_mask:0xf bank_mask:0xf
	v_mov_b32_dpp v4, v2 row_ror:8 row_mask:0xf bank_mask:0xf
	s_mov_b32 s0, exec_lo
	v_cmpx_o_f64_e32 v[3:4], v[3:4]
	s_cbranch_execz .LBB33_245
; %bb.242:
	s_mov_b32 s1, exec_lo
	v_cmpx_o_f64_e32 v[1:2], v[1:2]
; %bb.243:
	v_cmp_lt_f64_e32 vcc_lo, v[1:2], v[3:4]
	v_cndmask_b32_e32 v2, v4, v2, vcc_lo
	v_cndmask_b32_e32 v1, v3, v1, vcc_lo
; %bb.244:
	s_or_b32 exec_lo, exec_lo, s1
	v_mov_b32_e32 v4, v2
	v_mov_b32_e32 v3, v1
.LBB33_245:
	s_or_b32 exec_lo, exec_lo, s0
	ds_swizzle_b32 v1, v3 offset:swizzle(BROADCAST,32,15)
	ds_swizzle_b32 v2, v4 offset:swizzle(BROADCAST,32,15)
	s_mov_b32 s0, exec_lo
	s_waitcnt lgkmcnt(0)
	v_cmpx_o_f64_e32 v[1:2], v[1:2]
	s_cbranch_execz .LBB33_249
; %bb.246:
	s_mov_b32 s1, exec_lo
	v_cmpx_o_f64_e32 v[3:4], v[3:4]
; %bb.247:
	v_cmp_lt_f64_e32 vcc_lo, v[3:4], v[1:2]
	v_cndmask_b32_e32 v4, v2, v4, vcc_lo
	v_cndmask_b32_e32 v3, v1, v3, vcc_lo
; %bb.248:
	s_or_b32 exec_lo, exec_lo, s1
	v_mov_b32_e32 v1, v3
	v_mov_b32_e32 v2, v4
.LBB33_249:
	s_or_b32 exec_lo, exec_lo, s0
	v_mov_b32_e32 v3, 0
	v_mbcnt_lo_u32_b32 v5, -1, 0
	s_mov_b32 s0, exec_lo
	ds_bpermute_b32 v1, v3, v1 offset:124
	ds_bpermute_b32 v2, v3, v2 offset:124
	v_cmpx_eq_u32_e32 0, v5
	s_cbranch_execz .LBB33_251
; %bb.250:
	v_lshrrev_b32_e32 v3, 2, v0
	v_and_b32_e32 v3, 56, v3
	s_waitcnt lgkmcnt(0)
	ds_write_b64 v3, v[1:2]
.LBB33_251:
	s_or_b32 exec_lo, exec_lo, s0
	s_mov_b32 s0, exec_lo
	s_waitcnt lgkmcnt(0)
	s_barrier
	buffer_gl0_inv
	v_cmpx_gt_u32_e32 32, v0
	s_cbranch_execz .LBB33_265
; %bb.252:
	v_and_b32_e32 v6, 7, v5
	s_mov_b32 s1, exec_lo
	v_lshlrev_b32_e32 v1, 3, v6
	v_cmp_ne_u32_e32 vcc_lo, 7, v6
	ds_read_b64 v[1:2], v1
	v_add_co_ci_u32_e64 v3, null, 0, v5, vcc_lo
	v_lshlrev_b32_e32 v4, 2, v3
	s_waitcnt lgkmcnt(0)
	ds_bpermute_b32 v3, v4, v1
	ds_bpermute_b32 v4, v4, v2
	v_cmpx_o_f64_e32 v[1:2], v[1:2]
	s_cbranch_execz .LBB33_256
; %bb.253:
	s_mov_b32 s5, exec_lo
	s_waitcnt lgkmcnt(0)
	v_cmpx_o_f64_e32 v[3:4], v[3:4]
; %bb.254:
	v_cmp_gt_f64_e32 vcc_lo, v[1:2], v[3:4]
	v_cndmask_b32_e32 v4, v2, v4, vcc_lo
	v_cndmask_b32_e32 v3, v1, v3, vcc_lo
; %bb.255:
	s_or_b32 exec_lo, exec_lo, s5
	v_mov_b32_e32 v1, v3
	v_mov_b32_e32 v2, v4
.LBB33_256:
	s_or_b32 exec_lo, exec_lo, s1
	v_cmp_gt_u32_e32 vcc_lo, 6, v6
	s_mov_b32 s1, exec_lo
	s_waitcnt lgkmcnt(1)
	v_cndmask_b32_e64 v3, 0, 2, vcc_lo
	s_waitcnt lgkmcnt(0)
	v_add_lshl_u32 v4, v3, v5, 2
	v_lshlrev_b32_e32 v5, 2, v5
	ds_bpermute_b32 v3, v4, v1
	ds_bpermute_b32 v4, v4, v2
	v_cmpx_o_f64_e32 v[1:2], v[1:2]
	s_cbranch_execz .LBB33_260
; %bb.257:
	s_mov_b32 s5, exec_lo
	s_waitcnt lgkmcnt(0)
	v_cmpx_o_f64_e32 v[3:4], v[3:4]
; %bb.258:
	v_cmp_gt_f64_e32 vcc_lo, v[1:2], v[3:4]
	v_cndmask_b32_e32 v4, v2, v4, vcc_lo
	v_cndmask_b32_e32 v3, v1, v3, vcc_lo
; %bb.259:
	s_or_b32 exec_lo, exec_lo, s5
	v_mov_b32_e32 v1, v3
	v_mov_b32_e32 v2, v4
.LBB33_260:
	s_or_b32 exec_lo, exec_lo, s1
	s_waitcnt lgkmcnt(0)
	v_or_b32_e32 v4, 16, v5
	s_mov_b32 s1, exec_lo
	ds_bpermute_b32 v3, v4, v1
	ds_bpermute_b32 v4, v4, v2
	v_cmpx_o_f64_e32 v[1:2], v[1:2]
	s_cbranch_execz .LBB33_264
; %bb.261:
	s_mov_b32 s5, exec_lo
	s_waitcnt lgkmcnt(0)
	v_cmpx_o_f64_e32 v[3:4], v[3:4]
; %bb.262:
	v_cmp_gt_f64_e32 vcc_lo, v[1:2], v[3:4]
	v_cndmask_b32_e32 v4, v2, v4, vcc_lo
	v_cndmask_b32_e32 v3, v1, v3, vcc_lo
; %bb.263:
	s_or_b32 exec_lo, exec_lo, s5
	v_mov_b32_e32 v1, v3
	v_mov_b32_e32 v2, v4
.LBB33_264:
	s_or_b32 exec_lo, exec_lo, s1
.LBB33_265:
	s_or_b32 exec_lo, exec_lo, s0
	s_branch .LBB33_364
.LBB33_266:
	s_sub_i32 s1, s15, s4
	s_mov_b32 s0, exec_lo
                                        ; implicit-def: $vgpr3_vgpr4
	v_cmpx_gt_u32_e64 s1, v0
	s_cbranch_execz .LBB33_276
; %bb.267:
	v_add_nc_u32_e32 v1, s4, v0
	s_mov_b32 s4, exec_lo
	v_ashrrev_i32_e32 v2, 31, v1
	s_waitcnt lgkmcnt(1)
	v_lshlrev_b64 v[2:3], 3, v[1:2]
	v_add_nc_u32_e32 v1, 0x100, v1
	v_add_co_u32 v2, vcc_lo, s8, v2
	v_add_co_ci_u32_e64 v3, null, s9, v3, vcc_lo
	s_waitcnt lgkmcnt(0)
	global_load_dwordx2 v[3:4], v[2:3], off
	v_cmpx_gt_i32_e64 s15, v1
	s_cbranch_execz .LBB33_275
; %bb.268:
	s_mov_b32 s5, 0
	s_inst_prefetch 0x1
	s_branch .LBB33_271
	.p2align	6
.LBB33_269:                             ;   in Loop: Header=BB33_271 Depth=1
	s_or_b32 exec_lo, exec_lo, s17
	v_mov_b32_e32 v3, v5
	v_mov_b32_e32 v4, v6
.LBB33_270:                             ;   in Loop: Header=BB33_271 Depth=1
	s_or_b32 exec_lo, exec_lo, s16
	v_add_nc_u32_e32 v1, 0x100, v1
	v_cmp_le_i32_e32 vcc_lo, s15, v1
	s_or_b32 s5, vcc_lo, s5
	s_andn2_b32 exec_lo, exec_lo, s5
	s_cbranch_execz .LBB33_274
.LBB33_271:                             ; =>This Inner Loop Header: Depth=1
	s_mov_b32 s16, exec_lo
	s_waitcnt vmcnt(0)
	v_cmpx_o_f64_e32 v[3:4], v[3:4]
	s_cbranch_execz .LBB33_270
; %bb.272:                              ;   in Loop: Header=BB33_271 Depth=1
	v_ashrrev_i32_e32 v2, 31, v1
	s_mov_b32 s17, exec_lo
	v_lshlrev_b64 v[5:6], 3, v[1:2]
	v_add_co_u32 v5, vcc_lo, s8, v5
	v_add_co_ci_u32_e64 v6, null, s9, v6, vcc_lo
	global_load_dwordx2 v[5:6], v[5:6], off
	s_waitcnt vmcnt(0)
	v_cmpx_o_f64_e32 v[5:6], v[5:6]
	s_cbranch_execz .LBB33_269
; %bb.273:                              ;   in Loop: Header=BB33_271 Depth=1
	v_cmp_lt_f64_e32 vcc_lo, v[5:6], v[3:4]
	v_cndmask_b32_e32 v6, v4, v6, vcc_lo
	v_cndmask_b32_e32 v5, v3, v5, vcc_lo
	s_branch .LBB33_269
.LBB33_274:
	s_inst_prefetch 0x2
	s_or_b32 exec_lo, exec_lo, s5
.LBB33_275:
	s_or_b32 exec_lo, exec_lo, s4
.LBB33_276:
	s_or_b32 exec_lo, exec_lo, s0
	v_lshrrev_b32_e32 v10, 5, v0
	v_mbcnt_lo_u32_b32 v9, -1, 0
	s_cmpk_lt_u32 s1, 0x100
	s_mov_b32 s0, -1
                                        ; implicit-def: $vgpr1_vgpr2
	s_cbranch_scc0 .LBB33_326
; %bb.277:
	v_cmp_ne_u32_e32 vcc_lo, 31, v9
	s_waitcnt vmcnt(0) lgkmcnt(1)
	v_mov_b32_e32 v5, v3
	s_waitcnt lgkmcnt(0)
	v_mov_b32_e32 v6, v4
	v_add_co_ci_u32_e64 v1, null, 0, v9, vcc_lo
	v_lshlrev_b32_e32 v1, 2, v1
	ds_bpermute_b32 v7, v1, v3
	ds_bpermute_b32 v8, v1, v4
	v_and_b32_e32 v1, 0xe0, v0
	v_sub_nc_u32_e64 v11, s1, v1 clamp
	v_add_nc_u32_e32 v1, 1, v9
	v_cmp_lt_u32_e32 vcc_lo, v1, v11
	v_mov_b32_e32 v1, v3
	v_mov_b32_e32 v2, v4
	s_and_saveexec_b32 s0, vcc_lo
	s_cbranch_execz .LBB33_283
; %bb.278:
	v_mov_b32_e32 v6, v4
	v_mov_b32_e32 v5, v3
	s_mov_b32 s4, exec_lo
	v_cmpx_o_f64_e32 v[3:4], v[3:4]
	s_cbranch_execz .LBB33_282
; %bb.279:
	s_mov_b32 s5, exec_lo
	s_waitcnt lgkmcnt(0)
	v_cmpx_o_f64_e32 v[7:8], v[7:8]
; %bb.280:
	v_cmp_gt_f64_e32 vcc_lo, v[3:4], v[7:8]
	v_cndmask_b32_e32 v8, v4, v8, vcc_lo
	v_cndmask_b32_e32 v7, v3, v7, vcc_lo
; %bb.281:
	s_or_b32 exec_lo, exec_lo, s5
	v_mov_b32_e32 v5, v7
	v_mov_b32_e32 v6, v8
.LBB33_282:
	s_or_b32 exec_lo, exec_lo, s4
	v_mov_b32_e32 v1, v5
	v_mov_b32_e32 v2, v6
.LBB33_283:
	s_or_b32 exec_lo, exec_lo, s0
	v_cmp_gt_u32_e32 vcc_lo, 30, v9
	v_add_nc_u32_e32 v12, 2, v9
	s_mov_b32 s0, exec_lo
	s_waitcnt lgkmcnt(1)
	v_cndmask_b32_e64 v7, 0, 2, vcc_lo
	s_waitcnt lgkmcnt(0)
	v_add_lshl_u32 v8, v7, v9, 2
	ds_bpermute_b32 v7, v8, v5
	ds_bpermute_b32 v8, v8, v6
	v_cmpx_lt_u32_e64 v12, v11
	s_cbranch_execz .LBB33_289
; %bb.284:
	s_mov_b32 s4, exec_lo
	v_cmpx_o_f64_e32 v[1:2], v[1:2]
	s_cbranch_execz .LBB33_288
; %bb.285:
	s_mov_b32 s5, exec_lo
	s_waitcnt lgkmcnt(0)
	v_cmpx_o_f64_e32 v[7:8], v[7:8]
; %bb.286:
	v_cmp_gt_f64_e32 vcc_lo, v[1:2], v[7:8]
	v_cndmask_b32_e32 v8, v2, v8, vcc_lo
	v_cndmask_b32_e32 v7, v1, v7, vcc_lo
; %bb.287:
	s_or_b32 exec_lo, exec_lo, s5
	v_mov_b32_e32 v1, v7
	v_mov_b32_e32 v2, v8
.LBB33_288:
	s_or_b32 exec_lo, exec_lo, s4
	v_mov_b32_e32 v5, v1
	v_mov_b32_e32 v6, v2
.LBB33_289:
	s_or_b32 exec_lo, exec_lo, s0
	v_cmp_gt_u32_e32 vcc_lo, 28, v9
	v_add_nc_u32_e32 v12, 4, v9
	s_mov_b32 s0, exec_lo
	s_waitcnt lgkmcnt(1)
	v_cndmask_b32_e64 v7, 0, 4, vcc_lo
	s_waitcnt lgkmcnt(0)
	v_add_lshl_u32 v8, v7, v9, 2
	ds_bpermute_b32 v7, v8, v5
	ds_bpermute_b32 v8, v8, v6
	v_cmpx_lt_u32_e64 v12, v11
	s_cbranch_execz .LBB33_295
; %bb.290:
	s_mov_b32 s4, exec_lo
	v_cmpx_o_f64_e32 v[1:2], v[1:2]
	s_cbranch_execz .LBB33_294
; %bb.291:
	s_mov_b32 s5, exec_lo
	s_waitcnt lgkmcnt(0)
	v_cmpx_o_f64_e32 v[7:8], v[7:8]
; %bb.292:
	v_cmp_gt_f64_e32 vcc_lo, v[1:2], v[7:8]
	v_cndmask_b32_e32 v8, v2, v8, vcc_lo
	v_cndmask_b32_e32 v7, v1, v7, vcc_lo
; %bb.293:
	s_or_b32 exec_lo, exec_lo, s5
	v_mov_b32_e32 v1, v7
	v_mov_b32_e32 v2, v8
.LBB33_294:
	s_or_b32 exec_lo, exec_lo, s4
	v_mov_b32_e32 v5, v1
	v_mov_b32_e32 v6, v2
.LBB33_295:
	;; [unrolled: 33-line block ×3, first 2 shown]
	s_or_b32 exec_lo, exec_lo, s0
	s_waitcnt lgkmcnt(1)
	v_lshlrev_b32_e32 v7, 2, v9
	v_cmp_o_f64_e32 vcc_lo, v[1:2], v[1:2]
	s_waitcnt lgkmcnt(0)
	v_or_b32_e32 v8, 64, v7
	ds_bpermute_b32 v5, v8, v5
	ds_bpermute_b32 v6, v8, v6
	v_add_nc_u32_e32 v8, 16, v9
	v_cmp_lt_u32_e64 s0, v8, v11
	s_and_b32 s4, s0, vcc_lo
	s_and_saveexec_b32 s0, s4
	s_cbranch_execz .LBB33_305
; %bb.302:
	s_mov_b32 s4, exec_lo
	s_waitcnt lgkmcnt(0)
	v_cmpx_o_f64_e32 v[5:6], v[5:6]
; %bb.303:
	v_cmp_gt_f64_e32 vcc_lo, v[1:2], v[5:6]
	v_cndmask_b32_e32 v6, v2, v6, vcc_lo
	v_cndmask_b32_e32 v5, v1, v5, vcc_lo
; %bb.304:
	s_or_b32 exec_lo, exec_lo, s4
	v_mov_b32_e32 v1, v5
	v_mov_b32_e32 v2, v6
.LBB33_305:
	s_or_b32 exec_lo, exec_lo, s0
	s_mov_b32 s0, exec_lo
	v_cmpx_eq_u32_e32 0, v9
	s_cbranch_execz .LBB33_307
; %bb.306:
	s_waitcnt lgkmcnt(1)
	v_lshlrev_b32_e32 v5, 3, v10
	ds_write_b64 v5, v[1:2]
.LBB33_307:
	s_or_b32 exec_lo, exec_lo, s0
	s_mov_b32 s4, exec_lo
	s_waitcnt lgkmcnt(0)
	s_barrier
	buffer_gl0_inv
	v_cmpx_gt_u32_e32 8, v0
	s_cbranch_execz .LBB33_325
; %bb.308:
	v_lshlrev_b32_e32 v1, 3, v9
	v_and_b32_e32 v8, 7, v9
	s_add_i32 s1, s1, 31
	s_lshr_b32 s0, s1, 5
	ds_read_b64 v[1:2], v1
	v_cmp_ne_u32_e32 vcc_lo, 7, v8
	v_add_nc_u32_e32 v11, 1, v8
	s_mov_b32 s1, exec_lo
	v_add_co_ci_u32_e64 v5, null, 0, v9, vcc_lo
	v_lshlrev_b32_e32 v6, 2, v5
	s_waitcnt lgkmcnt(0)
	ds_bpermute_b32 v5, v6, v1
	ds_bpermute_b32 v6, v6, v2
	v_cmpx_gt_u32_e64 s0, v11
	s_cbranch_execz .LBB33_314
; %bb.309:
	s_mov_b32 s5, exec_lo
	v_cmpx_o_f64_e32 v[1:2], v[1:2]
	s_cbranch_execz .LBB33_313
; %bb.310:
	s_mov_b32 s8, exec_lo
	s_waitcnt lgkmcnt(0)
	v_cmpx_o_f64_e32 v[5:6], v[5:6]
; %bb.311:
	v_cmp_gt_f64_e32 vcc_lo, v[1:2], v[5:6]
	v_cndmask_b32_e32 v6, v2, v6, vcc_lo
	v_cndmask_b32_e32 v5, v1, v5, vcc_lo
; %bb.312:
	s_or_b32 exec_lo, exec_lo, s8
	v_mov_b32_e32 v1, v5
	v_mov_b32_e32 v2, v6
.LBB33_313:
	s_or_b32 exec_lo, exec_lo, s5
.LBB33_314:
	s_or_b32 exec_lo, exec_lo, s1
	v_cmp_gt_u32_e32 vcc_lo, 6, v8
	v_add_nc_u32_e32 v11, 2, v8
	s_mov_b32 s1, exec_lo
	s_waitcnt lgkmcnt(1)
	v_cndmask_b32_e64 v5, 0, 2, vcc_lo
	s_waitcnt lgkmcnt(0)
	v_add_lshl_u32 v6, v5, v9, 2
	ds_bpermute_b32 v5, v6, v1
	ds_bpermute_b32 v6, v6, v2
	v_cmpx_gt_u32_e64 s0, v11
	s_cbranch_execz .LBB33_320
; %bb.315:
	s_mov_b32 s5, exec_lo
	v_cmpx_o_f64_e32 v[1:2], v[1:2]
	s_cbranch_execz .LBB33_319
; %bb.316:
	s_mov_b32 s8, exec_lo
	s_waitcnt lgkmcnt(0)
	v_cmpx_o_f64_e32 v[5:6], v[5:6]
; %bb.317:
	v_cmp_gt_f64_e32 vcc_lo, v[1:2], v[5:6]
	v_cndmask_b32_e32 v6, v2, v6, vcc_lo
	v_cndmask_b32_e32 v5, v1, v5, vcc_lo
; %bb.318:
	s_or_b32 exec_lo, exec_lo, s8
	v_mov_b32_e32 v1, v5
	v_mov_b32_e32 v2, v6
.LBB33_319:
	s_or_b32 exec_lo, exec_lo, s5
.LBB33_320:
	s_or_b32 exec_lo, exec_lo, s1
	s_waitcnt lgkmcnt(0)
	v_or_b32_e32 v6, 16, v7
	v_cmp_o_f64_e32 vcc_lo, v[1:2], v[1:2]
	v_add_nc_u32_e32 v7, 4, v8
	ds_bpermute_b32 v5, v6, v1
	ds_bpermute_b32 v6, v6, v2
	v_cmp_gt_u32_e64 s0, s0, v7
	s_and_b32 s1, s0, vcc_lo
	s_and_saveexec_b32 s0, s1
	s_cbranch_execz .LBB33_324
; %bb.321:
	s_mov_b32 s1, exec_lo
	s_waitcnt lgkmcnt(0)
	v_cmpx_o_f64_e32 v[5:6], v[5:6]
; %bb.322:
	v_cmp_gt_f64_e32 vcc_lo, v[1:2], v[5:6]
	v_cndmask_b32_e32 v6, v2, v6, vcc_lo
	v_cndmask_b32_e32 v5, v1, v5, vcc_lo
; %bb.323:
	s_or_b32 exec_lo, exec_lo, s1
	v_mov_b32_e32 v1, v5
	v_mov_b32_e32 v2, v6
.LBB33_324:
	s_or_b32 exec_lo, exec_lo, s0
.LBB33_325:
	s_or_b32 exec_lo, exec_lo, s4
	s_mov_b32 s0, 0
.LBB33_326:
	s_and_b32 vcc_lo, exec_lo, s0
	s_cbranch_vccz .LBB33_364
; %bb.327:
	s_waitcnt vmcnt(0) lgkmcnt(1)
	v_mov_b32_dpp v1, v3 quad_perm:[1,0,3,2] row_mask:0xf bank_mask:0xf
	s_waitcnt lgkmcnt(0)
	v_mov_b32_dpp v2, v4 quad_perm:[1,0,3,2] row_mask:0xf bank_mask:0xf
	s_mov_b32 s0, exec_lo
	v_cmpx_o_f64_e32 v[1:2], v[1:2]
	s_cbranch_execz .LBB33_331
; %bb.328:
	s_mov_b32 s1, exec_lo
	v_cmpx_o_f64_e32 v[3:4], v[3:4]
; %bb.329:
	v_cmp_lt_f64_e32 vcc_lo, v[3:4], v[1:2]
	v_cndmask_b32_e32 v4, v2, v4, vcc_lo
	v_cndmask_b32_e32 v3, v1, v3, vcc_lo
; %bb.330:
	s_or_b32 exec_lo, exec_lo, s1
	v_mov_b32_e32 v1, v3
	v_mov_b32_e32 v2, v4
.LBB33_331:
	s_or_b32 exec_lo, exec_lo, s0
	v_mov_b32_dpp v3, v1 quad_perm:[2,3,0,1] row_mask:0xf bank_mask:0xf
	v_mov_b32_dpp v4, v2 quad_perm:[2,3,0,1] row_mask:0xf bank_mask:0xf
	s_mov_b32 s0, exec_lo
	v_cmpx_o_f64_e32 v[3:4], v[3:4]
	s_cbranch_execz .LBB33_335
; %bb.332:
	s_mov_b32 s1, exec_lo
	v_cmpx_o_f64_e32 v[1:2], v[1:2]
; %bb.333:
	v_cmp_lt_f64_e32 vcc_lo, v[1:2], v[3:4]
	v_cndmask_b32_e32 v2, v4, v2, vcc_lo
	v_cndmask_b32_e32 v1, v3, v1, vcc_lo
; %bb.334:
	s_or_b32 exec_lo, exec_lo, s1
	v_mov_b32_e32 v4, v2
	v_mov_b32_e32 v3, v1
.LBB33_335:
	s_or_b32 exec_lo, exec_lo, s0
	v_mov_b32_dpp v1, v3 row_ror:4 row_mask:0xf bank_mask:0xf
	v_mov_b32_dpp v2, v4 row_ror:4 row_mask:0xf bank_mask:0xf
	s_mov_b32 s0, exec_lo
	v_cmpx_o_f64_e32 v[1:2], v[1:2]
	s_cbranch_execz .LBB33_339
; %bb.336:
	s_mov_b32 s1, exec_lo
	v_cmpx_o_f64_e32 v[3:4], v[3:4]
; %bb.337:
	v_cmp_lt_f64_e32 vcc_lo, v[3:4], v[1:2]
	v_cndmask_b32_e32 v4, v2, v4, vcc_lo
	v_cndmask_b32_e32 v3, v1, v3, vcc_lo
; %bb.338:
	s_or_b32 exec_lo, exec_lo, s1
	v_mov_b32_e32 v1, v3
	v_mov_b32_e32 v2, v4
.LBB33_339:
	s_or_b32 exec_lo, exec_lo, s0
	v_mov_b32_dpp v3, v1 row_ror:8 row_mask:0xf bank_mask:0xf
	v_mov_b32_dpp v4, v2 row_ror:8 row_mask:0xf bank_mask:0xf
	s_mov_b32 s0, exec_lo
	v_cmpx_o_f64_e32 v[3:4], v[3:4]
	s_cbranch_execz .LBB33_343
; %bb.340:
	s_mov_b32 s1, exec_lo
	v_cmpx_o_f64_e32 v[1:2], v[1:2]
; %bb.341:
	v_cmp_lt_f64_e32 vcc_lo, v[1:2], v[3:4]
	v_cndmask_b32_e32 v2, v4, v2, vcc_lo
	v_cndmask_b32_e32 v1, v3, v1, vcc_lo
; %bb.342:
	s_or_b32 exec_lo, exec_lo, s1
	v_mov_b32_e32 v4, v2
	v_mov_b32_e32 v3, v1
.LBB33_343:
	s_or_b32 exec_lo, exec_lo, s0
	ds_swizzle_b32 v1, v3 offset:swizzle(BROADCAST,32,15)
	ds_swizzle_b32 v2, v4 offset:swizzle(BROADCAST,32,15)
	s_mov_b32 s0, exec_lo
	s_waitcnt lgkmcnt(0)
	v_cmpx_o_f64_e32 v[1:2], v[1:2]
	s_cbranch_execz .LBB33_347
; %bb.344:
	s_mov_b32 s1, exec_lo
	v_cmpx_o_f64_e32 v[3:4], v[3:4]
; %bb.345:
	v_cmp_lt_f64_e32 vcc_lo, v[3:4], v[1:2]
	v_cndmask_b32_e32 v4, v2, v4, vcc_lo
	v_cndmask_b32_e32 v3, v1, v3, vcc_lo
; %bb.346:
	s_or_b32 exec_lo, exec_lo, s1
	v_mov_b32_e32 v1, v3
	v_mov_b32_e32 v2, v4
.LBB33_347:
	s_or_b32 exec_lo, exec_lo, s0
	v_mov_b32_e32 v3, 0
	s_mov_b32 s0, exec_lo
	ds_bpermute_b32 v1, v3, v1 offset:124
	ds_bpermute_b32 v2, v3, v2 offset:124
	v_cmpx_eq_u32_e32 0, v9
	s_cbranch_execz .LBB33_349
; %bb.348:
	v_lshlrev_b32_e32 v3, 3, v10
	s_waitcnt lgkmcnt(0)
	ds_write_b64 v3, v[1:2]
.LBB33_349:
	s_or_b32 exec_lo, exec_lo, s0
	s_mov_b32 s0, exec_lo
	s_waitcnt lgkmcnt(0)
	s_barrier
	buffer_gl0_inv
	v_cmpx_gt_u32_e32 32, v0
	s_cbranch_execz .LBB33_363
; %bb.350:
	v_and_b32_e32 v5, 7, v9
	s_mov_b32 s1, exec_lo
	v_lshlrev_b32_e32 v1, 3, v5
	v_cmp_ne_u32_e32 vcc_lo, 7, v5
	ds_read_b64 v[1:2], v1
	v_add_co_ci_u32_e64 v3, null, 0, v9, vcc_lo
	v_lshlrev_b32_e32 v4, 2, v3
	s_waitcnt lgkmcnt(0)
	ds_bpermute_b32 v3, v4, v1
	ds_bpermute_b32 v4, v4, v2
	v_cmpx_o_f64_e32 v[1:2], v[1:2]
	s_cbranch_execz .LBB33_354
; %bb.351:
	s_mov_b32 s4, exec_lo
	s_waitcnt lgkmcnt(0)
	v_cmpx_o_f64_e32 v[3:4], v[3:4]
; %bb.352:
	v_cmp_gt_f64_e32 vcc_lo, v[1:2], v[3:4]
	v_cndmask_b32_e32 v4, v2, v4, vcc_lo
	v_cndmask_b32_e32 v3, v1, v3, vcc_lo
; %bb.353:
	s_or_b32 exec_lo, exec_lo, s4
	v_mov_b32_e32 v1, v3
	v_mov_b32_e32 v2, v4
.LBB33_354:
	s_or_b32 exec_lo, exec_lo, s1
	v_cmp_gt_u32_e32 vcc_lo, 6, v5
	v_lshlrev_b32_e32 v5, 2, v9
	s_mov_b32 s1, exec_lo
	s_waitcnt lgkmcnt(1)
	v_cndmask_b32_e64 v3, 0, 2, vcc_lo
	s_waitcnt lgkmcnt(0)
	v_add_lshl_u32 v4, v3, v9, 2
	ds_bpermute_b32 v3, v4, v1
	ds_bpermute_b32 v4, v4, v2
	v_cmpx_o_f64_e32 v[1:2], v[1:2]
	s_cbranch_execz .LBB33_358
; %bb.355:
	s_mov_b32 s4, exec_lo
	s_waitcnt lgkmcnt(0)
	v_cmpx_o_f64_e32 v[3:4], v[3:4]
; %bb.356:
	v_cmp_gt_f64_e32 vcc_lo, v[1:2], v[3:4]
	v_cndmask_b32_e32 v4, v2, v4, vcc_lo
	v_cndmask_b32_e32 v3, v1, v3, vcc_lo
; %bb.357:
	s_or_b32 exec_lo, exec_lo, s4
	v_mov_b32_e32 v1, v3
	v_mov_b32_e32 v2, v4
.LBB33_358:
	s_or_b32 exec_lo, exec_lo, s1
	s_waitcnt lgkmcnt(0)
	v_or_b32_e32 v4, 16, v5
	s_mov_b32 s1, exec_lo
	ds_bpermute_b32 v3, v4, v1
	ds_bpermute_b32 v4, v4, v2
	v_cmpx_o_f64_e32 v[1:2], v[1:2]
	s_cbranch_execz .LBB33_362
; %bb.359:
	s_mov_b32 s4, exec_lo
	s_waitcnt lgkmcnt(0)
	v_cmpx_o_f64_e32 v[3:4], v[3:4]
; %bb.360:
	v_cmp_gt_f64_e32 vcc_lo, v[1:2], v[3:4]
	v_cndmask_b32_e32 v4, v2, v4, vcc_lo
	v_cndmask_b32_e32 v3, v1, v3, vcc_lo
; %bb.361:
	s_or_b32 exec_lo, exec_lo, s4
	v_mov_b32_e32 v1, v3
	v_mov_b32_e32 v2, v4
.LBB33_362:
	s_or_b32 exec_lo, exec_lo, s1
.LBB33_363:
	s_or_b32 exec_lo, exec_lo, s0
.LBB33_364:
	s_mov_b32 s0, exec_lo
                                        ; implicit-def: $vgpr3_vgpr4
	v_cmpx_eq_u32_e32 0, v0
	s_cbranch_execz .LBB33_370
; %bb.365:
	v_cmp_u_f64_e64 s1, s[2:3], s[2:3]
	s_waitcnt vmcnt(0) lgkmcnt(0)
	v_mov_b32_e32 v4, s3
	v_mov_b32_e32 v3, s2
	s_and_b32 vcc_lo, exec_lo, s1
	s_cbranch_vccnz .LBB33_369
; %bb.366:
	s_mov_b32 s1, exec_lo
	v_cmpx_o_f64_e32 v[1:2], v[1:2]
; %bb.367:
	v_cmp_gt_f64_e32 vcc_lo, s[2:3], v[1:2]
	v_cndmask_b32_e32 v2, s3, v2, vcc_lo
	v_cndmask_b32_e32 v1, s2, v1, vcc_lo
; %bb.368:
	s_or_b32 exec_lo, exec_lo, s1
	v_mov_b32_e32 v4, v2
	v_mov_b32_e32 v3, v1
.LBB33_369:
	s_or_b32 s14, s14, exec_lo
.LBB33_370:
	s_or_b32 exec_lo, exec_lo, s0
	s_and_saveexec_b32 s0, s14
	s_cbranch_execz .LBB33_372
.LBB33_371:
	s_lshl_b64 s[0:1], s[12:13], 3
	v_mov_b32_e32 v0, 0
	s_add_u32 s2, s10, s0
	s_addc_u32 s3, s11, s1
	s_lshl_b64 s[0:1], s[6:7], 3
	s_add_u32 s0, s2, s0
	s_addc_u32 s1, s3, s1
	s_waitcnt vmcnt(0) lgkmcnt(0)
	global_store_dwordx2 v0, v[3:4], s[0:1]
.LBB33_372:
	s_endpgm
	.section	.rodata,"a",@progbits
	.p2align	6, 0x0
	.amdhsa_kernel _ZN7rocprim17ROCPRIM_400000_NS6detail17trampoline_kernelINS0_14default_configENS1_32segmented_reduce_config_selectorIdEEZNS1_21segmented_reduce_implIS3_PKdPdPKidN6hipcub16HIPCUB_304000_NS6detail27convert_result_type_wrapperIS8_S9_N2at6native12_GLOBAL__N_19CustomMinEEEEE10hipError_tPvRmT0_T1_jT2_SQ_T4_T3_P12ihipStream_tbEUlT_E_NS1_11comp_targetILNS1_3genE8ELNS1_11target_archE1030ELNS1_3gpuE2ELNS1_3repE0EEENS1_30default_config_static_selectorELNS0_4arch9wavefront6targetE0EEEvSP_
		.amdhsa_group_segment_fixed_size 64
		.amdhsa_private_segment_fixed_size 0
		.amdhsa_kernarg_size 56
		.amdhsa_user_sgpr_count 6
		.amdhsa_user_sgpr_private_segment_buffer 1
		.amdhsa_user_sgpr_dispatch_ptr 0
		.amdhsa_user_sgpr_queue_ptr 0
		.amdhsa_user_sgpr_kernarg_segment_ptr 1
		.amdhsa_user_sgpr_dispatch_id 0
		.amdhsa_user_sgpr_flat_scratch_init 0
		.amdhsa_user_sgpr_private_segment_size 0
		.amdhsa_wavefront_size32 1
		.amdhsa_uses_dynamic_stack 0
		.amdhsa_system_sgpr_private_segment_wavefront_offset 0
		.amdhsa_system_sgpr_workgroup_id_x 1
		.amdhsa_system_sgpr_workgroup_id_y 0
		.amdhsa_system_sgpr_workgroup_id_z 0
		.amdhsa_system_sgpr_workgroup_info 0
		.amdhsa_system_vgpr_workitem_id 0
		.amdhsa_next_free_vgpr 50
		.amdhsa_next_free_sgpr 18
		.amdhsa_reserve_vcc 1
		.amdhsa_reserve_flat_scratch 0
		.amdhsa_float_round_mode_32 0
		.amdhsa_float_round_mode_16_64 0
		.amdhsa_float_denorm_mode_32 3
		.amdhsa_float_denorm_mode_16_64 3
		.amdhsa_dx10_clamp 1
		.amdhsa_ieee_mode 1
		.amdhsa_fp16_overflow 0
		.amdhsa_workgroup_processor_mode 1
		.amdhsa_memory_ordered 1
		.amdhsa_forward_progress 1
		.amdhsa_shared_vgpr_count 0
		.amdhsa_exception_fp_ieee_invalid_op 0
		.amdhsa_exception_fp_denorm_src 0
		.amdhsa_exception_fp_ieee_div_zero 0
		.amdhsa_exception_fp_ieee_overflow 0
		.amdhsa_exception_fp_ieee_underflow 0
		.amdhsa_exception_fp_ieee_inexact 0
		.amdhsa_exception_int_div_zero 0
	.end_amdhsa_kernel
	.section	.text._ZN7rocprim17ROCPRIM_400000_NS6detail17trampoline_kernelINS0_14default_configENS1_32segmented_reduce_config_selectorIdEEZNS1_21segmented_reduce_implIS3_PKdPdPKidN6hipcub16HIPCUB_304000_NS6detail27convert_result_type_wrapperIS8_S9_N2at6native12_GLOBAL__N_19CustomMinEEEEE10hipError_tPvRmT0_T1_jT2_SQ_T4_T3_P12ihipStream_tbEUlT_E_NS1_11comp_targetILNS1_3genE8ELNS1_11target_archE1030ELNS1_3gpuE2ELNS1_3repE0EEENS1_30default_config_static_selectorELNS0_4arch9wavefront6targetE0EEEvSP_,"axG",@progbits,_ZN7rocprim17ROCPRIM_400000_NS6detail17trampoline_kernelINS0_14default_configENS1_32segmented_reduce_config_selectorIdEEZNS1_21segmented_reduce_implIS3_PKdPdPKidN6hipcub16HIPCUB_304000_NS6detail27convert_result_type_wrapperIS8_S9_N2at6native12_GLOBAL__N_19CustomMinEEEEE10hipError_tPvRmT0_T1_jT2_SQ_T4_T3_P12ihipStream_tbEUlT_E_NS1_11comp_targetILNS1_3genE8ELNS1_11target_archE1030ELNS1_3gpuE2ELNS1_3repE0EEENS1_30default_config_static_selectorELNS0_4arch9wavefront6targetE0EEEvSP_,comdat
.Lfunc_end33:
	.size	_ZN7rocprim17ROCPRIM_400000_NS6detail17trampoline_kernelINS0_14default_configENS1_32segmented_reduce_config_selectorIdEEZNS1_21segmented_reduce_implIS3_PKdPdPKidN6hipcub16HIPCUB_304000_NS6detail27convert_result_type_wrapperIS8_S9_N2at6native12_GLOBAL__N_19CustomMinEEEEE10hipError_tPvRmT0_T1_jT2_SQ_T4_T3_P12ihipStream_tbEUlT_E_NS1_11comp_targetILNS1_3genE8ELNS1_11target_archE1030ELNS1_3gpuE2ELNS1_3repE0EEENS1_30default_config_static_selectorELNS0_4arch9wavefront6targetE0EEEvSP_, .Lfunc_end33-_ZN7rocprim17ROCPRIM_400000_NS6detail17trampoline_kernelINS0_14default_configENS1_32segmented_reduce_config_selectorIdEEZNS1_21segmented_reduce_implIS3_PKdPdPKidN6hipcub16HIPCUB_304000_NS6detail27convert_result_type_wrapperIS8_S9_N2at6native12_GLOBAL__N_19CustomMinEEEEE10hipError_tPvRmT0_T1_jT2_SQ_T4_T3_P12ihipStream_tbEUlT_E_NS1_11comp_targetILNS1_3genE8ELNS1_11target_archE1030ELNS1_3gpuE2ELNS1_3repE0EEENS1_30default_config_static_selectorELNS0_4arch9wavefront6targetE0EEEvSP_
                                        ; -- End function
	.set _ZN7rocprim17ROCPRIM_400000_NS6detail17trampoline_kernelINS0_14default_configENS1_32segmented_reduce_config_selectorIdEEZNS1_21segmented_reduce_implIS3_PKdPdPKidN6hipcub16HIPCUB_304000_NS6detail27convert_result_type_wrapperIS8_S9_N2at6native12_GLOBAL__N_19CustomMinEEEEE10hipError_tPvRmT0_T1_jT2_SQ_T4_T3_P12ihipStream_tbEUlT_E_NS1_11comp_targetILNS1_3genE8ELNS1_11target_archE1030ELNS1_3gpuE2ELNS1_3repE0EEENS1_30default_config_static_selectorELNS0_4arch9wavefront6targetE0EEEvSP_.num_vgpr, 50
	.set _ZN7rocprim17ROCPRIM_400000_NS6detail17trampoline_kernelINS0_14default_configENS1_32segmented_reduce_config_selectorIdEEZNS1_21segmented_reduce_implIS3_PKdPdPKidN6hipcub16HIPCUB_304000_NS6detail27convert_result_type_wrapperIS8_S9_N2at6native12_GLOBAL__N_19CustomMinEEEEE10hipError_tPvRmT0_T1_jT2_SQ_T4_T3_P12ihipStream_tbEUlT_E_NS1_11comp_targetILNS1_3genE8ELNS1_11target_archE1030ELNS1_3gpuE2ELNS1_3repE0EEENS1_30default_config_static_selectorELNS0_4arch9wavefront6targetE0EEEvSP_.num_agpr, 0
	.set _ZN7rocprim17ROCPRIM_400000_NS6detail17trampoline_kernelINS0_14default_configENS1_32segmented_reduce_config_selectorIdEEZNS1_21segmented_reduce_implIS3_PKdPdPKidN6hipcub16HIPCUB_304000_NS6detail27convert_result_type_wrapperIS8_S9_N2at6native12_GLOBAL__N_19CustomMinEEEEE10hipError_tPvRmT0_T1_jT2_SQ_T4_T3_P12ihipStream_tbEUlT_E_NS1_11comp_targetILNS1_3genE8ELNS1_11target_archE1030ELNS1_3gpuE2ELNS1_3repE0EEENS1_30default_config_static_selectorELNS0_4arch9wavefront6targetE0EEEvSP_.numbered_sgpr, 18
	.set _ZN7rocprim17ROCPRIM_400000_NS6detail17trampoline_kernelINS0_14default_configENS1_32segmented_reduce_config_selectorIdEEZNS1_21segmented_reduce_implIS3_PKdPdPKidN6hipcub16HIPCUB_304000_NS6detail27convert_result_type_wrapperIS8_S9_N2at6native12_GLOBAL__N_19CustomMinEEEEE10hipError_tPvRmT0_T1_jT2_SQ_T4_T3_P12ihipStream_tbEUlT_E_NS1_11comp_targetILNS1_3genE8ELNS1_11target_archE1030ELNS1_3gpuE2ELNS1_3repE0EEENS1_30default_config_static_selectorELNS0_4arch9wavefront6targetE0EEEvSP_.num_named_barrier, 0
	.set _ZN7rocprim17ROCPRIM_400000_NS6detail17trampoline_kernelINS0_14default_configENS1_32segmented_reduce_config_selectorIdEEZNS1_21segmented_reduce_implIS3_PKdPdPKidN6hipcub16HIPCUB_304000_NS6detail27convert_result_type_wrapperIS8_S9_N2at6native12_GLOBAL__N_19CustomMinEEEEE10hipError_tPvRmT0_T1_jT2_SQ_T4_T3_P12ihipStream_tbEUlT_E_NS1_11comp_targetILNS1_3genE8ELNS1_11target_archE1030ELNS1_3gpuE2ELNS1_3repE0EEENS1_30default_config_static_selectorELNS0_4arch9wavefront6targetE0EEEvSP_.private_seg_size, 0
	.set _ZN7rocprim17ROCPRIM_400000_NS6detail17trampoline_kernelINS0_14default_configENS1_32segmented_reduce_config_selectorIdEEZNS1_21segmented_reduce_implIS3_PKdPdPKidN6hipcub16HIPCUB_304000_NS6detail27convert_result_type_wrapperIS8_S9_N2at6native12_GLOBAL__N_19CustomMinEEEEE10hipError_tPvRmT0_T1_jT2_SQ_T4_T3_P12ihipStream_tbEUlT_E_NS1_11comp_targetILNS1_3genE8ELNS1_11target_archE1030ELNS1_3gpuE2ELNS1_3repE0EEENS1_30default_config_static_selectorELNS0_4arch9wavefront6targetE0EEEvSP_.uses_vcc, 1
	.set _ZN7rocprim17ROCPRIM_400000_NS6detail17trampoline_kernelINS0_14default_configENS1_32segmented_reduce_config_selectorIdEEZNS1_21segmented_reduce_implIS3_PKdPdPKidN6hipcub16HIPCUB_304000_NS6detail27convert_result_type_wrapperIS8_S9_N2at6native12_GLOBAL__N_19CustomMinEEEEE10hipError_tPvRmT0_T1_jT2_SQ_T4_T3_P12ihipStream_tbEUlT_E_NS1_11comp_targetILNS1_3genE8ELNS1_11target_archE1030ELNS1_3gpuE2ELNS1_3repE0EEENS1_30default_config_static_selectorELNS0_4arch9wavefront6targetE0EEEvSP_.uses_flat_scratch, 0
	.set _ZN7rocprim17ROCPRIM_400000_NS6detail17trampoline_kernelINS0_14default_configENS1_32segmented_reduce_config_selectorIdEEZNS1_21segmented_reduce_implIS3_PKdPdPKidN6hipcub16HIPCUB_304000_NS6detail27convert_result_type_wrapperIS8_S9_N2at6native12_GLOBAL__N_19CustomMinEEEEE10hipError_tPvRmT0_T1_jT2_SQ_T4_T3_P12ihipStream_tbEUlT_E_NS1_11comp_targetILNS1_3genE8ELNS1_11target_archE1030ELNS1_3gpuE2ELNS1_3repE0EEENS1_30default_config_static_selectorELNS0_4arch9wavefront6targetE0EEEvSP_.has_dyn_sized_stack, 0
	.set _ZN7rocprim17ROCPRIM_400000_NS6detail17trampoline_kernelINS0_14default_configENS1_32segmented_reduce_config_selectorIdEEZNS1_21segmented_reduce_implIS3_PKdPdPKidN6hipcub16HIPCUB_304000_NS6detail27convert_result_type_wrapperIS8_S9_N2at6native12_GLOBAL__N_19CustomMinEEEEE10hipError_tPvRmT0_T1_jT2_SQ_T4_T3_P12ihipStream_tbEUlT_E_NS1_11comp_targetILNS1_3genE8ELNS1_11target_archE1030ELNS1_3gpuE2ELNS1_3repE0EEENS1_30default_config_static_selectorELNS0_4arch9wavefront6targetE0EEEvSP_.has_recursion, 0
	.set _ZN7rocprim17ROCPRIM_400000_NS6detail17trampoline_kernelINS0_14default_configENS1_32segmented_reduce_config_selectorIdEEZNS1_21segmented_reduce_implIS3_PKdPdPKidN6hipcub16HIPCUB_304000_NS6detail27convert_result_type_wrapperIS8_S9_N2at6native12_GLOBAL__N_19CustomMinEEEEE10hipError_tPvRmT0_T1_jT2_SQ_T4_T3_P12ihipStream_tbEUlT_E_NS1_11comp_targetILNS1_3genE8ELNS1_11target_archE1030ELNS1_3gpuE2ELNS1_3repE0EEENS1_30default_config_static_selectorELNS0_4arch9wavefront6targetE0EEEvSP_.has_indirect_call, 0
	.section	.AMDGPU.csdata,"",@progbits
; Kernel info:
; codeLenInByte = 7372
; TotalNumSgprs: 20
; NumVgprs: 50
; ScratchSize: 0
; MemoryBound: 1
; FloatMode: 240
; IeeeMode: 1
; LDSByteSize: 64 bytes/workgroup (compile time only)
; SGPRBlocks: 0
; VGPRBlocks: 6
; NumSGPRsForWavesPerEU: 20
; NumVGPRsForWavesPerEU: 50
; Occupancy: 16
; WaveLimiterHint : 1
; COMPUTE_PGM_RSRC2:SCRATCH_EN: 0
; COMPUTE_PGM_RSRC2:USER_SGPR: 6
; COMPUTE_PGM_RSRC2:TRAP_HANDLER: 0
; COMPUTE_PGM_RSRC2:TGID_X_EN: 1
; COMPUTE_PGM_RSRC2:TGID_Y_EN: 0
; COMPUTE_PGM_RSRC2:TGID_Z_EN: 0
; COMPUTE_PGM_RSRC2:TIDIG_COMP_CNT: 0
	.section	.text._ZN7rocprim17ROCPRIM_400000_NS6detail17trampoline_kernelINS0_14default_configENS1_32segmented_reduce_config_selectorIdEEZNS1_21segmented_reduce_implIS3_PKdPdPKidN6hipcub16HIPCUB_304000_NS6detail27convert_result_type_wrapperIS8_S9_N2at6native12_GLOBAL__N_110CustomProdEEEEE10hipError_tPvRmT0_T1_jT2_SQ_T4_T3_P12ihipStream_tbEUlT_E_NS1_11comp_targetILNS1_3genE0ELNS1_11target_archE4294967295ELNS1_3gpuE0ELNS1_3repE0EEENS1_30default_config_static_selectorELNS0_4arch9wavefront6targetE0EEEvSP_,"axG",@progbits,_ZN7rocprim17ROCPRIM_400000_NS6detail17trampoline_kernelINS0_14default_configENS1_32segmented_reduce_config_selectorIdEEZNS1_21segmented_reduce_implIS3_PKdPdPKidN6hipcub16HIPCUB_304000_NS6detail27convert_result_type_wrapperIS8_S9_N2at6native12_GLOBAL__N_110CustomProdEEEEE10hipError_tPvRmT0_T1_jT2_SQ_T4_T3_P12ihipStream_tbEUlT_E_NS1_11comp_targetILNS1_3genE0ELNS1_11target_archE4294967295ELNS1_3gpuE0ELNS1_3repE0EEENS1_30default_config_static_selectorELNS0_4arch9wavefront6targetE0EEEvSP_,comdat
	.globl	_ZN7rocprim17ROCPRIM_400000_NS6detail17trampoline_kernelINS0_14default_configENS1_32segmented_reduce_config_selectorIdEEZNS1_21segmented_reduce_implIS3_PKdPdPKidN6hipcub16HIPCUB_304000_NS6detail27convert_result_type_wrapperIS8_S9_N2at6native12_GLOBAL__N_110CustomProdEEEEE10hipError_tPvRmT0_T1_jT2_SQ_T4_T3_P12ihipStream_tbEUlT_E_NS1_11comp_targetILNS1_3genE0ELNS1_11target_archE4294967295ELNS1_3gpuE0ELNS1_3repE0EEENS1_30default_config_static_selectorELNS0_4arch9wavefront6targetE0EEEvSP_ ; -- Begin function _ZN7rocprim17ROCPRIM_400000_NS6detail17trampoline_kernelINS0_14default_configENS1_32segmented_reduce_config_selectorIdEEZNS1_21segmented_reduce_implIS3_PKdPdPKidN6hipcub16HIPCUB_304000_NS6detail27convert_result_type_wrapperIS8_S9_N2at6native12_GLOBAL__N_110CustomProdEEEEE10hipError_tPvRmT0_T1_jT2_SQ_T4_T3_P12ihipStream_tbEUlT_E_NS1_11comp_targetILNS1_3genE0ELNS1_11target_archE4294967295ELNS1_3gpuE0ELNS1_3repE0EEENS1_30default_config_static_selectorELNS0_4arch9wavefront6targetE0EEEvSP_
	.p2align	8
	.type	_ZN7rocprim17ROCPRIM_400000_NS6detail17trampoline_kernelINS0_14default_configENS1_32segmented_reduce_config_selectorIdEEZNS1_21segmented_reduce_implIS3_PKdPdPKidN6hipcub16HIPCUB_304000_NS6detail27convert_result_type_wrapperIS8_S9_N2at6native12_GLOBAL__N_110CustomProdEEEEE10hipError_tPvRmT0_T1_jT2_SQ_T4_T3_P12ihipStream_tbEUlT_E_NS1_11comp_targetILNS1_3genE0ELNS1_11target_archE4294967295ELNS1_3gpuE0ELNS1_3repE0EEENS1_30default_config_static_selectorELNS0_4arch9wavefront6targetE0EEEvSP_,@function
_ZN7rocprim17ROCPRIM_400000_NS6detail17trampoline_kernelINS0_14default_configENS1_32segmented_reduce_config_selectorIdEEZNS1_21segmented_reduce_implIS3_PKdPdPKidN6hipcub16HIPCUB_304000_NS6detail27convert_result_type_wrapperIS8_S9_N2at6native12_GLOBAL__N_110CustomProdEEEEE10hipError_tPvRmT0_T1_jT2_SQ_T4_T3_P12ihipStream_tbEUlT_E_NS1_11comp_targetILNS1_3genE0ELNS1_11target_archE4294967295ELNS1_3gpuE0ELNS1_3repE0EEENS1_30default_config_static_selectorELNS0_4arch9wavefront6targetE0EEEvSP_: ; @_ZN7rocprim17ROCPRIM_400000_NS6detail17trampoline_kernelINS0_14default_configENS1_32segmented_reduce_config_selectorIdEEZNS1_21segmented_reduce_implIS3_PKdPdPKidN6hipcub16HIPCUB_304000_NS6detail27convert_result_type_wrapperIS8_S9_N2at6native12_GLOBAL__N_110CustomProdEEEEE10hipError_tPvRmT0_T1_jT2_SQ_T4_T3_P12ihipStream_tbEUlT_E_NS1_11comp_targetILNS1_3genE0ELNS1_11target_archE4294967295ELNS1_3gpuE0ELNS1_3repE0EEENS1_30default_config_static_selectorELNS0_4arch9wavefront6targetE0EEEvSP_
; %bb.0:
	.section	.rodata,"a",@progbits
	.p2align	6, 0x0
	.amdhsa_kernel _ZN7rocprim17ROCPRIM_400000_NS6detail17trampoline_kernelINS0_14default_configENS1_32segmented_reduce_config_selectorIdEEZNS1_21segmented_reduce_implIS3_PKdPdPKidN6hipcub16HIPCUB_304000_NS6detail27convert_result_type_wrapperIS8_S9_N2at6native12_GLOBAL__N_110CustomProdEEEEE10hipError_tPvRmT0_T1_jT2_SQ_T4_T3_P12ihipStream_tbEUlT_E_NS1_11comp_targetILNS1_3genE0ELNS1_11target_archE4294967295ELNS1_3gpuE0ELNS1_3repE0EEENS1_30default_config_static_selectorELNS0_4arch9wavefront6targetE0EEEvSP_
		.amdhsa_group_segment_fixed_size 0
		.amdhsa_private_segment_fixed_size 0
		.amdhsa_kernarg_size 56
		.amdhsa_user_sgpr_count 6
		.amdhsa_user_sgpr_private_segment_buffer 1
		.amdhsa_user_sgpr_dispatch_ptr 0
		.amdhsa_user_sgpr_queue_ptr 0
		.amdhsa_user_sgpr_kernarg_segment_ptr 1
		.amdhsa_user_sgpr_dispatch_id 0
		.amdhsa_user_sgpr_flat_scratch_init 0
		.amdhsa_user_sgpr_private_segment_size 0
		.amdhsa_wavefront_size32 1
		.amdhsa_uses_dynamic_stack 0
		.amdhsa_system_sgpr_private_segment_wavefront_offset 0
		.amdhsa_system_sgpr_workgroup_id_x 1
		.amdhsa_system_sgpr_workgroup_id_y 0
		.amdhsa_system_sgpr_workgroup_id_z 0
		.amdhsa_system_sgpr_workgroup_info 0
		.amdhsa_system_vgpr_workitem_id 0
		.amdhsa_next_free_vgpr 1
		.amdhsa_next_free_sgpr 1
		.amdhsa_reserve_vcc 0
		.amdhsa_reserve_flat_scratch 0
		.amdhsa_float_round_mode_32 0
		.amdhsa_float_round_mode_16_64 0
		.amdhsa_float_denorm_mode_32 3
		.amdhsa_float_denorm_mode_16_64 3
		.amdhsa_dx10_clamp 1
		.amdhsa_ieee_mode 1
		.amdhsa_fp16_overflow 0
		.amdhsa_workgroup_processor_mode 1
		.amdhsa_memory_ordered 1
		.amdhsa_forward_progress 1
		.amdhsa_shared_vgpr_count 0
		.amdhsa_exception_fp_ieee_invalid_op 0
		.amdhsa_exception_fp_denorm_src 0
		.amdhsa_exception_fp_ieee_div_zero 0
		.amdhsa_exception_fp_ieee_overflow 0
		.amdhsa_exception_fp_ieee_underflow 0
		.amdhsa_exception_fp_ieee_inexact 0
		.amdhsa_exception_int_div_zero 0
	.end_amdhsa_kernel
	.section	.text._ZN7rocprim17ROCPRIM_400000_NS6detail17trampoline_kernelINS0_14default_configENS1_32segmented_reduce_config_selectorIdEEZNS1_21segmented_reduce_implIS3_PKdPdPKidN6hipcub16HIPCUB_304000_NS6detail27convert_result_type_wrapperIS8_S9_N2at6native12_GLOBAL__N_110CustomProdEEEEE10hipError_tPvRmT0_T1_jT2_SQ_T4_T3_P12ihipStream_tbEUlT_E_NS1_11comp_targetILNS1_3genE0ELNS1_11target_archE4294967295ELNS1_3gpuE0ELNS1_3repE0EEENS1_30default_config_static_selectorELNS0_4arch9wavefront6targetE0EEEvSP_,"axG",@progbits,_ZN7rocprim17ROCPRIM_400000_NS6detail17trampoline_kernelINS0_14default_configENS1_32segmented_reduce_config_selectorIdEEZNS1_21segmented_reduce_implIS3_PKdPdPKidN6hipcub16HIPCUB_304000_NS6detail27convert_result_type_wrapperIS8_S9_N2at6native12_GLOBAL__N_110CustomProdEEEEE10hipError_tPvRmT0_T1_jT2_SQ_T4_T3_P12ihipStream_tbEUlT_E_NS1_11comp_targetILNS1_3genE0ELNS1_11target_archE4294967295ELNS1_3gpuE0ELNS1_3repE0EEENS1_30default_config_static_selectorELNS0_4arch9wavefront6targetE0EEEvSP_,comdat
.Lfunc_end34:
	.size	_ZN7rocprim17ROCPRIM_400000_NS6detail17trampoline_kernelINS0_14default_configENS1_32segmented_reduce_config_selectorIdEEZNS1_21segmented_reduce_implIS3_PKdPdPKidN6hipcub16HIPCUB_304000_NS6detail27convert_result_type_wrapperIS8_S9_N2at6native12_GLOBAL__N_110CustomProdEEEEE10hipError_tPvRmT0_T1_jT2_SQ_T4_T3_P12ihipStream_tbEUlT_E_NS1_11comp_targetILNS1_3genE0ELNS1_11target_archE4294967295ELNS1_3gpuE0ELNS1_3repE0EEENS1_30default_config_static_selectorELNS0_4arch9wavefront6targetE0EEEvSP_, .Lfunc_end34-_ZN7rocprim17ROCPRIM_400000_NS6detail17trampoline_kernelINS0_14default_configENS1_32segmented_reduce_config_selectorIdEEZNS1_21segmented_reduce_implIS3_PKdPdPKidN6hipcub16HIPCUB_304000_NS6detail27convert_result_type_wrapperIS8_S9_N2at6native12_GLOBAL__N_110CustomProdEEEEE10hipError_tPvRmT0_T1_jT2_SQ_T4_T3_P12ihipStream_tbEUlT_E_NS1_11comp_targetILNS1_3genE0ELNS1_11target_archE4294967295ELNS1_3gpuE0ELNS1_3repE0EEENS1_30default_config_static_selectorELNS0_4arch9wavefront6targetE0EEEvSP_
                                        ; -- End function
	.set _ZN7rocprim17ROCPRIM_400000_NS6detail17trampoline_kernelINS0_14default_configENS1_32segmented_reduce_config_selectorIdEEZNS1_21segmented_reduce_implIS3_PKdPdPKidN6hipcub16HIPCUB_304000_NS6detail27convert_result_type_wrapperIS8_S9_N2at6native12_GLOBAL__N_110CustomProdEEEEE10hipError_tPvRmT0_T1_jT2_SQ_T4_T3_P12ihipStream_tbEUlT_E_NS1_11comp_targetILNS1_3genE0ELNS1_11target_archE4294967295ELNS1_3gpuE0ELNS1_3repE0EEENS1_30default_config_static_selectorELNS0_4arch9wavefront6targetE0EEEvSP_.num_vgpr, 0
	.set _ZN7rocprim17ROCPRIM_400000_NS6detail17trampoline_kernelINS0_14default_configENS1_32segmented_reduce_config_selectorIdEEZNS1_21segmented_reduce_implIS3_PKdPdPKidN6hipcub16HIPCUB_304000_NS6detail27convert_result_type_wrapperIS8_S9_N2at6native12_GLOBAL__N_110CustomProdEEEEE10hipError_tPvRmT0_T1_jT2_SQ_T4_T3_P12ihipStream_tbEUlT_E_NS1_11comp_targetILNS1_3genE0ELNS1_11target_archE4294967295ELNS1_3gpuE0ELNS1_3repE0EEENS1_30default_config_static_selectorELNS0_4arch9wavefront6targetE0EEEvSP_.num_agpr, 0
	.set _ZN7rocprim17ROCPRIM_400000_NS6detail17trampoline_kernelINS0_14default_configENS1_32segmented_reduce_config_selectorIdEEZNS1_21segmented_reduce_implIS3_PKdPdPKidN6hipcub16HIPCUB_304000_NS6detail27convert_result_type_wrapperIS8_S9_N2at6native12_GLOBAL__N_110CustomProdEEEEE10hipError_tPvRmT0_T1_jT2_SQ_T4_T3_P12ihipStream_tbEUlT_E_NS1_11comp_targetILNS1_3genE0ELNS1_11target_archE4294967295ELNS1_3gpuE0ELNS1_3repE0EEENS1_30default_config_static_selectorELNS0_4arch9wavefront6targetE0EEEvSP_.numbered_sgpr, 0
	.set _ZN7rocprim17ROCPRIM_400000_NS6detail17trampoline_kernelINS0_14default_configENS1_32segmented_reduce_config_selectorIdEEZNS1_21segmented_reduce_implIS3_PKdPdPKidN6hipcub16HIPCUB_304000_NS6detail27convert_result_type_wrapperIS8_S9_N2at6native12_GLOBAL__N_110CustomProdEEEEE10hipError_tPvRmT0_T1_jT2_SQ_T4_T3_P12ihipStream_tbEUlT_E_NS1_11comp_targetILNS1_3genE0ELNS1_11target_archE4294967295ELNS1_3gpuE0ELNS1_3repE0EEENS1_30default_config_static_selectorELNS0_4arch9wavefront6targetE0EEEvSP_.num_named_barrier, 0
	.set _ZN7rocprim17ROCPRIM_400000_NS6detail17trampoline_kernelINS0_14default_configENS1_32segmented_reduce_config_selectorIdEEZNS1_21segmented_reduce_implIS3_PKdPdPKidN6hipcub16HIPCUB_304000_NS6detail27convert_result_type_wrapperIS8_S9_N2at6native12_GLOBAL__N_110CustomProdEEEEE10hipError_tPvRmT0_T1_jT2_SQ_T4_T3_P12ihipStream_tbEUlT_E_NS1_11comp_targetILNS1_3genE0ELNS1_11target_archE4294967295ELNS1_3gpuE0ELNS1_3repE0EEENS1_30default_config_static_selectorELNS0_4arch9wavefront6targetE0EEEvSP_.private_seg_size, 0
	.set _ZN7rocprim17ROCPRIM_400000_NS6detail17trampoline_kernelINS0_14default_configENS1_32segmented_reduce_config_selectorIdEEZNS1_21segmented_reduce_implIS3_PKdPdPKidN6hipcub16HIPCUB_304000_NS6detail27convert_result_type_wrapperIS8_S9_N2at6native12_GLOBAL__N_110CustomProdEEEEE10hipError_tPvRmT0_T1_jT2_SQ_T4_T3_P12ihipStream_tbEUlT_E_NS1_11comp_targetILNS1_3genE0ELNS1_11target_archE4294967295ELNS1_3gpuE0ELNS1_3repE0EEENS1_30default_config_static_selectorELNS0_4arch9wavefront6targetE0EEEvSP_.uses_vcc, 0
	.set _ZN7rocprim17ROCPRIM_400000_NS6detail17trampoline_kernelINS0_14default_configENS1_32segmented_reduce_config_selectorIdEEZNS1_21segmented_reduce_implIS3_PKdPdPKidN6hipcub16HIPCUB_304000_NS6detail27convert_result_type_wrapperIS8_S9_N2at6native12_GLOBAL__N_110CustomProdEEEEE10hipError_tPvRmT0_T1_jT2_SQ_T4_T3_P12ihipStream_tbEUlT_E_NS1_11comp_targetILNS1_3genE0ELNS1_11target_archE4294967295ELNS1_3gpuE0ELNS1_3repE0EEENS1_30default_config_static_selectorELNS0_4arch9wavefront6targetE0EEEvSP_.uses_flat_scratch, 0
	.set _ZN7rocprim17ROCPRIM_400000_NS6detail17trampoline_kernelINS0_14default_configENS1_32segmented_reduce_config_selectorIdEEZNS1_21segmented_reduce_implIS3_PKdPdPKidN6hipcub16HIPCUB_304000_NS6detail27convert_result_type_wrapperIS8_S9_N2at6native12_GLOBAL__N_110CustomProdEEEEE10hipError_tPvRmT0_T1_jT2_SQ_T4_T3_P12ihipStream_tbEUlT_E_NS1_11comp_targetILNS1_3genE0ELNS1_11target_archE4294967295ELNS1_3gpuE0ELNS1_3repE0EEENS1_30default_config_static_selectorELNS0_4arch9wavefront6targetE0EEEvSP_.has_dyn_sized_stack, 0
	.set _ZN7rocprim17ROCPRIM_400000_NS6detail17trampoline_kernelINS0_14default_configENS1_32segmented_reduce_config_selectorIdEEZNS1_21segmented_reduce_implIS3_PKdPdPKidN6hipcub16HIPCUB_304000_NS6detail27convert_result_type_wrapperIS8_S9_N2at6native12_GLOBAL__N_110CustomProdEEEEE10hipError_tPvRmT0_T1_jT2_SQ_T4_T3_P12ihipStream_tbEUlT_E_NS1_11comp_targetILNS1_3genE0ELNS1_11target_archE4294967295ELNS1_3gpuE0ELNS1_3repE0EEENS1_30default_config_static_selectorELNS0_4arch9wavefront6targetE0EEEvSP_.has_recursion, 0
	.set _ZN7rocprim17ROCPRIM_400000_NS6detail17trampoline_kernelINS0_14default_configENS1_32segmented_reduce_config_selectorIdEEZNS1_21segmented_reduce_implIS3_PKdPdPKidN6hipcub16HIPCUB_304000_NS6detail27convert_result_type_wrapperIS8_S9_N2at6native12_GLOBAL__N_110CustomProdEEEEE10hipError_tPvRmT0_T1_jT2_SQ_T4_T3_P12ihipStream_tbEUlT_E_NS1_11comp_targetILNS1_3genE0ELNS1_11target_archE4294967295ELNS1_3gpuE0ELNS1_3repE0EEENS1_30default_config_static_selectorELNS0_4arch9wavefront6targetE0EEEvSP_.has_indirect_call, 0
	.section	.AMDGPU.csdata,"",@progbits
; Kernel info:
; codeLenInByte = 0
; TotalNumSgprs: 0
; NumVgprs: 0
; ScratchSize: 0
; MemoryBound: 0
; FloatMode: 240
; IeeeMode: 1
; LDSByteSize: 0 bytes/workgroup (compile time only)
; SGPRBlocks: 0
; VGPRBlocks: 0
; NumSGPRsForWavesPerEU: 1
; NumVGPRsForWavesPerEU: 1
; Occupancy: 16
; WaveLimiterHint : 0
; COMPUTE_PGM_RSRC2:SCRATCH_EN: 0
; COMPUTE_PGM_RSRC2:USER_SGPR: 6
; COMPUTE_PGM_RSRC2:TRAP_HANDLER: 0
; COMPUTE_PGM_RSRC2:TGID_X_EN: 1
; COMPUTE_PGM_RSRC2:TGID_Y_EN: 0
; COMPUTE_PGM_RSRC2:TGID_Z_EN: 0
; COMPUTE_PGM_RSRC2:TIDIG_COMP_CNT: 0
	.section	.text._ZN7rocprim17ROCPRIM_400000_NS6detail17trampoline_kernelINS0_14default_configENS1_32segmented_reduce_config_selectorIdEEZNS1_21segmented_reduce_implIS3_PKdPdPKidN6hipcub16HIPCUB_304000_NS6detail27convert_result_type_wrapperIS8_S9_N2at6native12_GLOBAL__N_110CustomProdEEEEE10hipError_tPvRmT0_T1_jT2_SQ_T4_T3_P12ihipStream_tbEUlT_E_NS1_11comp_targetILNS1_3genE5ELNS1_11target_archE942ELNS1_3gpuE9ELNS1_3repE0EEENS1_30default_config_static_selectorELNS0_4arch9wavefront6targetE0EEEvSP_,"axG",@progbits,_ZN7rocprim17ROCPRIM_400000_NS6detail17trampoline_kernelINS0_14default_configENS1_32segmented_reduce_config_selectorIdEEZNS1_21segmented_reduce_implIS3_PKdPdPKidN6hipcub16HIPCUB_304000_NS6detail27convert_result_type_wrapperIS8_S9_N2at6native12_GLOBAL__N_110CustomProdEEEEE10hipError_tPvRmT0_T1_jT2_SQ_T4_T3_P12ihipStream_tbEUlT_E_NS1_11comp_targetILNS1_3genE5ELNS1_11target_archE942ELNS1_3gpuE9ELNS1_3repE0EEENS1_30default_config_static_selectorELNS0_4arch9wavefront6targetE0EEEvSP_,comdat
	.globl	_ZN7rocprim17ROCPRIM_400000_NS6detail17trampoline_kernelINS0_14default_configENS1_32segmented_reduce_config_selectorIdEEZNS1_21segmented_reduce_implIS3_PKdPdPKidN6hipcub16HIPCUB_304000_NS6detail27convert_result_type_wrapperIS8_S9_N2at6native12_GLOBAL__N_110CustomProdEEEEE10hipError_tPvRmT0_T1_jT2_SQ_T4_T3_P12ihipStream_tbEUlT_E_NS1_11comp_targetILNS1_3genE5ELNS1_11target_archE942ELNS1_3gpuE9ELNS1_3repE0EEENS1_30default_config_static_selectorELNS0_4arch9wavefront6targetE0EEEvSP_ ; -- Begin function _ZN7rocprim17ROCPRIM_400000_NS6detail17trampoline_kernelINS0_14default_configENS1_32segmented_reduce_config_selectorIdEEZNS1_21segmented_reduce_implIS3_PKdPdPKidN6hipcub16HIPCUB_304000_NS6detail27convert_result_type_wrapperIS8_S9_N2at6native12_GLOBAL__N_110CustomProdEEEEE10hipError_tPvRmT0_T1_jT2_SQ_T4_T3_P12ihipStream_tbEUlT_E_NS1_11comp_targetILNS1_3genE5ELNS1_11target_archE942ELNS1_3gpuE9ELNS1_3repE0EEENS1_30default_config_static_selectorELNS0_4arch9wavefront6targetE0EEEvSP_
	.p2align	8
	.type	_ZN7rocprim17ROCPRIM_400000_NS6detail17trampoline_kernelINS0_14default_configENS1_32segmented_reduce_config_selectorIdEEZNS1_21segmented_reduce_implIS3_PKdPdPKidN6hipcub16HIPCUB_304000_NS6detail27convert_result_type_wrapperIS8_S9_N2at6native12_GLOBAL__N_110CustomProdEEEEE10hipError_tPvRmT0_T1_jT2_SQ_T4_T3_P12ihipStream_tbEUlT_E_NS1_11comp_targetILNS1_3genE5ELNS1_11target_archE942ELNS1_3gpuE9ELNS1_3repE0EEENS1_30default_config_static_selectorELNS0_4arch9wavefront6targetE0EEEvSP_,@function
_ZN7rocprim17ROCPRIM_400000_NS6detail17trampoline_kernelINS0_14default_configENS1_32segmented_reduce_config_selectorIdEEZNS1_21segmented_reduce_implIS3_PKdPdPKidN6hipcub16HIPCUB_304000_NS6detail27convert_result_type_wrapperIS8_S9_N2at6native12_GLOBAL__N_110CustomProdEEEEE10hipError_tPvRmT0_T1_jT2_SQ_T4_T3_P12ihipStream_tbEUlT_E_NS1_11comp_targetILNS1_3genE5ELNS1_11target_archE942ELNS1_3gpuE9ELNS1_3repE0EEENS1_30default_config_static_selectorELNS0_4arch9wavefront6targetE0EEEvSP_: ; @_ZN7rocprim17ROCPRIM_400000_NS6detail17trampoline_kernelINS0_14default_configENS1_32segmented_reduce_config_selectorIdEEZNS1_21segmented_reduce_implIS3_PKdPdPKidN6hipcub16HIPCUB_304000_NS6detail27convert_result_type_wrapperIS8_S9_N2at6native12_GLOBAL__N_110CustomProdEEEEE10hipError_tPvRmT0_T1_jT2_SQ_T4_T3_P12ihipStream_tbEUlT_E_NS1_11comp_targetILNS1_3genE5ELNS1_11target_archE942ELNS1_3gpuE9ELNS1_3repE0EEENS1_30default_config_static_selectorELNS0_4arch9wavefront6targetE0EEEvSP_
; %bb.0:
	.section	.rodata,"a",@progbits
	.p2align	6, 0x0
	.amdhsa_kernel _ZN7rocprim17ROCPRIM_400000_NS6detail17trampoline_kernelINS0_14default_configENS1_32segmented_reduce_config_selectorIdEEZNS1_21segmented_reduce_implIS3_PKdPdPKidN6hipcub16HIPCUB_304000_NS6detail27convert_result_type_wrapperIS8_S9_N2at6native12_GLOBAL__N_110CustomProdEEEEE10hipError_tPvRmT0_T1_jT2_SQ_T4_T3_P12ihipStream_tbEUlT_E_NS1_11comp_targetILNS1_3genE5ELNS1_11target_archE942ELNS1_3gpuE9ELNS1_3repE0EEENS1_30default_config_static_selectorELNS0_4arch9wavefront6targetE0EEEvSP_
		.amdhsa_group_segment_fixed_size 0
		.amdhsa_private_segment_fixed_size 0
		.amdhsa_kernarg_size 56
		.amdhsa_user_sgpr_count 6
		.amdhsa_user_sgpr_private_segment_buffer 1
		.amdhsa_user_sgpr_dispatch_ptr 0
		.amdhsa_user_sgpr_queue_ptr 0
		.amdhsa_user_sgpr_kernarg_segment_ptr 1
		.amdhsa_user_sgpr_dispatch_id 0
		.amdhsa_user_sgpr_flat_scratch_init 0
		.amdhsa_user_sgpr_private_segment_size 0
		.amdhsa_wavefront_size32 1
		.amdhsa_uses_dynamic_stack 0
		.amdhsa_system_sgpr_private_segment_wavefront_offset 0
		.amdhsa_system_sgpr_workgroup_id_x 1
		.amdhsa_system_sgpr_workgroup_id_y 0
		.amdhsa_system_sgpr_workgroup_id_z 0
		.amdhsa_system_sgpr_workgroup_info 0
		.amdhsa_system_vgpr_workitem_id 0
		.amdhsa_next_free_vgpr 1
		.amdhsa_next_free_sgpr 1
		.amdhsa_reserve_vcc 0
		.amdhsa_reserve_flat_scratch 0
		.amdhsa_float_round_mode_32 0
		.amdhsa_float_round_mode_16_64 0
		.amdhsa_float_denorm_mode_32 3
		.amdhsa_float_denorm_mode_16_64 3
		.amdhsa_dx10_clamp 1
		.amdhsa_ieee_mode 1
		.amdhsa_fp16_overflow 0
		.amdhsa_workgroup_processor_mode 1
		.amdhsa_memory_ordered 1
		.amdhsa_forward_progress 1
		.amdhsa_shared_vgpr_count 0
		.amdhsa_exception_fp_ieee_invalid_op 0
		.amdhsa_exception_fp_denorm_src 0
		.amdhsa_exception_fp_ieee_div_zero 0
		.amdhsa_exception_fp_ieee_overflow 0
		.amdhsa_exception_fp_ieee_underflow 0
		.amdhsa_exception_fp_ieee_inexact 0
		.amdhsa_exception_int_div_zero 0
	.end_amdhsa_kernel
	.section	.text._ZN7rocprim17ROCPRIM_400000_NS6detail17trampoline_kernelINS0_14default_configENS1_32segmented_reduce_config_selectorIdEEZNS1_21segmented_reduce_implIS3_PKdPdPKidN6hipcub16HIPCUB_304000_NS6detail27convert_result_type_wrapperIS8_S9_N2at6native12_GLOBAL__N_110CustomProdEEEEE10hipError_tPvRmT0_T1_jT2_SQ_T4_T3_P12ihipStream_tbEUlT_E_NS1_11comp_targetILNS1_3genE5ELNS1_11target_archE942ELNS1_3gpuE9ELNS1_3repE0EEENS1_30default_config_static_selectorELNS0_4arch9wavefront6targetE0EEEvSP_,"axG",@progbits,_ZN7rocprim17ROCPRIM_400000_NS6detail17trampoline_kernelINS0_14default_configENS1_32segmented_reduce_config_selectorIdEEZNS1_21segmented_reduce_implIS3_PKdPdPKidN6hipcub16HIPCUB_304000_NS6detail27convert_result_type_wrapperIS8_S9_N2at6native12_GLOBAL__N_110CustomProdEEEEE10hipError_tPvRmT0_T1_jT2_SQ_T4_T3_P12ihipStream_tbEUlT_E_NS1_11comp_targetILNS1_3genE5ELNS1_11target_archE942ELNS1_3gpuE9ELNS1_3repE0EEENS1_30default_config_static_selectorELNS0_4arch9wavefront6targetE0EEEvSP_,comdat
.Lfunc_end35:
	.size	_ZN7rocprim17ROCPRIM_400000_NS6detail17trampoline_kernelINS0_14default_configENS1_32segmented_reduce_config_selectorIdEEZNS1_21segmented_reduce_implIS3_PKdPdPKidN6hipcub16HIPCUB_304000_NS6detail27convert_result_type_wrapperIS8_S9_N2at6native12_GLOBAL__N_110CustomProdEEEEE10hipError_tPvRmT0_T1_jT2_SQ_T4_T3_P12ihipStream_tbEUlT_E_NS1_11comp_targetILNS1_3genE5ELNS1_11target_archE942ELNS1_3gpuE9ELNS1_3repE0EEENS1_30default_config_static_selectorELNS0_4arch9wavefront6targetE0EEEvSP_, .Lfunc_end35-_ZN7rocprim17ROCPRIM_400000_NS6detail17trampoline_kernelINS0_14default_configENS1_32segmented_reduce_config_selectorIdEEZNS1_21segmented_reduce_implIS3_PKdPdPKidN6hipcub16HIPCUB_304000_NS6detail27convert_result_type_wrapperIS8_S9_N2at6native12_GLOBAL__N_110CustomProdEEEEE10hipError_tPvRmT0_T1_jT2_SQ_T4_T3_P12ihipStream_tbEUlT_E_NS1_11comp_targetILNS1_3genE5ELNS1_11target_archE942ELNS1_3gpuE9ELNS1_3repE0EEENS1_30default_config_static_selectorELNS0_4arch9wavefront6targetE0EEEvSP_
                                        ; -- End function
	.set _ZN7rocprim17ROCPRIM_400000_NS6detail17trampoline_kernelINS0_14default_configENS1_32segmented_reduce_config_selectorIdEEZNS1_21segmented_reduce_implIS3_PKdPdPKidN6hipcub16HIPCUB_304000_NS6detail27convert_result_type_wrapperIS8_S9_N2at6native12_GLOBAL__N_110CustomProdEEEEE10hipError_tPvRmT0_T1_jT2_SQ_T4_T3_P12ihipStream_tbEUlT_E_NS1_11comp_targetILNS1_3genE5ELNS1_11target_archE942ELNS1_3gpuE9ELNS1_3repE0EEENS1_30default_config_static_selectorELNS0_4arch9wavefront6targetE0EEEvSP_.num_vgpr, 0
	.set _ZN7rocprim17ROCPRIM_400000_NS6detail17trampoline_kernelINS0_14default_configENS1_32segmented_reduce_config_selectorIdEEZNS1_21segmented_reduce_implIS3_PKdPdPKidN6hipcub16HIPCUB_304000_NS6detail27convert_result_type_wrapperIS8_S9_N2at6native12_GLOBAL__N_110CustomProdEEEEE10hipError_tPvRmT0_T1_jT2_SQ_T4_T3_P12ihipStream_tbEUlT_E_NS1_11comp_targetILNS1_3genE5ELNS1_11target_archE942ELNS1_3gpuE9ELNS1_3repE0EEENS1_30default_config_static_selectorELNS0_4arch9wavefront6targetE0EEEvSP_.num_agpr, 0
	.set _ZN7rocprim17ROCPRIM_400000_NS6detail17trampoline_kernelINS0_14default_configENS1_32segmented_reduce_config_selectorIdEEZNS1_21segmented_reduce_implIS3_PKdPdPKidN6hipcub16HIPCUB_304000_NS6detail27convert_result_type_wrapperIS8_S9_N2at6native12_GLOBAL__N_110CustomProdEEEEE10hipError_tPvRmT0_T1_jT2_SQ_T4_T3_P12ihipStream_tbEUlT_E_NS1_11comp_targetILNS1_3genE5ELNS1_11target_archE942ELNS1_3gpuE9ELNS1_3repE0EEENS1_30default_config_static_selectorELNS0_4arch9wavefront6targetE0EEEvSP_.numbered_sgpr, 0
	.set _ZN7rocprim17ROCPRIM_400000_NS6detail17trampoline_kernelINS0_14default_configENS1_32segmented_reduce_config_selectorIdEEZNS1_21segmented_reduce_implIS3_PKdPdPKidN6hipcub16HIPCUB_304000_NS6detail27convert_result_type_wrapperIS8_S9_N2at6native12_GLOBAL__N_110CustomProdEEEEE10hipError_tPvRmT0_T1_jT2_SQ_T4_T3_P12ihipStream_tbEUlT_E_NS1_11comp_targetILNS1_3genE5ELNS1_11target_archE942ELNS1_3gpuE9ELNS1_3repE0EEENS1_30default_config_static_selectorELNS0_4arch9wavefront6targetE0EEEvSP_.num_named_barrier, 0
	.set _ZN7rocprim17ROCPRIM_400000_NS6detail17trampoline_kernelINS0_14default_configENS1_32segmented_reduce_config_selectorIdEEZNS1_21segmented_reduce_implIS3_PKdPdPKidN6hipcub16HIPCUB_304000_NS6detail27convert_result_type_wrapperIS8_S9_N2at6native12_GLOBAL__N_110CustomProdEEEEE10hipError_tPvRmT0_T1_jT2_SQ_T4_T3_P12ihipStream_tbEUlT_E_NS1_11comp_targetILNS1_3genE5ELNS1_11target_archE942ELNS1_3gpuE9ELNS1_3repE0EEENS1_30default_config_static_selectorELNS0_4arch9wavefront6targetE0EEEvSP_.private_seg_size, 0
	.set _ZN7rocprim17ROCPRIM_400000_NS6detail17trampoline_kernelINS0_14default_configENS1_32segmented_reduce_config_selectorIdEEZNS1_21segmented_reduce_implIS3_PKdPdPKidN6hipcub16HIPCUB_304000_NS6detail27convert_result_type_wrapperIS8_S9_N2at6native12_GLOBAL__N_110CustomProdEEEEE10hipError_tPvRmT0_T1_jT2_SQ_T4_T3_P12ihipStream_tbEUlT_E_NS1_11comp_targetILNS1_3genE5ELNS1_11target_archE942ELNS1_3gpuE9ELNS1_3repE0EEENS1_30default_config_static_selectorELNS0_4arch9wavefront6targetE0EEEvSP_.uses_vcc, 0
	.set _ZN7rocprim17ROCPRIM_400000_NS6detail17trampoline_kernelINS0_14default_configENS1_32segmented_reduce_config_selectorIdEEZNS1_21segmented_reduce_implIS3_PKdPdPKidN6hipcub16HIPCUB_304000_NS6detail27convert_result_type_wrapperIS8_S9_N2at6native12_GLOBAL__N_110CustomProdEEEEE10hipError_tPvRmT0_T1_jT2_SQ_T4_T3_P12ihipStream_tbEUlT_E_NS1_11comp_targetILNS1_3genE5ELNS1_11target_archE942ELNS1_3gpuE9ELNS1_3repE0EEENS1_30default_config_static_selectorELNS0_4arch9wavefront6targetE0EEEvSP_.uses_flat_scratch, 0
	.set _ZN7rocprim17ROCPRIM_400000_NS6detail17trampoline_kernelINS0_14default_configENS1_32segmented_reduce_config_selectorIdEEZNS1_21segmented_reduce_implIS3_PKdPdPKidN6hipcub16HIPCUB_304000_NS6detail27convert_result_type_wrapperIS8_S9_N2at6native12_GLOBAL__N_110CustomProdEEEEE10hipError_tPvRmT0_T1_jT2_SQ_T4_T3_P12ihipStream_tbEUlT_E_NS1_11comp_targetILNS1_3genE5ELNS1_11target_archE942ELNS1_3gpuE9ELNS1_3repE0EEENS1_30default_config_static_selectorELNS0_4arch9wavefront6targetE0EEEvSP_.has_dyn_sized_stack, 0
	.set _ZN7rocprim17ROCPRIM_400000_NS6detail17trampoline_kernelINS0_14default_configENS1_32segmented_reduce_config_selectorIdEEZNS1_21segmented_reduce_implIS3_PKdPdPKidN6hipcub16HIPCUB_304000_NS6detail27convert_result_type_wrapperIS8_S9_N2at6native12_GLOBAL__N_110CustomProdEEEEE10hipError_tPvRmT0_T1_jT2_SQ_T4_T3_P12ihipStream_tbEUlT_E_NS1_11comp_targetILNS1_3genE5ELNS1_11target_archE942ELNS1_3gpuE9ELNS1_3repE0EEENS1_30default_config_static_selectorELNS0_4arch9wavefront6targetE0EEEvSP_.has_recursion, 0
	.set _ZN7rocprim17ROCPRIM_400000_NS6detail17trampoline_kernelINS0_14default_configENS1_32segmented_reduce_config_selectorIdEEZNS1_21segmented_reduce_implIS3_PKdPdPKidN6hipcub16HIPCUB_304000_NS6detail27convert_result_type_wrapperIS8_S9_N2at6native12_GLOBAL__N_110CustomProdEEEEE10hipError_tPvRmT0_T1_jT2_SQ_T4_T3_P12ihipStream_tbEUlT_E_NS1_11comp_targetILNS1_3genE5ELNS1_11target_archE942ELNS1_3gpuE9ELNS1_3repE0EEENS1_30default_config_static_selectorELNS0_4arch9wavefront6targetE0EEEvSP_.has_indirect_call, 0
	.section	.AMDGPU.csdata,"",@progbits
; Kernel info:
; codeLenInByte = 0
; TotalNumSgprs: 0
; NumVgprs: 0
; ScratchSize: 0
; MemoryBound: 0
; FloatMode: 240
; IeeeMode: 1
; LDSByteSize: 0 bytes/workgroup (compile time only)
; SGPRBlocks: 0
; VGPRBlocks: 0
; NumSGPRsForWavesPerEU: 1
; NumVGPRsForWavesPerEU: 1
; Occupancy: 16
; WaveLimiterHint : 0
; COMPUTE_PGM_RSRC2:SCRATCH_EN: 0
; COMPUTE_PGM_RSRC2:USER_SGPR: 6
; COMPUTE_PGM_RSRC2:TRAP_HANDLER: 0
; COMPUTE_PGM_RSRC2:TGID_X_EN: 1
; COMPUTE_PGM_RSRC2:TGID_Y_EN: 0
; COMPUTE_PGM_RSRC2:TGID_Z_EN: 0
; COMPUTE_PGM_RSRC2:TIDIG_COMP_CNT: 0
	.section	.text._ZN7rocprim17ROCPRIM_400000_NS6detail17trampoline_kernelINS0_14default_configENS1_32segmented_reduce_config_selectorIdEEZNS1_21segmented_reduce_implIS3_PKdPdPKidN6hipcub16HIPCUB_304000_NS6detail27convert_result_type_wrapperIS8_S9_N2at6native12_GLOBAL__N_110CustomProdEEEEE10hipError_tPvRmT0_T1_jT2_SQ_T4_T3_P12ihipStream_tbEUlT_E_NS1_11comp_targetILNS1_3genE10ELNS1_11target_archE1201ELNS1_3gpuE5ELNS1_3repE0EEENS1_30default_config_static_selectorELNS0_4arch9wavefront6targetE0EEEvSP_,"axG",@progbits,_ZN7rocprim17ROCPRIM_400000_NS6detail17trampoline_kernelINS0_14default_configENS1_32segmented_reduce_config_selectorIdEEZNS1_21segmented_reduce_implIS3_PKdPdPKidN6hipcub16HIPCUB_304000_NS6detail27convert_result_type_wrapperIS8_S9_N2at6native12_GLOBAL__N_110CustomProdEEEEE10hipError_tPvRmT0_T1_jT2_SQ_T4_T3_P12ihipStream_tbEUlT_E_NS1_11comp_targetILNS1_3genE10ELNS1_11target_archE1201ELNS1_3gpuE5ELNS1_3repE0EEENS1_30default_config_static_selectorELNS0_4arch9wavefront6targetE0EEEvSP_,comdat
	.globl	_ZN7rocprim17ROCPRIM_400000_NS6detail17trampoline_kernelINS0_14default_configENS1_32segmented_reduce_config_selectorIdEEZNS1_21segmented_reduce_implIS3_PKdPdPKidN6hipcub16HIPCUB_304000_NS6detail27convert_result_type_wrapperIS8_S9_N2at6native12_GLOBAL__N_110CustomProdEEEEE10hipError_tPvRmT0_T1_jT2_SQ_T4_T3_P12ihipStream_tbEUlT_E_NS1_11comp_targetILNS1_3genE10ELNS1_11target_archE1201ELNS1_3gpuE5ELNS1_3repE0EEENS1_30default_config_static_selectorELNS0_4arch9wavefront6targetE0EEEvSP_ ; -- Begin function _ZN7rocprim17ROCPRIM_400000_NS6detail17trampoline_kernelINS0_14default_configENS1_32segmented_reduce_config_selectorIdEEZNS1_21segmented_reduce_implIS3_PKdPdPKidN6hipcub16HIPCUB_304000_NS6detail27convert_result_type_wrapperIS8_S9_N2at6native12_GLOBAL__N_110CustomProdEEEEE10hipError_tPvRmT0_T1_jT2_SQ_T4_T3_P12ihipStream_tbEUlT_E_NS1_11comp_targetILNS1_3genE10ELNS1_11target_archE1201ELNS1_3gpuE5ELNS1_3repE0EEENS1_30default_config_static_selectorELNS0_4arch9wavefront6targetE0EEEvSP_
	.p2align	8
	.type	_ZN7rocprim17ROCPRIM_400000_NS6detail17trampoline_kernelINS0_14default_configENS1_32segmented_reduce_config_selectorIdEEZNS1_21segmented_reduce_implIS3_PKdPdPKidN6hipcub16HIPCUB_304000_NS6detail27convert_result_type_wrapperIS8_S9_N2at6native12_GLOBAL__N_110CustomProdEEEEE10hipError_tPvRmT0_T1_jT2_SQ_T4_T3_P12ihipStream_tbEUlT_E_NS1_11comp_targetILNS1_3genE10ELNS1_11target_archE1201ELNS1_3gpuE5ELNS1_3repE0EEENS1_30default_config_static_selectorELNS0_4arch9wavefront6targetE0EEEvSP_,@function
_ZN7rocprim17ROCPRIM_400000_NS6detail17trampoline_kernelINS0_14default_configENS1_32segmented_reduce_config_selectorIdEEZNS1_21segmented_reduce_implIS3_PKdPdPKidN6hipcub16HIPCUB_304000_NS6detail27convert_result_type_wrapperIS8_S9_N2at6native12_GLOBAL__N_110CustomProdEEEEE10hipError_tPvRmT0_T1_jT2_SQ_T4_T3_P12ihipStream_tbEUlT_E_NS1_11comp_targetILNS1_3genE10ELNS1_11target_archE1201ELNS1_3gpuE5ELNS1_3repE0EEENS1_30default_config_static_selectorELNS0_4arch9wavefront6targetE0EEEvSP_: ; @_ZN7rocprim17ROCPRIM_400000_NS6detail17trampoline_kernelINS0_14default_configENS1_32segmented_reduce_config_selectorIdEEZNS1_21segmented_reduce_implIS3_PKdPdPKidN6hipcub16HIPCUB_304000_NS6detail27convert_result_type_wrapperIS8_S9_N2at6native12_GLOBAL__N_110CustomProdEEEEE10hipError_tPvRmT0_T1_jT2_SQ_T4_T3_P12ihipStream_tbEUlT_E_NS1_11comp_targetILNS1_3genE10ELNS1_11target_archE1201ELNS1_3gpuE5ELNS1_3repE0EEENS1_30default_config_static_selectorELNS0_4arch9wavefront6targetE0EEEvSP_
; %bb.0:
	.section	.rodata,"a",@progbits
	.p2align	6, 0x0
	.amdhsa_kernel _ZN7rocprim17ROCPRIM_400000_NS6detail17trampoline_kernelINS0_14default_configENS1_32segmented_reduce_config_selectorIdEEZNS1_21segmented_reduce_implIS3_PKdPdPKidN6hipcub16HIPCUB_304000_NS6detail27convert_result_type_wrapperIS8_S9_N2at6native12_GLOBAL__N_110CustomProdEEEEE10hipError_tPvRmT0_T1_jT2_SQ_T4_T3_P12ihipStream_tbEUlT_E_NS1_11comp_targetILNS1_3genE10ELNS1_11target_archE1201ELNS1_3gpuE5ELNS1_3repE0EEENS1_30default_config_static_selectorELNS0_4arch9wavefront6targetE0EEEvSP_
		.amdhsa_group_segment_fixed_size 0
		.amdhsa_private_segment_fixed_size 0
		.amdhsa_kernarg_size 56
		.amdhsa_user_sgpr_count 6
		.amdhsa_user_sgpr_private_segment_buffer 1
		.amdhsa_user_sgpr_dispatch_ptr 0
		.amdhsa_user_sgpr_queue_ptr 0
		.amdhsa_user_sgpr_kernarg_segment_ptr 1
		.amdhsa_user_sgpr_dispatch_id 0
		.amdhsa_user_sgpr_flat_scratch_init 0
		.amdhsa_user_sgpr_private_segment_size 0
		.amdhsa_wavefront_size32 1
		.amdhsa_uses_dynamic_stack 0
		.amdhsa_system_sgpr_private_segment_wavefront_offset 0
		.amdhsa_system_sgpr_workgroup_id_x 1
		.amdhsa_system_sgpr_workgroup_id_y 0
		.amdhsa_system_sgpr_workgroup_id_z 0
		.amdhsa_system_sgpr_workgroup_info 0
		.amdhsa_system_vgpr_workitem_id 0
		.amdhsa_next_free_vgpr 1
		.amdhsa_next_free_sgpr 1
		.amdhsa_reserve_vcc 0
		.amdhsa_reserve_flat_scratch 0
		.amdhsa_float_round_mode_32 0
		.amdhsa_float_round_mode_16_64 0
		.amdhsa_float_denorm_mode_32 3
		.amdhsa_float_denorm_mode_16_64 3
		.amdhsa_dx10_clamp 1
		.amdhsa_ieee_mode 1
		.amdhsa_fp16_overflow 0
		.amdhsa_workgroup_processor_mode 1
		.amdhsa_memory_ordered 1
		.amdhsa_forward_progress 1
		.amdhsa_shared_vgpr_count 0
		.amdhsa_exception_fp_ieee_invalid_op 0
		.amdhsa_exception_fp_denorm_src 0
		.amdhsa_exception_fp_ieee_div_zero 0
		.amdhsa_exception_fp_ieee_overflow 0
		.amdhsa_exception_fp_ieee_underflow 0
		.amdhsa_exception_fp_ieee_inexact 0
		.amdhsa_exception_int_div_zero 0
	.end_amdhsa_kernel
	.section	.text._ZN7rocprim17ROCPRIM_400000_NS6detail17trampoline_kernelINS0_14default_configENS1_32segmented_reduce_config_selectorIdEEZNS1_21segmented_reduce_implIS3_PKdPdPKidN6hipcub16HIPCUB_304000_NS6detail27convert_result_type_wrapperIS8_S9_N2at6native12_GLOBAL__N_110CustomProdEEEEE10hipError_tPvRmT0_T1_jT2_SQ_T4_T3_P12ihipStream_tbEUlT_E_NS1_11comp_targetILNS1_3genE10ELNS1_11target_archE1201ELNS1_3gpuE5ELNS1_3repE0EEENS1_30default_config_static_selectorELNS0_4arch9wavefront6targetE0EEEvSP_,"axG",@progbits,_ZN7rocprim17ROCPRIM_400000_NS6detail17trampoline_kernelINS0_14default_configENS1_32segmented_reduce_config_selectorIdEEZNS1_21segmented_reduce_implIS3_PKdPdPKidN6hipcub16HIPCUB_304000_NS6detail27convert_result_type_wrapperIS8_S9_N2at6native12_GLOBAL__N_110CustomProdEEEEE10hipError_tPvRmT0_T1_jT2_SQ_T4_T3_P12ihipStream_tbEUlT_E_NS1_11comp_targetILNS1_3genE10ELNS1_11target_archE1201ELNS1_3gpuE5ELNS1_3repE0EEENS1_30default_config_static_selectorELNS0_4arch9wavefront6targetE0EEEvSP_,comdat
.Lfunc_end36:
	.size	_ZN7rocprim17ROCPRIM_400000_NS6detail17trampoline_kernelINS0_14default_configENS1_32segmented_reduce_config_selectorIdEEZNS1_21segmented_reduce_implIS3_PKdPdPKidN6hipcub16HIPCUB_304000_NS6detail27convert_result_type_wrapperIS8_S9_N2at6native12_GLOBAL__N_110CustomProdEEEEE10hipError_tPvRmT0_T1_jT2_SQ_T4_T3_P12ihipStream_tbEUlT_E_NS1_11comp_targetILNS1_3genE10ELNS1_11target_archE1201ELNS1_3gpuE5ELNS1_3repE0EEENS1_30default_config_static_selectorELNS0_4arch9wavefront6targetE0EEEvSP_, .Lfunc_end36-_ZN7rocprim17ROCPRIM_400000_NS6detail17trampoline_kernelINS0_14default_configENS1_32segmented_reduce_config_selectorIdEEZNS1_21segmented_reduce_implIS3_PKdPdPKidN6hipcub16HIPCUB_304000_NS6detail27convert_result_type_wrapperIS8_S9_N2at6native12_GLOBAL__N_110CustomProdEEEEE10hipError_tPvRmT0_T1_jT2_SQ_T4_T3_P12ihipStream_tbEUlT_E_NS1_11comp_targetILNS1_3genE10ELNS1_11target_archE1201ELNS1_3gpuE5ELNS1_3repE0EEENS1_30default_config_static_selectorELNS0_4arch9wavefront6targetE0EEEvSP_
                                        ; -- End function
	.set _ZN7rocprim17ROCPRIM_400000_NS6detail17trampoline_kernelINS0_14default_configENS1_32segmented_reduce_config_selectorIdEEZNS1_21segmented_reduce_implIS3_PKdPdPKidN6hipcub16HIPCUB_304000_NS6detail27convert_result_type_wrapperIS8_S9_N2at6native12_GLOBAL__N_110CustomProdEEEEE10hipError_tPvRmT0_T1_jT2_SQ_T4_T3_P12ihipStream_tbEUlT_E_NS1_11comp_targetILNS1_3genE10ELNS1_11target_archE1201ELNS1_3gpuE5ELNS1_3repE0EEENS1_30default_config_static_selectorELNS0_4arch9wavefront6targetE0EEEvSP_.num_vgpr, 0
	.set _ZN7rocprim17ROCPRIM_400000_NS6detail17trampoline_kernelINS0_14default_configENS1_32segmented_reduce_config_selectorIdEEZNS1_21segmented_reduce_implIS3_PKdPdPKidN6hipcub16HIPCUB_304000_NS6detail27convert_result_type_wrapperIS8_S9_N2at6native12_GLOBAL__N_110CustomProdEEEEE10hipError_tPvRmT0_T1_jT2_SQ_T4_T3_P12ihipStream_tbEUlT_E_NS1_11comp_targetILNS1_3genE10ELNS1_11target_archE1201ELNS1_3gpuE5ELNS1_3repE0EEENS1_30default_config_static_selectorELNS0_4arch9wavefront6targetE0EEEvSP_.num_agpr, 0
	.set _ZN7rocprim17ROCPRIM_400000_NS6detail17trampoline_kernelINS0_14default_configENS1_32segmented_reduce_config_selectorIdEEZNS1_21segmented_reduce_implIS3_PKdPdPKidN6hipcub16HIPCUB_304000_NS6detail27convert_result_type_wrapperIS8_S9_N2at6native12_GLOBAL__N_110CustomProdEEEEE10hipError_tPvRmT0_T1_jT2_SQ_T4_T3_P12ihipStream_tbEUlT_E_NS1_11comp_targetILNS1_3genE10ELNS1_11target_archE1201ELNS1_3gpuE5ELNS1_3repE0EEENS1_30default_config_static_selectorELNS0_4arch9wavefront6targetE0EEEvSP_.numbered_sgpr, 0
	.set _ZN7rocprim17ROCPRIM_400000_NS6detail17trampoline_kernelINS0_14default_configENS1_32segmented_reduce_config_selectorIdEEZNS1_21segmented_reduce_implIS3_PKdPdPKidN6hipcub16HIPCUB_304000_NS6detail27convert_result_type_wrapperIS8_S9_N2at6native12_GLOBAL__N_110CustomProdEEEEE10hipError_tPvRmT0_T1_jT2_SQ_T4_T3_P12ihipStream_tbEUlT_E_NS1_11comp_targetILNS1_3genE10ELNS1_11target_archE1201ELNS1_3gpuE5ELNS1_3repE0EEENS1_30default_config_static_selectorELNS0_4arch9wavefront6targetE0EEEvSP_.num_named_barrier, 0
	.set _ZN7rocprim17ROCPRIM_400000_NS6detail17trampoline_kernelINS0_14default_configENS1_32segmented_reduce_config_selectorIdEEZNS1_21segmented_reduce_implIS3_PKdPdPKidN6hipcub16HIPCUB_304000_NS6detail27convert_result_type_wrapperIS8_S9_N2at6native12_GLOBAL__N_110CustomProdEEEEE10hipError_tPvRmT0_T1_jT2_SQ_T4_T3_P12ihipStream_tbEUlT_E_NS1_11comp_targetILNS1_3genE10ELNS1_11target_archE1201ELNS1_3gpuE5ELNS1_3repE0EEENS1_30default_config_static_selectorELNS0_4arch9wavefront6targetE0EEEvSP_.private_seg_size, 0
	.set _ZN7rocprim17ROCPRIM_400000_NS6detail17trampoline_kernelINS0_14default_configENS1_32segmented_reduce_config_selectorIdEEZNS1_21segmented_reduce_implIS3_PKdPdPKidN6hipcub16HIPCUB_304000_NS6detail27convert_result_type_wrapperIS8_S9_N2at6native12_GLOBAL__N_110CustomProdEEEEE10hipError_tPvRmT0_T1_jT2_SQ_T4_T3_P12ihipStream_tbEUlT_E_NS1_11comp_targetILNS1_3genE10ELNS1_11target_archE1201ELNS1_3gpuE5ELNS1_3repE0EEENS1_30default_config_static_selectorELNS0_4arch9wavefront6targetE0EEEvSP_.uses_vcc, 0
	.set _ZN7rocprim17ROCPRIM_400000_NS6detail17trampoline_kernelINS0_14default_configENS1_32segmented_reduce_config_selectorIdEEZNS1_21segmented_reduce_implIS3_PKdPdPKidN6hipcub16HIPCUB_304000_NS6detail27convert_result_type_wrapperIS8_S9_N2at6native12_GLOBAL__N_110CustomProdEEEEE10hipError_tPvRmT0_T1_jT2_SQ_T4_T3_P12ihipStream_tbEUlT_E_NS1_11comp_targetILNS1_3genE10ELNS1_11target_archE1201ELNS1_3gpuE5ELNS1_3repE0EEENS1_30default_config_static_selectorELNS0_4arch9wavefront6targetE0EEEvSP_.uses_flat_scratch, 0
	.set _ZN7rocprim17ROCPRIM_400000_NS6detail17trampoline_kernelINS0_14default_configENS1_32segmented_reduce_config_selectorIdEEZNS1_21segmented_reduce_implIS3_PKdPdPKidN6hipcub16HIPCUB_304000_NS6detail27convert_result_type_wrapperIS8_S9_N2at6native12_GLOBAL__N_110CustomProdEEEEE10hipError_tPvRmT0_T1_jT2_SQ_T4_T3_P12ihipStream_tbEUlT_E_NS1_11comp_targetILNS1_3genE10ELNS1_11target_archE1201ELNS1_3gpuE5ELNS1_3repE0EEENS1_30default_config_static_selectorELNS0_4arch9wavefront6targetE0EEEvSP_.has_dyn_sized_stack, 0
	.set _ZN7rocprim17ROCPRIM_400000_NS6detail17trampoline_kernelINS0_14default_configENS1_32segmented_reduce_config_selectorIdEEZNS1_21segmented_reduce_implIS3_PKdPdPKidN6hipcub16HIPCUB_304000_NS6detail27convert_result_type_wrapperIS8_S9_N2at6native12_GLOBAL__N_110CustomProdEEEEE10hipError_tPvRmT0_T1_jT2_SQ_T4_T3_P12ihipStream_tbEUlT_E_NS1_11comp_targetILNS1_3genE10ELNS1_11target_archE1201ELNS1_3gpuE5ELNS1_3repE0EEENS1_30default_config_static_selectorELNS0_4arch9wavefront6targetE0EEEvSP_.has_recursion, 0
	.set _ZN7rocprim17ROCPRIM_400000_NS6detail17trampoline_kernelINS0_14default_configENS1_32segmented_reduce_config_selectorIdEEZNS1_21segmented_reduce_implIS3_PKdPdPKidN6hipcub16HIPCUB_304000_NS6detail27convert_result_type_wrapperIS8_S9_N2at6native12_GLOBAL__N_110CustomProdEEEEE10hipError_tPvRmT0_T1_jT2_SQ_T4_T3_P12ihipStream_tbEUlT_E_NS1_11comp_targetILNS1_3genE10ELNS1_11target_archE1201ELNS1_3gpuE5ELNS1_3repE0EEENS1_30default_config_static_selectorELNS0_4arch9wavefront6targetE0EEEvSP_.has_indirect_call, 0
	.section	.AMDGPU.csdata,"",@progbits
; Kernel info:
; codeLenInByte = 0
; TotalNumSgprs: 0
; NumVgprs: 0
; ScratchSize: 0
; MemoryBound: 0
; FloatMode: 240
; IeeeMode: 1
; LDSByteSize: 0 bytes/workgroup (compile time only)
; SGPRBlocks: 0
; VGPRBlocks: 0
; NumSGPRsForWavesPerEU: 1
; NumVGPRsForWavesPerEU: 1
; Occupancy: 16
; WaveLimiterHint : 0
; COMPUTE_PGM_RSRC2:SCRATCH_EN: 0
; COMPUTE_PGM_RSRC2:USER_SGPR: 6
; COMPUTE_PGM_RSRC2:TRAP_HANDLER: 0
; COMPUTE_PGM_RSRC2:TGID_X_EN: 1
; COMPUTE_PGM_RSRC2:TGID_Y_EN: 0
; COMPUTE_PGM_RSRC2:TGID_Z_EN: 0
; COMPUTE_PGM_RSRC2:TIDIG_COMP_CNT: 0
	.section	.text._ZN7rocprim17ROCPRIM_400000_NS6detail17trampoline_kernelINS0_14default_configENS1_32segmented_reduce_config_selectorIdEEZNS1_21segmented_reduce_implIS3_PKdPdPKidN6hipcub16HIPCUB_304000_NS6detail27convert_result_type_wrapperIS8_S9_N2at6native12_GLOBAL__N_110CustomProdEEEEE10hipError_tPvRmT0_T1_jT2_SQ_T4_T3_P12ihipStream_tbEUlT_E_NS1_11comp_targetILNS1_3genE4ELNS1_11target_archE910ELNS1_3gpuE8ELNS1_3repE0EEENS1_30default_config_static_selectorELNS0_4arch9wavefront6targetE0EEEvSP_,"axG",@progbits,_ZN7rocprim17ROCPRIM_400000_NS6detail17trampoline_kernelINS0_14default_configENS1_32segmented_reduce_config_selectorIdEEZNS1_21segmented_reduce_implIS3_PKdPdPKidN6hipcub16HIPCUB_304000_NS6detail27convert_result_type_wrapperIS8_S9_N2at6native12_GLOBAL__N_110CustomProdEEEEE10hipError_tPvRmT0_T1_jT2_SQ_T4_T3_P12ihipStream_tbEUlT_E_NS1_11comp_targetILNS1_3genE4ELNS1_11target_archE910ELNS1_3gpuE8ELNS1_3repE0EEENS1_30default_config_static_selectorELNS0_4arch9wavefront6targetE0EEEvSP_,comdat
	.globl	_ZN7rocprim17ROCPRIM_400000_NS6detail17trampoline_kernelINS0_14default_configENS1_32segmented_reduce_config_selectorIdEEZNS1_21segmented_reduce_implIS3_PKdPdPKidN6hipcub16HIPCUB_304000_NS6detail27convert_result_type_wrapperIS8_S9_N2at6native12_GLOBAL__N_110CustomProdEEEEE10hipError_tPvRmT0_T1_jT2_SQ_T4_T3_P12ihipStream_tbEUlT_E_NS1_11comp_targetILNS1_3genE4ELNS1_11target_archE910ELNS1_3gpuE8ELNS1_3repE0EEENS1_30default_config_static_selectorELNS0_4arch9wavefront6targetE0EEEvSP_ ; -- Begin function _ZN7rocprim17ROCPRIM_400000_NS6detail17trampoline_kernelINS0_14default_configENS1_32segmented_reduce_config_selectorIdEEZNS1_21segmented_reduce_implIS3_PKdPdPKidN6hipcub16HIPCUB_304000_NS6detail27convert_result_type_wrapperIS8_S9_N2at6native12_GLOBAL__N_110CustomProdEEEEE10hipError_tPvRmT0_T1_jT2_SQ_T4_T3_P12ihipStream_tbEUlT_E_NS1_11comp_targetILNS1_3genE4ELNS1_11target_archE910ELNS1_3gpuE8ELNS1_3repE0EEENS1_30default_config_static_selectorELNS0_4arch9wavefront6targetE0EEEvSP_
	.p2align	8
	.type	_ZN7rocprim17ROCPRIM_400000_NS6detail17trampoline_kernelINS0_14default_configENS1_32segmented_reduce_config_selectorIdEEZNS1_21segmented_reduce_implIS3_PKdPdPKidN6hipcub16HIPCUB_304000_NS6detail27convert_result_type_wrapperIS8_S9_N2at6native12_GLOBAL__N_110CustomProdEEEEE10hipError_tPvRmT0_T1_jT2_SQ_T4_T3_P12ihipStream_tbEUlT_E_NS1_11comp_targetILNS1_3genE4ELNS1_11target_archE910ELNS1_3gpuE8ELNS1_3repE0EEENS1_30default_config_static_selectorELNS0_4arch9wavefront6targetE0EEEvSP_,@function
_ZN7rocprim17ROCPRIM_400000_NS6detail17trampoline_kernelINS0_14default_configENS1_32segmented_reduce_config_selectorIdEEZNS1_21segmented_reduce_implIS3_PKdPdPKidN6hipcub16HIPCUB_304000_NS6detail27convert_result_type_wrapperIS8_S9_N2at6native12_GLOBAL__N_110CustomProdEEEEE10hipError_tPvRmT0_T1_jT2_SQ_T4_T3_P12ihipStream_tbEUlT_E_NS1_11comp_targetILNS1_3genE4ELNS1_11target_archE910ELNS1_3gpuE8ELNS1_3repE0EEENS1_30default_config_static_selectorELNS0_4arch9wavefront6targetE0EEEvSP_: ; @_ZN7rocprim17ROCPRIM_400000_NS6detail17trampoline_kernelINS0_14default_configENS1_32segmented_reduce_config_selectorIdEEZNS1_21segmented_reduce_implIS3_PKdPdPKidN6hipcub16HIPCUB_304000_NS6detail27convert_result_type_wrapperIS8_S9_N2at6native12_GLOBAL__N_110CustomProdEEEEE10hipError_tPvRmT0_T1_jT2_SQ_T4_T3_P12ihipStream_tbEUlT_E_NS1_11comp_targetILNS1_3genE4ELNS1_11target_archE910ELNS1_3gpuE8ELNS1_3repE0EEENS1_30default_config_static_selectorELNS0_4arch9wavefront6targetE0EEEvSP_
; %bb.0:
	.section	.rodata,"a",@progbits
	.p2align	6, 0x0
	.amdhsa_kernel _ZN7rocprim17ROCPRIM_400000_NS6detail17trampoline_kernelINS0_14default_configENS1_32segmented_reduce_config_selectorIdEEZNS1_21segmented_reduce_implIS3_PKdPdPKidN6hipcub16HIPCUB_304000_NS6detail27convert_result_type_wrapperIS8_S9_N2at6native12_GLOBAL__N_110CustomProdEEEEE10hipError_tPvRmT0_T1_jT2_SQ_T4_T3_P12ihipStream_tbEUlT_E_NS1_11comp_targetILNS1_3genE4ELNS1_11target_archE910ELNS1_3gpuE8ELNS1_3repE0EEENS1_30default_config_static_selectorELNS0_4arch9wavefront6targetE0EEEvSP_
		.amdhsa_group_segment_fixed_size 0
		.amdhsa_private_segment_fixed_size 0
		.amdhsa_kernarg_size 56
		.amdhsa_user_sgpr_count 6
		.amdhsa_user_sgpr_private_segment_buffer 1
		.amdhsa_user_sgpr_dispatch_ptr 0
		.amdhsa_user_sgpr_queue_ptr 0
		.amdhsa_user_sgpr_kernarg_segment_ptr 1
		.amdhsa_user_sgpr_dispatch_id 0
		.amdhsa_user_sgpr_flat_scratch_init 0
		.amdhsa_user_sgpr_private_segment_size 0
		.amdhsa_wavefront_size32 1
		.amdhsa_uses_dynamic_stack 0
		.amdhsa_system_sgpr_private_segment_wavefront_offset 0
		.amdhsa_system_sgpr_workgroup_id_x 1
		.amdhsa_system_sgpr_workgroup_id_y 0
		.amdhsa_system_sgpr_workgroup_id_z 0
		.amdhsa_system_sgpr_workgroup_info 0
		.amdhsa_system_vgpr_workitem_id 0
		.amdhsa_next_free_vgpr 1
		.amdhsa_next_free_sgpr 1
		.amdhsa_reserve_vcc 0
		.amdhsa_reserve_flat_scratch 0
		.amdhsa_float_round_mode_32 0
		.amdhsa_float_round_mode_16_64 0
		.amdhsa_float_denorm_mode_32 3
		.amdhsa_float_denorm_mode_16_64 3
		.amdhsa_dx10_clamp 1
		.amdhsa_ieee_mode 1
		.amdhsa_fp16_overflow 0
		.amdhsa_workgroup_processor_mode 1
		.amdhsa_memory_ordered 1
		.amdhsa_forward_progress 1
		.amdhsa_shared_vgpr_count 0
		.amdhsa_exception_fp_ieee_invalid_op 0
		.amdhsa_exception_fp_denorm_src 0
		.amdhsa_exception_fp_ieee_div_zero 0
		.amdhsa_exception_fp_ieee_overflow 0
		.amdhsa_exception_fp_ieee_underflow 0
		.amdhsa_exception_fp_ieee_inexact 0
		.amdhsa_exception_int_div_zero 0
	.end_amdhsa_kernel
	.section	.text._ZN7rocprim17ROCPRIM_400000_NS6detail17trampoline_kernelINS0_14default_configENS1_32segmented_reduce_config_selectorIdEEZNS1_21segmented_reduce_implIS3_PKdPdPKidN6hipcub16HIPCUB_304000_NS6detail27convert_result_type_wrapperIS8_S9_N2at6native12_GLOBAL__N_110CustomProdEEEEE10hipError_tPvRmT0_T1_jT2_SQ_T4_T3_P12ihipStream_tbEUlT_E_NS1_11comp_targetILNS1_3genE4ELNS1_11target_archE910ELNS1_3gpuE8ELNS1_3repE0EEENS1_30default_config_static_selectorELNS0_4arch9wavefront6targetE0EEEvSP_,"axG",@progbits,_ZN7rocprim17ROCPRIM_400000_NS6detail17trampoline_kernelINS0_14default_configENS1_32segmented_reduce_config_selectorIdEEZNS1_21segmented_reduce_implIS3_PKdPdPKidN6hipcub16HIPCUB_304000_NS6detail27convert_result_type_wrapperIS8_S9_N2at6native12_GLOBAL__N_110CustomProdEEEEE10hipError_tPvRmT0_T1_jT2_SQ_T4_T3_P12ihipStream_tbEUlT_E_NS1_11comp_targetILNS1_3genE4ELNS1_11target_archE910ELNS1_3gpuE8ELNS1_3repE0EEENS1_30default_config_static_selectorELNS0_4arch9wavefront6targetE0EEEvSP_,comdat
.Lfunc_end37:
	.size	_ZN7rocprim17ROCPRIM_400000_NS6detail17trampoline_kernelINS0_14default_configENS1_32segmented_reduce_config_selectorIdEEZNS1_21segmented_reduce_implIS3_PKdPdPKidN6hipcub16HIPCUB_304000_NS6detail27convert_result_type_wrapperIS8_S9_N2at6native12_GLOBAL__N_110CustomProdEEEEE10hipError_tPvRmT0_T1_jT2_SQ_T4_T3_P12ihipStream_tbEUlT_E_NS1_11comp_targetILNS1_3genE4ELNS1_11target_archE910ELNS1_3gpuE8ELNS1_3repE0EEENS1_30default_config_static_selectorELNS0_4arch9wavefront6targetE0EEEvSP_, .Lfunc_end37-_ZN7rocprim17ROCPRIM_400000_NS6detail17trampoline_kernelINS0_14default_configENS1_32segmented_reduce_config_selectorIdEEZNS1_21segmented_reduce_implIS3_PKdPdPKidN6hipcub16HIPCUB_304000_NS6detail27convert_result_type_wrapperIS8_S9_N2at6native12_GLOBAL__N_110CustomProdEEEEE10hipError_tPvRmT0_T1_jT2_SQ_T4_T3_P12ihipStream_tbEUlT_E_NS1_11comp_targetILNS1_3genE4ELNS1_11target_archE910ELNS1_3gpuE8ELNS1_3repE0EEENS1_30default_config_static_selectorELNS0_4arch9wavefront6targetE0EEEvSP_
                                        ; -- End function
	.set _ZN7rocprim17ROCPRIM_400000_NS6detail17trampoline_kernelINS0_14default_configENS1_32segmented_reduce_config_selectorIdEEZNS1_21segmented_reduce_implIS3_PKdPdPKidN6hipcub16HIPCUB_304000_NS6detail27convert_result_type_wrapperIS8_S9_N2at6native12_GLOBAL__N_110CustomProdEEEEE10hipError_tPvRmT0_T1_jT2_SQ_T4_T3_P12ihipStream_tbEUlT_E_NS1_11comp_targetILNS1_3genE4ELNS1_11target_archE910ELNS1_3gpuE8ELNS1_3repE0EEENS1_30default_config_static_selectorELNS0_4arch9wavefront6targetE0EEEvSP_.num_vgpr, 0
	.set _ZN7rocprim17ROCPRIM_400000_NS6detail17trampoline_kernelINS0_14default_configENS1_32segmented_reduce_config_selectorIdEEZNS1_21segmented_reduce_implIS3_PKdPdPKidN6hipcub16HIPCUB_304000_NS6detail27convert_result_type_wrapperIS8_S9_N2at6native12_GLOBAL__N_110CustomProdEEEEE10hipError_tPvRmT0_T1_jT2_SQ_T4_T3_P12ihipStream_tbEUlT_E_NS1_11comp_targetILNS1_3genE4ELNS1_11target_archE910ELNS1_3gpuE8ELNS1_3repE0EEENS1_30default_config_static_selectorELNS0_4arch9wavefront6targetE0EEEvSP_.num_agpr, 0
	.set _ZN7rocprim17ROCPRIM_400000_NS6detail17trampoline_kernelINS0_14default_configENS1_32segmented_reduce_config_selectorIdEEZNS1_21segmented_reduce_implIS3_PKdPdPKidN6hipcub16HIPCUB_304000_NS6detail27convert_result_type_wrapperIS8_S9_N2at6native12_GLOBAL__N_110CustomProdEEEEE10hipError_tPvRmT0_T1_jT2_SQ_T4_T3_P12ihipStream_tbEUlT_E_NS1_11comp_targetILNS1_3genE4ELNS1_11target_archE910ELNS1_3gpuE8ELNS1_3repE0EEENS1_30default_config_static_selectorELNS0_4arch9wavefront6targetE0EEEvSP_.numbered_sgpr, 0
	.set _ZN7rocprim17ROCPRIM_400000_NS6detail17trampoline_kernelINS0_14default_configENS1_32segmented_reduce_config_selectorIdEEZNS1_21segmented_reduce_implIS3_PKdPdPKidN6hipcub16HIPCUB_304000_NS6detail27convert_result_type_wrapperIS8_S9_N2at6native12_GLOBAL__N_110CustomProdEEEEE10hipError_tPvRmT0_T1_jT2_SQ_T4_T3_P12ihipStream_tbEUlT_E_NS1_11comp_targetILNS1_3genE4ELNS1_11target_archE910ELNS1_3gpuE8ELNS1_3repE0EEENS1_30default_config_static_selectorELNS0_4arch9wavefront6targetE0EEEvSP_.num_named_barrier, 0
	.set _ZN7rocprim17ROCPRIM_400000_NS6detail17trampoline_kernelINS0_14default_configENS1_32segmented_reduce_config_selectorIdEEZNS1_21segmented_reduce_implIS3_PKdPdPKidN6hipcub16HIPCUB_304000_NS6detail27convert_result_type_wrapperIS8_S9_N2at6native12_GLOBAL__N_110CustomProdEEEEE10hipError_tPvRmT0_T1_jT2_SQ_T4_T3_P12ihipStream_tbEUlT_E_NS1_11comp_targetILNS1_3genE4ELNS1_11target_archE910ELNS1_3gpuE8ELNS1_3repE0EEENS1_30default_config_static_selectorELNS0_4arch9wavefront6targetE0EEEvSP_.private_seg_size, 0
	.set _ZN7rocprim17ROCPRIM_400000_NS6detail17trampoline_kernelINS0_14default_configENS1_32segmented_reduce_config_selectorIdEEZNS1_21segmented_reduce_implIS3_PKdPdPKidN6hipcub16HIPCUB_304000_NS6detail27convert_result_type_wrapperIS8_S9_N2at6native12_GLOBAL__N_110CustomProdEEEEE10hipError_tPvRmT0_T1_jT2_SQ_T4_T3_P12ihipStream_tbEUlT_E_NS1_11comp_targetILNS1_3genE4ELNS1_11target_archE910ELNS1_3gpuE8ELNS1_3repE0EEENS1_30default_config_static_selectorELNS0_4arch9wavefront6targetE0EEEvSP_.uses_vcc, 0
	.set _ZN7rocprim17ROCPRIM_400000_NS6detail17trampoline_kernelINS0_14default_configENS1_32segmented_reduce_config_selectorIdEEZNS1_21segmented_reduce_implIS3_PKdPdPKidN6hipcub16HIPCUB_304000_NS6detail27convert_result_type_wrapperIS8_S9_N2at6native12_GLOBAL__N_110CustomProdEEEEE10hipError_tPvRmT0_T1_jT2_SQ_T4_T3_P12ihipStream_tbEUlT_E_NS1_11comp_targetILNS1_3genE4ELNS1_11target_archE910ELNS1_3gpuE8ELNS1_3repE0EEENS1_30default_config_static_selectorELNS0_4arch9wavefront6targetE0EEEvSP_.uses_flat_scratch, 0
	.set _ZN7rocprim17ROCPRIM_400000_NS6detail17trampoline_kernelINS0_14default_configENS1_32segmented_reduce_config_selectorIdEEZNS1_21segmented_reduce_implIS3_PKdPdPKidN6hipcub16HIPCUB_304000_NS6detail27convert_result_type_wrapperIS8_S9_N2at6native12_GLOBAL__N_110CustomProdEEEEE10hipError_tPvRmT0_T1_jT2_SQ_T4_T3_P12ihipStream_tbEUlT_E_NS1_11comp_targetILNS1_3genE4ELNS1_11target_archE910ELNS1_3gpuE8ELNS1_3repE0EEENS1_30default_config_static_selectorELNS0_4arch9wavefront6targetE0EEEvSP_.has_dyn_sized_stack, 0
	.set _ZN7rocprim17ROCPRIM_400000_NS6detail17trampoline_kernelINS0_14default_configENS1_32segmented_reduce_config_selectorIdEEZNS1_21segmented_reduce_implIS3_PKdPdPKidN6hipcub16HIPCUB_304000_NS6detail27convert_result_type_wrapperIS8_S9_N2at6native12_GLOBAL__N_110CustomProdEEEEE10hipError_tPvRmT0_T1_jT2_SQ_T4_T3_P12ihipStream_tbEUlT_E_NS1_11comp_targetILNS1_3genE4ELNS1_11target_archE910ELNS1_3gpuE8ELNS1_3repE0EEENS1_30default_config_static_selectorELNS0_4arch9wavefront6targetE0EEEvSP_.has_recursion, 0
	.set _ZN7rocprim17ROCPRIM_400000_NS6detail17trampoline_kernelINS0_14default_configENS1_32segmented_reduce_config_selectorIdEEZNS1_21segmented_reduce_implIS3_PKdPdPKidN6hipcub16HIPCUB_304000_NS6detail27convert_result_type_wrapperIS8_S9_N2at6native12_GLOBAL__N_110CustomProdEEEEE10hipError_tPvRmT0_T1_jT2_SQ_T4_T3_P12ihipStream_tbEUlT_E_NS1_11comp_targetILNS1_3genE4ELNS1_11target_archE910ELNS1_3gpuE8ELNS1_3repE0EEENS1_30default_config_static_selectorELNS0_4arch9wavefront6targetE0EEEvSP_.has_indirect_call, 0
	.section	.AMDGPU.csdata,"",@progbits
; Kernel info:
; codeLenInByte = 0
; TotalNumSgprs: 0
; NumVgprs: 0
; ScratchSize: 0
; MemoryBound: 0
; FloatMode: 240
; IeeeMode: 1
; LDSByteSize: 0 bytes/workgroup (compile time only)
; SGPRBlocks: 0
; VGPRBlocks: 0
; NumSGPRsForWavesPerEU: 1
; NumVGPRsForWavesPerEU: 1
; Occupancy: 16
; WaveLimiterHint : 0
; COMPUTE_PGM_RSRC2:SCRATCH_EN: 0
; COMPUTE_PGM_RSRC2:USER_SGPR: 6
; COMPUTE_PGM_RSRC2:TRAP_HANDLER: 0
; COMPUTE_PGM_RSRC2:TGID_X_EN: 1
; COMPUTE_PGM_RSRC2:TGID_Y_EN: 0
; COMPUTE_PGM_RSRC2:TGID_Z_EN: 0
; COMPUTE_PGM_RSRC2:TIDIG_COMP_CNT: 0
	.section	.text._ZN7rocprim17ROCPRIM_400000_NS6detail17trampoline_kernelINS0_14default_configENS1_32segmented_reduce_config_selectorIdEEZNS1_21segmented_reduce_implIS3_PKdPdPKidN6hipcub16HIPCUB_304000_NS6detail27convert_result_type_wrapperIS8_S9_N2at6native12_GLOBAL__N_110CustomProdEEEEE10hipError_tPvRmT0_T1_jT2_SQ_T4_T3_P12ihipStream_tbEUlT_E_NS1_11comp_targetILNS1_3genE3ELNS1_11target_archE908ELNS1_3gpuE7ELNS1_3repE0EEENS1_30default_config_static_selectorELNS0_4arch9wavefront6targetE0EEEvSP_,"axG",@progbits,_ZN7rocprim17ROCPRIM_400000_NS6detail17trampoline_kernelINS0_14default_configENS1_32segmented_reduce_config_selectorIdEEZNS1_21segmented_reduce_implIS3_PKdPdPKidN6hipcub16HIPCUB_304000_NS6detail27convert_result_type_wrapperIS8_S9_N2at6native12_GLOBAL__N_110CustomProdEEEEE10hipError_tPvRmT0_T1_jT2_SQ_T4_T3_P12ihipStream_tbEUlT_E_NS1_11comp_targetILNS1_3genE3ELNS1_11target_archE908ELNS1_3gpuE7ELNS1_3repE0EEENS1_30default_config_static_selectorELNS0_4arch9wavefront6targetE0EEEvSP_,comdat
	.globl	_ZN7rocprim17ROCPRIM_400000_NS6detail17trampoline_kernelINS0_14default_configENS1_32segmented_reduce_config_selectorIdEEZNS1_21segmented_reduce_implIS3_PKdPdPKidN6hipcub16HIPCUB_304000_NS6detail27convert_result_type_wrapperIS8_S9_N2at6native12_GLOBAL__N_110CustomProdEEEEE10hipError_tPvRmT0_T1_jT2_SQ_T4_T3_P12ihipStream_tbEUlT_E_NS1_11comp_targetILNS1_3genE3ELNS1_11target_archE908ELNS1_3gpuE7ELNS1_3repE0EEENS1_30default_config_static_selectorELNS0_4arch9wavefront6targetE0EEEvSP_ ; -- Begin function _ZN7rocprim17ROCPRIM_400000_NS6detail17trampoline_kernelINS0_14default_configENS1_32segmented_reduce_config_selectorIdEEZNS1_21segmented_reduce_implIS3_PKdPdPKidN6hipcub16HIPCUB_304000_NS6detail27convert_result_type_wrapperIS8_S9_N2at6native12_GLOBAL__N_110CustomProdEEEEE10hipError_tPvRmT0_T1_jT2_SQ_T4_T3_P12ihipStream_tbEUlT_E_NS1_11comp_targetILNS1_3genE3ELNS1_11target_archE908ELNS1_3gpuE7ELNS1_3repE0EEENS1_30default_config_static_selectorELNS0_4arch9wavefront6targetE0EEEvSP_
	.p2align	8
	.type	_ZN7rocprim17ROCPRIM_400000_NS6detail17trampoline_kernelINS0_14default_configENS1_32segmented_reduce_config_selectorIdEEZNS1_21segmented_reduce_implIS3_PKdPdPKidN6hipcub16HIPCUB_304000_NS6detail27convert_result_type_wrapperIS8_S9_N2at6native12_GLOBAL__N_110CustomProdEEEEE10hipError_tPvRmT0_T1_jT2_SQ_T4_T3_P12ihipStream_tbEUlT_E_NS1_11comp_targetILNS1_3genE3ELNS1_11target_archE908ELNS1_3gpuE7ELNS1_3repE0EEENS1_30default_config_static_selectorELNS0_4arch9wavefront6targetE0EEEvSP_,@function
_ZN7rocprim17ROCPRIM_400000_NS6detail17trampoline_kernelINS0_14default_configENS1_32segmented_reduce_config_selectorIdEEZNS1_21segmented_reduce_implIS3_PKdPdPKidN6hipcub16HIPCUB_304000_NS6detail27convert_result_type_wrapperIS8_S9_N2at6native12_GLOBAL__N_110CustomProdEEEEE10hipError_tPvRmT0_T1_jT2_SQ_T4_T3_P12ihipStream_tbEUlT_E_NS1_11comp_targetILNS1_3genE3ELNS1_11target_archE908ELNS1_3gpuE7ELNS1_3repE0EEENS1_30default_config_static_selectorELNS0_4arch9wavefront6targetE0EEEvSP_: ; @_ZN7rocprim17ROCPRIM_400000_NS6detail17trampoline_kernelINS0_14default_configENS1_32segmented_reduce_config_selectorIdEEZNS1_21segmented_reduce_implIS3_PKdPdPKidN6hipcub16HIPCUB_304000_NS6detail27convert_result_type_wrapperIS8_S9_N2at6native12_GLOBAL__N_110CustomProdEEEEE10hipError_tPvRmT0_T1_jT2_SQ_T4_T3_P12ihipStream_tbEUlT_E_NS1_11comp_targetILNS1_3genE3ELNS1_11target_archE908ELNS1_3gpuE7ELNS1_3repE0EEENS1_30default_config_static_selectorELNS0_4arch9wavefront6targetE0EEEvSP_
; %bb.0:
	.section	.rodata,"a",@progbits
	.p2align	6, 0x0
	.amdhsa_kernel _ZN7rocprim17ROCPRIM_400000_NS6detail17trampoline_kernelINS0_14default_configENS1_32segmented_reduce_config_selectorIdEEZNS1_21segmented_reduce_implIS3_PKdPdPKidN6hipcub16HIPCUB_304000_NS6detail27convert_result_type_wrapperIS8_S9_N2at6native12_GLOBAL__N_110CustomProdEEEEE10hipError_tPvRmT0_T1_jT2_SQ_T4_T3_P12ihipStream_tbEUlT_E_NS1_11comp_targetILNS1_3genE3ELNS1_11target_archE908ELNS1_3gpuE7ELNS1_3repE0EEENS1_30default_config_static_selectorELNS0_4arch9wavefront6targetE0EEEvSP_
		.amdhsa_group_segment_fixed_size 0
		.amdhsa_private_segment_fixed_size 0
		.amdhsa_kernarg_size 56
		.amdhsa_user_sgpr_count 6
		.amdhsa_user_sgpr_private_segment_buffer 1
		.amdhsa_user_sgpr_dispatch_ptr 0
		.amdhsa_user_sgpr_queue_ptr 0
		.amdhsa_user_sgpr_kernarg_segment_ptr 1
		.amdhsa_user_sgpr_dispatch_id 0
		.amdhsa_user_sgpr_flat_scratch_init 0
		.amdhsa_user_sgpr_private_segment_size 0
		.amdhsa_wavefront_size32 1
		.amdhsa_uses_dynamic_stack 0
		.amdhsa_system_sgpr_private_segment_wavefront_offset 0
		.amdhsa_system_sgpr_workgroup_id_x 1
		.amdhsa_system_sgpr_workgroup_id_y 0
		.amdhsa_system_sgpr_workgroup_id_z 0
		.amdhsa_system_sgpr_workgroup_info 0
		.amdhsa_system_vgpr_workitem_id 0
		.amdhsa_next_free_vgpr 1
		.amdhsa_next_free_sgpr 1
		.amdhsa_reserve_vcc 0
		.amdhsa_reserve_flat_scratch 0
		.amdhsa_float_round_mode_32 0
		.amdhsa_float_round_mode_16_64 0
		.amdhsa_float_denorm_mode_32 3
		.amdhsa_float_denorm_mode_16_64 3
		.amdhsa_dx10_clamp 1
		.amdhsa_ieee_mode 1
		.amdhsa_fp16_overflow 0
		.amdhsa_workgroup_processor_mode 1
		.amdhsa_memory_ordered 1
		.amdhsa_forward_progress 1
		.amdhsa_shared_vgpr_count 0
		.amdhsa_exception_fp_ieee_invalid_op 0
		.amdhsa_exception_fp_denorm_src 0
		.amdhsa_exception_fp_ieee_div_zero 0
		.amdhsa_exception_fp_ieee_overflow 0
		.amdhsa_exception_fp_ieee_underflow 0
		.amdhsa_exception_fp_ieee_inexact 0
		.amdhsa_exception_int_div_zero 0
	.end_amdhsa_kernel
	.section	.text._ZN7rocprim17ROCPRIM_400000_NS6detail17trampoline_kernelINS0_14default_configENS1_32segmented_reduce_config_selectorIdEEZNS1_21segmented_reduce_implIS3_PKdPdPKidN6hipcub16HIPCUB_304000_NS6detail27convert_result_type_wrapperIS8_S9_N2at6native12_GLOBAL__N_110CustomProdEEEEE10hipError_tPvRmT0_T1_jT2_SQ_T4_T3_P12ihipStream_tbEUlT_E_NS1_11comp_targetILNS1_3genE3ELNS1_11target_archE908ELNS1_3gpuE7ELNS1_3repE0EEENS1_30default_config_static_selectorELNS0_4arch9wavefront6targetE0EEEvSP_,"axG",@progbits,_ZN7rocprim17ROCPRIM_400000_NS6detail17trampoline_kernelINS0_14default_configENS1_32segmented_reduce_config_selectorIdEEZNS1_21segmented_reduce_implIS3_PKdPdPKidN6hipcub16HIPCUB_304000_NS6detail27convert_result_type_wrapperIS8_S9_N2at6native12_GLOBAL__N_110CustomProdEEEEE10hipError_tPvRmT0_T1_jT2_SQ_T4_T3_P12ihipStream_tbEUlT_E_NS1_11comp_targetILNS1_3genE3ELNS1_11target_archE908ELNS1_3gpuE7ELNS1_3repE0EEENS1_30default_config_static_selectorELNS0_4arch9wavefront6targetE0EEEvSP_,comdat
.Lfunc_end38:
	.size	_ZN7rocprim17ROCPRIM_400000_NS6detail17trampoline_kernelINS0_14default_configENS1_32segmented_reduce_config_selectorIdEEZNS1_21segmented_reduce_implIS3_PKdPdPKidN6hipcub16HIPCUB_304000_NS6detail27convert_result_type_wrapperIS8_S9_N2at6native12_GLOBAL__N_110CustomProdEEEEE10hipError_tPvRmT0_T1_jT2_SQ_T4_T3_P12ihipStream_tbEUlT_E_NS1_11comp_targetILNS1_3genE3ELNS1_11target_archE908ELNS1_3gpuE7ELNS1_3repE0EEENS1_30default_config_static_selectorELNS0_4arch9wavefront6targetE0EEEvSP_, .Lfunc_end38-_ZN7rocprim17ROCPRIM_400000_NS6detail17trampoline_kernelINS0_14default_configENS1_32segmented_reduce_config_selectorIdEEZNS1_21segmented_reduce_implIS3_PKdPdPKidN6hipcub16HIPCUB_304000_NS6detail27convert_result_type_wrapperIS8_S9_N2at6native12_GLOBAL__N_110CustomProdEEEEE10hipError_tPvRmT0_T1_jT2_SQ_T4_T3_P12ihipStream_tbEUlT_E_NS1_11comp_targetILNS1_3genE3ELNS1_11target_archE908ELNS1_3gpuE7ELNS1_3repE0EEENS1_30default_config_static_selectorELNS0_4arch9wavefront6targetE0EEEvSP_
                                        ; -- End function
	.set _ZN7rocprim17ROCPRIM_400000_NS6detail17trampoline_kernelINS0_14default_configENS1_32segmented_reduce_config_selectorIdEEZNS1_21segmented_reduce_implIS3_PKdPdPKidN6hipcub16HIPCUB_304000_NS6detail27convert_result_type_wrapperIS8_S9_N2at6native12_GLOBAL__N_110CustomProdEEEEE10hipError_tPvRmT0_T1_jT2_SQ_T4_T3_P12ihipStream_tbEUlT_E_NS1_11comp_targetILNS1_3genE3ELNS1_11target_archE908ELNS1_3gpuE7ELNS1_3repE0EEENS1_30default_config_static_selectorELNS0_4arch9wavefront6targetE0EEEvSP_.num_vgpr, 0
	.set _ZN7rocprim17ROCPRIM_400000_NS6detail17trampoline_kernelINS0_14default_configENS1_32segmented_reduce_config_selectorIdEEZNS1_21segmented_reduce_implIS3_PKdPdPKidN6hipcub16HIPCUB_304000_NS6detail27convert_result_type_wrapperIS8_S9_N2at6native12_GLOBAL__N_110CustomProdEEEEE10hipError_tPvRmT0_T1_jT2_SQ_T4_T3_P12ihipStream_tbEUlT_E_NS1_11comp_targetILNS1_3genE3ELNS1_11target_archE908ELNS1_3gpuE7ELNS1_3repE0EEENS1_30default_config_static_selectorELNS0_4arch9wavefront6targetE0EEEvSP_.num_agpr, 0
	.set _ZN7rocprim17ROCPRIM_400000_NS6detail17trampoline_kernelINS0_14default_configENS1_32segmented_reduce_config_selectorIdEEZNS1_21segmented_reduce_implIS3_PKdPdPKidN6hipcub16HIPCUB_304000_NS6detail27convert_result_type_wrapperIS8_S9_N2at6native12_GLOBAL__N_110CustomProdEEEEE10hipError_tPvRmT0_T1_jT2_SQ_T4_T3_P12ihipStream_tbEUlT_E_NS1_11comp_targetILNS1_3genE3ELNS1_11target_archE908ELNS1_3gpuE7ELNS1_3repE0EEENS1_30default_config_static_selectorELNS0_4arch9wavefront6targetE0EEEvSP_.numbered_sgpr, 0
	.set _ZN7rocprim17ROCPRIM_400000_NS6detail17trampoline_kernelINS0_14default_configENS1_32segmented_reduce_config_selectorIdEEZNS1_21segmented_reduce_implIS3_PKdPdPKidN6hipcub16HIPCUB_304000_NS6detail27convert_result_type_wrapperIS8_S9_N2at6native12_GLOBAL__N_110CustomProdEEEEE10hipError_tPvRmT0_T1_jT2_SQ_T4_T3_P12ihipStream_tbEUlT_E_NS1_11comp_targetILNS1_3genE3ELNS1_11target_archE908ELNS1_3gpuE7ELNS1_3repE0EEENS1_30default_config_static_selectorELNS0_4arch9wavefront6targetE0EEEvSP_.num_named_barrier, 0
	.set _ZN7rocprim17ROCPRIM_400000_NS6detail17trampoline_kernelINS0_14default_configENS1_32segmented_reduce_config_selectorIdEEZNS1_21segmented_reduce_implIS3_PKdPdPKidN6hipcub16HIPCUB_304000_NS6detail27convert_result_type_wrapperIS8_S9_N2at6native12_GLOBAL__N_110CustomProdEEEEE10hipError_tPvRmT0_T1_jT2_SQ_T4_T3_P12ihipStream_tbEUlT_E_NS1_11comp_targetILNS1_3genE3ELNS1_11target_archE908ELNS1_3gpuE7ELNS1_3repE0EEENS1_30default_config_static_selectorELNS0_4arch9wavefront6targetE0EEEvSP_.private_seg_size, 0
	.set _ZN7rocprim17ROCPRIM_400000_NS6detail17trampoline_kernelINS0_14default_configENS1_32segmented_reduce_config_selectorIdEEZNS1_21segmented_reduce_implIS3_PKdPdPKidN6hipcub16HIPCUB_304000_NS6detail27convert_result_type_wrapperIS8_S9_N2at6native12_GLOBAL__N_110CustomProdEEEEE10hipError_tPvRmT0_T1_jT2_SQ_T4_T3_P12ihipStream_tbEUlT_E_NS1_11comp_targetILNS1_3genE3ELNS1_11target_archE908ELNS1_3gpuE7ELNS1_3repE0EEENS1_30default_config_static_selectorELNS0_4arch9wavefront6targetE0EEEvSP_.uses_vcc, 0
	.set _ZN7rocprim17ROCPRIM_400000_NS6detail17trampoline_kernelINS0_14default_configENS1_32segmented_reduce_config_selectorIdEEZNS1_21segmented_reduce_implIS3_PKdPdPKidN6hipcub16HIPCUB_304000_NS6detail27convert_result_type_wrapperIS8_S9_N2at6native12_GLOBAL__N_110CustomProdEEEEE10hipError_tPvRmT0_T1_jT2_SQ_T4_T3_P12ihipStream_tbEUlT_E_NS1_11comp_targetILNS1_3genE3ELNS1_11target_archE908ELNS1_3gpuE7ELNS1_3repE0EEENS1_30default_config_static_selectorELNS0_4arch9wavefront6targetE0EEEvSP_.uses_flat_scratch, 0
	.set _ZN7rocprim17ROCPRIM_400000_NS6detail17trampoline_kernelINS0_14default_configENS1_32segmented_reduce_config_selectorIdEEZNS1_21segmented_reduce_implIS3_PKdPdPKidN6hipcub16HIPCUB_304000_NS6detail27convert_result_type_wrapperIS8_S9_N2at6native12_GLOBAL__N_110CustomProdEEEEE10hipError_tPvRmT0_T1_jT2_SQ_T4_T3_P12ihipStream_tbEUlT_E_NS1_11comp_targetILNS1_3genE3ELNS1_11target_archE908ELNS1_3gpuE7ELNS1_3repE0EEENS1_30default_config_static_selectorELNS0_4arch9wavefront6targetE0EEEvSP_.has_dyn_sized_stack, 0
	.set _ZN7rocprim17ROCPRIM_400000_NS6detail17trampoline_kernelINS0_14default_configENS1_32segmented_reduce_config_selectorIdEEZNS1_21segmented_reduce_implIS3_PKdPdPKidN6hipcub16HIPCUB_304000_NS6detail27convert_result_type_wrapperIS8_S9_N2at6native12_GLOBAL__N_110CustomProdEEEEE10hipError_tPvRmT0_T1_jT2_SQ_T4_T3_P12ihipStream_tbEUlT_E_NS1_11comp_targetILNS1_3genE3ELNS1_11target_archE908ELNS1_3gpuE7ELNS1_3repE0EEENS1_30default_config_static_selectorELNS0_4arch9wavefront6targetE0EEEvSP_.has_recursion, 0
	.set _ZN7rocprim17ROCPRIM_400000_NS6detail17trampoline_kernelINS0_14default_configENS1_32segmented_reduce_config_selectorIdEEZNS1_21segmented_reduce_implIS3_PKdPdPKidN6hipcub16HIPCUB_304000_NS6detail27convert_result_type_wrapperIS8_S9_N2at6native12_GLOBAL__N_110CustomProdEEEEE10hipError_tPvRmT0_T1_jT2_SQ_T4_T3_P12ihipStream_tbEUlT_E_NS1_11comp_targetILNS1_3genE3ELNS1_11target_archE908ELNS1_3gpuE7ELNS1_3repE0EEENS1_30default_config_static_selectorELNS0_4arch9wavefront6targetE0EEEvSP_.has_indirect_call, 0
	.section	.AMDGPU.csdata,"",@progbits
; Kernel info:
; codeLenInByte = 0
; TotalNumSgprs: 0
; NumVgprs: 0
; ScratchSize: 0
; MemoryBound: 0
; FloatMode: 240
; IeeeMode: 1
; LDSByteSize: 0 bytes/workgroup (compile time only)
; SGPRBlocks: 0
; VGPRBlocks: 0
; NumSGPRsForWavesPerEU: 1
; NumVGPRsForWavesPerEU: 1
; Occupancy: 16
; WaveLimiterHint : 0
; COMPUTE_PGM_RSRC2:SCRATCH_EN: 0
; COMPUTE_PGM_RSRC2:USER_SGPR: 6
; COMPUTE_PGM_RSRC2:TRAP_HANDLER: 0
; COMPUTE_PGM_RSRC2:TGID_X_EN: 1
; COMPUTE_PGM_RSRC2:TGID_Y_EN: 0
; COMPUTE_PGM_RSRC2:TGID_Z_EN: 0
; COMPUTE_PGM_RSRC2:TIDIG_COMP_CNT: 0
	.section	.text._ZN7rocprim17ROCPRIM_400000_NS6detail17trampoline_kernelINS0_14default_configENS1_32segmented_reduce_config_selectorIdEEZNS1_21segmented_reduce_implIS3_PKdPdPKidN6hipcub16HIPCUB_304000_NS6detail27convert_result_type_wrapperIS8_S9_N2at6native12_GLOBAL__N_110CustomProdEEEEE10hipError_tPvRmT0_T1_jT2_SQ_T4_T3_P12ihipStream_tbEUlT_E_NS1_11comp_targetILNS1_3genE2ELNS1_11target_archE906ELNS1_3gpuE6ELNS1_3repE0EEENS1_30default_config_static_selectorELNS0_4arch9wavefront6targetE0EEEvSP_,"axG",@progbits,_ZN7rocprim17ROCPRIM_400000_NS6detail17trampoline_kernelINS0_14default_configENS1_32segmented_reduce_config_selectorIdEEZNS1_21segmented_reduce_implIS3_PKdPdPKidN6hipcub16HIPCUB_304000_NS6detail27convert_result_type_wrapperIS8_S9_N2at6native12_GLOBAL__N_110CustomProdEEEEE10hipError_tPvRmT0_T1_jT2_SQ_T4_T3_P12ihipStream_tbEUlT_E_NS1_11comp_targetILNS1_3genE2ELNS1_11target_archE906ELNS1_3gpuE6ELNS1_3repE0EEENS1_30default_config_static_selectorELNS0_4arch9wavefront6targetE0EEEvSP_,comdat
	.globl	_ZN7rocprim17ROCPRIM_400000_NS6detail17trampoline_kernelINS0_14default_configENS1_32segmented_reduce_config_selectorIdEEZNS1_21segmented_reduce_implIS3_PKdPdPKidN6hipcub16HIPCUB_304000_NS6detail27convert_result_type_wrapperIS8_S9_N2at6native12_GLOBAL__N_110CustomProdEEEEE10hipError_tPvRmT0_T1_jT2_SQ_T4_T3_P12ihipStream_tbEUlT_E_NS1_11comp_targetILNS1_3genE2ELNS1_11target_archE906ELNS1_3gpuE6ELNS1_3repE0EEENS1_30default_config_static_selectorELNS0_4arch9wavefront6targetE0EEEvSP_ ; -- Begin function _ZN7rocprim17ROCPRIM_400000_NS6detail17trampoline_kernelINS0_14default_configENS1_32segmented_reduce_config_selectorIdEEZNS1_21segmented_reduce_implIS3_PKdPdPKidN6hipcub16HIPCUB_304000_NS6detail27convert_result_type_wrapperIS8_S9_N2at6native12_GLOBAL__N_110CustomProdEEEEE10hipError_tPvRmT0_T1_jT2_SQ_T4_T3_P12ihipStream_tbEUlT_E_NS1_11comp_targetILNS1_3genE2ELNS1_11target_archE906ELNS1_3gpuE6ELNS1_3repE0EEENS1_30default_config_static_selectorELNS0_4arch9wavefront6targetE0EEEvSP_
	.p2align	8
	.type	_ZN7rocprim17ROCPRIM_400000_NS6detail17trampoline_kernelINS0_14default_configENS1_32segmented_reduce_config_selectorIdEEZNS1_21segmented_reduce_implIS3_PKdPdPKidN6hipcub16HIPCUB_304000_NS6detail27convert_result_type_wrapperIS8_S9_N2at6native12_GLOBAL__N_110CustomProdEEEEE10hipError_tPvRmT0_T1_jT2_SQ_T4_T3_P12ihipStream_tbEUlT_E_NS1_11comp_targetILNS1_3genE2ELNS1_11target_archE906ELNS1_3gpuE6ELNS1_3repE0EEENS1_30default_config_static_selectorELNS0_4arch9wavefront6targetE0EEEvSP_,@function
_ZN7rocprim17ROCPRIM_400000_NS6detail17trampoline_kernelINS0_14default_configENS1_32segmented_reduce_config_selectorIdEEZNS1_21segmented_reduce_implIS3_PKdPdPKidN6hipcub16HIPCUB_304000_NS6detail27convert_result_type_wrapperIS8_S9_N2at6native12_GLOBAL__N_110CustomProdEEEEE10hipError_tPvRmT0_T1_jT2_SQ_T4_T3_P12ihipStream_tbEUlT_E_NS1_11comp_targetILNS1_3genE2ELNS1_11target_archE906ELNS1_3gpuE6ELNS1_3repE0EEENS1_30default_config_static_selectorELNS0_4arch9wavefront6targetE0EEEvSP_: ; @_ZN7rocprim17ROCPRIM_400000_NS6detail17trampoline_kernelINS0_14default_configENS1_32segmented_reduce_config_selectorIdEEZNS1_21segmented_reduce_implIS3_PKdPdPKidN6hipcub16HIPCUB_304000_NS6detail27convert_result_type_wrapperIS8_S9_N2at6native12_GLOBAL__N_110CustomProdEEEEE10hipError_tPvRmT0_T1_jT2_SQ_T4_T3_P12ihipStream_tbEUlT_E_NS1_11comp_targetILNS1_3genE2ELNS1_11target_archE906ELNS1_3gpuE6ELNS1_3repE0EEENS1_30default_config_static_selectorELNS0_4arch9wavefront6targetE0EEEvSP_
; %bb.0:
	.section	.rodata,"a",@progbits
	.p2align	6, 0x0
	.amdhsa_kernel _ZN7rocprim17ROCPRIM_400000_NS6detail17trampoline_kernelINS0_14default_configENS1_32segmented_reduce_config_selectorIdEEZNS1_21segmented_reduce_implIS3_PKdPdPKidN6hipcub16HIPCUB_304000_NS6detail27convert_result_type_wrapperIS8_S9_N2at6native12_GLOBAL__N_110CustomProdEEEEE10hipError_tPvRmT0_T1_jT2_SQ_T4_T3_P12ihipStream_tbEUlT_E_NS1_11comp_targetILNS1_3genE2ELNS1_11target_archE906ELNS1_3gpuE6ELNS1_3repE0EEENS1_30default_config_static_selectorELNS0_4arch9wavefront6targetE0EEEvSP_
		.amdhsa_group_segment_fixed_size 0
		.amdhsa_private_segment_fixed_size 0
		.amdhsa_kernarg_size 56
		.amdhsa_user_sgpr_count 6
		.amdhsa_user_sgpr_private_segment_buffer 1
		.amdhsa_user_sgpr_dispatch_ptr 0
		.amdhsa_user_sgpr_queue_ptr 0
		.amdhsa_user_sgpr_kernarg_segment_ptr 1
		.amdhsa_user_sgpr_dispatch_id 0
		.amdhsa_user_sgpr_flat_scratch_init 0
		.amdhsa_user_sgpr_private_segment_size 0
		.amdhsa_wavefront_size32 1
		.amdhsa_uses_dynamic_stack 0
		.amdhsa_system_sgpr_private_segment_wavefront_offset 0
		.amdhsa_system_sgpr_workgroup_id_x 1
		.amdhsa_system_sgpr_workgroup_id_y 0
		.amdhsa_system_sgpr_workgroup_id_z 0
		.amdhsa_system_sgpr_workgroup_info 0
		.amdhsa_system_vgpr_workitem_id 0
		.amdhsa_next_free_vgpr 1
		.amdhsa_next_free_sgpr 1
		.amdhsa_reserve_vcc 0
		.amdhsa_reserve_flat_scratch 0
		.amdhsa_float_round_mode_32 0
		.amdhsa_float_round_mode_16_64 0
		.amdhsa_float_denorm_mode_32 3
		.amdhsa_float_denorm_mode_16_64 3
		.amdhsa_dx10_clamp 1
		.amdhsa_ieee_mode 1
		.amdhsa_fp16_overflow 0
		.amdhsa_workgroup_processor_mode 1
		.amdhsa_memory_ordered 1
		.amdhsa_forward_progress 1
		.amdhsa_shared_vgpr_count 0
		.amdhsa_exception_fp_ieee_invalid_op 0
		.amdhsa_exception_fp_denorm_src 0
		.amdhsa_exception_fp_ieee_div_zero 0
		.amdhsa_exception_fp_ieee_overflow 0
		.amdhsa_exception_fp_ieee_underflow 0
		.amdhsa_exception_fp_ieee_inexact 0
		.amdhsa_exception_int_div_zero 0
	.end_amdhsa_kernel
	.section	.text._ZN7rocprim17ROCPRIM_400000_NS6detail17trampoline_kernelINS0_14default_configENS1_32segmented_reduce_config_selectorIdEEZNS1_21segmented_reduce_implIS3_PKdPdPKidN6hipcub16HIPCUB_304000_NS6detail27convert_result_type_wrapperIS8_S9_N2at6native12_GLOBAL__N_110CustomProdEEEEE10hipError_tPvRmT0_T1_jT2_SQ_T4_T3_P12ihipStream_tbEUlT_E_NS1_11comp_targetILNS1_3genE2ELNS1_11target_archE906ELNS1_3gpuE6ELNS1_3repE0EEENS1_30default_config_static_selectorELNS0_4arch9wavefront6targetE0EEEvSP_,"axG",@progbits,_ZN7rocprim17ROCPRIM_400000_NS6detail17trampoline_kernelINS0_14default_configENS1_32segmented_reduce_config_selectorIdEEZNS1_21segmented_reduce_implIS3_PKdPdPKidN6hipcub16HIPCUB_304000_NS6detail27convert_result_type_wrapperIS8_S9_N2at6native12_GLOBAL__N_110CustomProdEEEEE10hipError_tPvRmT0_T1_jT2_SQ_T4_T3_P12ihipStream_tbEUlT_E_NS1_11comp_targetILNS1_3genE2ELNS1_11target_archE906ELNS1_3gpuE6ELNS1_3repE0EEENS1_30default_config_static_selectorELNS0_4arch9wavefront6targetE0EEEvSP_,comdat
.Lfunc_end39:
	.size	_ZN7rocprim17ROCPRIM_400000_NS6detail17trampoline_kernelINS0_14default_configENS1_32segmented_reduce_config_selectorIdEEZNS1_21segmented_reduce_implIS3_PKdPdPKidN6hipcub16HIPCUB_304000_NS6detail27convert_result_type_wrapperIS8_S9_N2at6native12_GLOBAL__N_110CustomProdEEEEE10hipError_tPvRmT0_T1_jT2_SQ_T4_T3_P12ihipStream_tbEUlT_E_NS1_11comp_targetILNS1_3genE2ELNS1_11target_archE906ELNS1_3gpuE6ELNS1_3repE0EEENS1_30default_config_static_selectorELNS0_4arch9wavefront6targetE0EEEvSP_, .Lfunc_end39-_ZN7rocprim17ROCPRIM_400000_NS6detail17trampoline_kernelINS0_14default_configENS1_32segmented_reduce_config_selectorIdEEZNS1_21segmented_reduce_implIS3_PKdPdPKidN6hipcub16HIPCUB_304000_NS6detail27convert_result_type_wrapperIS8_S9_N2at6native12_GLOBAL__N_110CustomProdEEEEE10hipError_tPvRmT0_T1_jT2_SQ_T4_T3_P12ihipStream_tbEUlT_E_NS1_11comp_targetILNS1_3genE2ELNS1_11target_archE906ELNS1_3gpuE6ELNS1_3repE0EEENS1_30default_config_static_selectorELNS0_4arch9wavefront6targetE0EEEvSP_
                                        ; -- End function
	.set _ZN7rocprim17ROCPRIM_400000_NS6detail17trampoline_kernelINS0_14default_configENS1_32segmented_reduce_config_selectorIdEEZNS1_21segmented_reduce_implIS3_PKdPdPKidN6hipcub16HIPCUB_304000_NS6detail27convert_result_type_wrapperIS8_S9_N2at6native12_GLOBAL__N_110CustomProdEEEEE10hipError_tPvRmT0_T1_jT2_SQ_T4_T3_P12ihipStream_tbEUlT_E_NS1_11comp_targetILNS1_3genE2ELNS1_11target_archE906ELNS1_3gpuE6ELNS1_3repE0EEENS1_30default_config_static_selectorELNS0_4arch9wavefront6targetE0EEEvSP_.num_vgpr, 0
	.set _ZN7rocprim17ROCPRIM_400000_NS6detail17trampoline_kernelINS0_14default_configENS1_32segmented_reduce_config_selectorIdEEZNS1_21segmented_reduce_implIS3_PKdPdPKidN6hipcub16HIPCUB_304000_NS6detail27convert_result_type_wrapperIS8_S9_N2at6native12_GLOBAL__N_110CustomProdEEEEE10hipError_tPvRmT0_T1_jT2_SQ_T4_T3_P12ihipStream_tbEUlT_E_NS1_11comp_targetILNS1_3genE2ELNS1_11target_archE906ELNS1_3gpuE6ELNS1_3repE0EEENS1_30default_config_static_selectorELNS0_4arch9wavefront6targetE0EEEvSP_.num_agpr, 0
	.set _ZN7rocprim17ROCPRIM_400000_NS6detail17trampoline_kernelINS0_14default_configENS1_32segmented_reduce_config_selectorIdEEZNS1_21segmented_reduce_implIS3_PKdPdPKidN6hipcub16HIPCUB_304000_NS6detail27convert_result_type_wrapperIS8_S9_N2at6native12_GLOBAL__N_110CustomProdEEEEE10hipError_tPvRmT0_T1_jT2_SQ_T4_T3_P12ihipStream_tbEUlT_E_NS1_11comp_targetILNS1_3genE2ELNS1_11target_archE906ELNS1_3gpuE6ELNS1_3repE0EEENS1_30default_config_static_selectorELNS0_4arch9wavefront6targetE0EEEvSP_.numbered_sgpr, 0
	.set _ZN7rocprim17ROCPRIM_400000_NS6detail17trampoline_kernelINS0_14default_configENS1_32segmented_reduce_config_selectorIdEEZNS1_21segmented_reduce_implIS3_PKdPdPKidN6hipcub16HIPCUB_304000_NS6detail27convert_result_type_wrapperIS8_S9_N2at6native12_GLOBAL__N_110CustomProdEEEEE10hipError_tPvRmT0_T1_jT2_SQ_T4_T3_P12ihipStream_tbEUlT_E_NS1_11comp_targetILNS1_3genE2ELNS1_11target_archE906ELNS1_3gpuE6ELNS1_3repE0EEENS1_30default_config_static_selectorELNS0_4arch9wavefront6targetE0EEEvSP_.num_named_barrier, 0
	.set _ZN7rocprim17ROCPRIM_400000_NS6detail17trampoline_kernelINS0_14default_configENS1_32segmented_reduce_config_selectorIdEEZNS1_21segmented_reduce_implIS3_PKdPdPKidN6hipcub16HIPCUB_304000_NS6detail27convert_result_type_wrapperIS8_S9_N2at6native12_GLOBAL__N_110CustomProdEEEEE10hipError_tPvRmT0_T1_jT2_SQ_T4_T3_P12ihipStream_tbEUlT_E_NS1_11comp_targetILNS1_3genE2ELNS1_11target_archE906ELNS1_3gpuE6ELNS1_3repE0EEENS1_30default_config_static_selectorELNS0_4arch9wavefront6targetE0EEEvSP_.private_seg_size, 0
	.set _ZN7rocprim17ROCPRIM_400000_NS6detail17trampoline_kernelINS0_14default_configENS1_32segmented_reduce_config_selectorIdEEZNS1_21segmented_reduce_implIS3_PKdPdPKidN6hipcub16HIPCUB_304000_NS6detail27convert_result_type_wrapperIS8_S9_N2at6native12_GLOBAL__N_110CustomProdEEEEE10hipError_tPvRmT0_T1_jT2_SQ_T4_T3_P12ihipStream_tbEUlT_E_NS1_11comp_targetILNS1_3genE2ELNS1_11target_archE906ELNS1_3gpuE6ELNS1_3repE0EEENS1_30default_config_static_selectorELNS0_4arch9wavefront6targetE0EEEvSP_.uses_vcc, 0
	.set _ZN7rocprim17ROCPRIM_400000_NS6detail17trampoline_kernelINS0_14default_configENS1_32segmented_reduce_config_selectorIdEEZNS1_21segmented_reduce_implIS3_PKdPdPKidN6hipcub16HIPCUB_304000_NS6detail27convert_result_type_wrapperIS8_S9_N2at6native12_GLOBAL__N_110CustomProdEEEEE10hipError_tPvRmT0_T1_jT2_SQ_T4_T3_P12ihipStream_tbEUlT_E_NS1_11comp_targetILNS1_3genE2ELNS1_11target_archE906ELNS1_3gpuE6ELNS1_3repE0EEENS1_30default_config_static_selectorELNS0_4arch9wavefront6targetE0EEEvSP_.uses_flat_scratch, 0
	.set _ZN7rocprim17ROCPRIM_400000_NS6detail17trampoline_kernelINS0_14default_configENS1_32segmented_reduce_config_selectorIdEEZNS1_21segmented_reduce_implIS3_PKdPdPKidN6hipcub16HIPCUB_304000_NS6detail27convert_result_type_wrapperIS8_S9_N2at6native12_GLOBAL__N_110CustomProdEEEEE10hipError_tPvRmT0_T1_jT2_SQ_T4_T3_P12ihipStream_tbEUlT_E_NS1_11comp_targetILNS1_3genE2ELNS1_11target_archE906ELNS1_3gpuE6ELNS1_3repE0EEENS1_30default_config_static_selectorELNS0_4arch9wavefront6targetE0EEEvSP_.has_dyn_sized_stack, 0
	.set _ZN7rocprim17ROCPRIM_400000_NS6detail17trampoline_kernelINS0_14default_configENS1_32segmented_reduce_config_selectorIdEEZNS1_21segmented_reduce_implIS3_PKdPdPKidN6hipcub16HIPCUB_304000_NS6detail27convert_result_type_wrapperIS8_S9_N2at6native12_GLOBAL__N_110CustomProdEEEEE10hipError_tPvRmT0_T1_jT2_SQ_T4_T3_P12ihipStream_tbEUlT_E_NS1_11comp_targetILNS1_3genE2ELNS1_11target_archE906ELNS1_3gpuE6ELNS1_3repE0EEENS1_30default_config_static_selectorELNS0_4arch9wavefront6targetE0EEEvSP_.has_recursion, 0
	.set _ZN7rocprim17ROCPRIM_400000_NS6detail17trampoline_kernelINS0_14default_configENS1_32segmented_reduce_config_selectorIdEEZNS1_21segmented_reduce_implIS3_PKdPdPKidN6hipcub16HIPCUB_304000_NS6detail27convert_result_type_wrapperIS8_S9_N2at6native12_GLOBAL__N_110CustomProdEEEEE10hipError_tPvRmT0_T1_jT2_SQ_T4_T3_P12ihipStream_tbEUlT_E_NS1_11comp_targetILNS1_3genE2ELNS1_11target_archE906ELNS1_3gpuE6ELNS1_3repE0EEENS1_30default_config_static_selectorELNS0_4arch9wavefront6targetE0EEEvSP_.has_indirect_call, 0
	.section	.AMDGPU.csdata,"",@progbits
; Kernel info:
; codeLenInByte = 0
; TotalNumSgprs: 0
; NumVgprs: 0
; ScratchSize: 0
; MemoryBound: 0
; FloatMode: 240
; IeeeMode: 1
; LDSByteSize: 0 bytes/workgroup (compile time only)
; SGPRBlocks: 0
; VGPRBlocks: 0
; NumSGPRsForWavesPerEU: 1
; NumVGPRsForWavesPerEU: 1
; Occupancy: 16
; WaveLimiterHint : 0
; COMPUTE_PGM_RSRC2:SCRATCH_EN: 0
; COMPUTE_PGM_RSRC2:USER_SGPR: 6
; COMPUTE_PGM_RSRC2:TRAP_HANDLER: 0
; COMPUTE_PGM_RSRC2:TGID_X_EN: 1
; COMPUTE_PGM_RSRC2:TGID_Y_EN: 0
; COMPUTE_PGM_RSRC2:TGID_Z_EN: 0
; COMPUTE_PGM_RSRC2:TIDIG_COMP_CNT: 0
	.section	.text._ZN7rocprim17ROCPRIM_400000_NS6detail17trampoline_kernelINS0_14default_configENS1_32segmented_reduce_config_selectorIdEEZNS1_21segmented_reduce_implIS3_PKdPdPKidN6hipcub16HIPCUB_304000_NS6detail27convert_result_type_wrapperIS8_S9_N2at6native12_GLOBAL__N_110CustomProdEEEEE10hipError_tPvRmT0_T1_jT2_SQ_T4_T3_P12ihipStream_tbEUlT_E_NS1_11comp_targetILNS1_3genE9ELNS1_11target_archE1100ELNS1_3gpuE3ELNS1_3repE0EEENS1_30default_config_static_selectorELNS0_4arch9wavefront6targetE0EEEvSP_,"axG",@progbits,_ZN7rocprim17ROCPRIM_400000_NS6detail17trampoline_kernelINS0_14default_configENS1_32segmented_reduce_config_selectorIdEEZNS1_21segmented_reduce_implIS3_PKdPdPKidN6hipcub16HIPCUB_304000_NS6detail27convert_result_type_wrapperIS8_S9_N2at6native12_GLOBAL__N_110CustomProdEEEEE10hipError_tPvRmT0_T1_jT2_SQ_T4_T3_P12ihipStream_tbEUlT_E_NS1_11comp_targetILNS1_3genE9ELNS1_11target_archE1100ELNS1_3gpuE3ELNS1_3repE0EEENS1_30default_config_static_selectorELNS0_4arch9wavefront6targetE0EEEvSP_,comdat
	.globl	_ZN7rocprim17ROCPRIM_400000_NS6detail17trampoline_kernelINS0_14default_configENS1_32segmented_reduce_config_selectorIdEEZNS1_21segmented_reduce_implIS3_PKdPdPKidN6hipcub16HIPCUB_304000_NS6detail27convert_result_type_wrapperIS8_S9_N2at6native12_GLOBAL__N_110CustomProdEEEEE10hipError_tPvRmT0_T1_jT2_SQ_T4_T3_P12ihipStream_tbEUlT_E_NS1_11comp_targetILNS1_3genE9ELNS1_11target_archE1100ELNS1_3gpuE3ELNS1_3repE0EEENS1_30default_config_static_selectorELNS0_4arch9wavefront6targetE0EEEvSP_ ; -- Begin function _ZN7rocprim17ROCPRIM_400000_NS6detail17trampoline_kernelINS0_14default_configENS1_32segmented_reduce_config_selectorIdEEZNS1_21segmented_reduce_implIS3_PKdPdPKidN6hipcub16HIPCUB_304000_NS6detail27convert_result_type_wrapperIS8_S9_N2at6native12_GLOBAL__N_110CustomProdEEEEE10hipError_tPvRmT0_T1_jT2_SQ_T4_T3_P12ihipStream_tbEUlT_E_NS1_11comp_targetILNS1_3genE9ELNS1_11target_archE1100ELNS1_3gpuE3ELNS1_3repE0EEENS1_30default_config_static_selectorELNS0_4arch9wavefront6targetE0EEEvSP_
	.p2align	8
	.type	_ZN7rocprim17ROCPRIM_400000_NS6detail17trampoline_kernelINS0_14default_configENS1_32segmented_reduce_config_selectorIdEEZNS1_21segmented_reduce_implIS3_PKdPdPKidN6hipcub16HIPCUB_304000_NS6detail27convert_result_type_wrapperIS8_S9_N2at6native12_GLOBAL__N_110CustomProdEEEEE10hipError_tPvRmT0_T1_jT2_SQ_T4_T3_P12ihipStream_tbEUlT_E_NS1_11comp_targetILNS1_3genE9ELNS1_11target_archE1100ELNS1_3gpuE3ELNS1_3repE0EEENS1_30default_config_static_selectorELNS0_4arch9wavefront6targetE0EEEvSP_,@function
_ZN7rocprim17ROCPRIM_400000_NS6detail17trampoline_kernelINS0_14default_configENS1_32segmented_reduce_config_selectorIdEEZNS1_21segmented_reduce_implIS3_PKdPdPKidN6hipcub16HIPCUB_304000_NS6detail27convert_result_type_wrapperIS8_S9_N2at6native12_GLOBAL__N_110CustomProdEEEEE10hipError_tPvRmT0_T1_jT2_SQ_T4_T3_P12ihipStream_tbEUlT_E_NS1_11comp_targetILNS1_3genE9ELNS1_11target_archE1100ELNS1_3gpuE3ELNS1_3repE0EEENS1_30default_config_static_selectorELNS0_4arch9wavefront6targetE0EEEvSP_: ; @_ZN7rocprim17ROCPRIM_400000_NS6detail17trampoline_kernelINS0_14default_configENS1_32segmented_reduce_config_selectorIdEEZNS1_21segmented_reduce_implIS3_PKdPdPKidN6hipcub16HIPCUB_304000_NS6detail27convert_result_type_wrapperIS8_S9_N2at6native12_GLOBAL__N_110CustomProdEEEEE10hipError_tPvRmT0_T1_jT2_SQ_T4_T3_P12ihipStream_tbEUlT_E_NS1_11comp_targetILNS1_3genE9ELNS1_11target_archE1100ELNS1_3gpuE3ELNS1_3repE0EEENS1_30default_config_static_selectorELNS0_4arch9wavefront6targetE0EEEvSP_
; %bb.0:
	.section	.rodata,"a",@progbits
	.p2align	6, 0x0
	.amdhsa_kernel _ZN7rocprim17ROCPRIM_400000_NS6detail17trampoline_kernelINS0_14default_configENS1_32segmented_reduce_config_selectorIdEEZNS1_21segmented_reduce_implIS3_PKdPdPKidN6hipcub16HIPCUB_304000_NS6detail27convert_result_type_wrapperIS8_S9_N2at6native12_GLOBAL__N_110CustomProdEEEEE10hipError_tPvRmT0_T1_jT2_SQ_T4_T3_P12ihipStream_tbEUlT_E_NS1_11comp_targetILNS1_3genE9ELNS1_11target_archE1100ELNS1_3gpuE3ELNS1_3repE0EEENS1_30default_config_static_selectorELNS0_4arch9wavefront6targetE0EEEvSP_
		.amdhsa_group_segment_fixed_size 0
		.amdhsa_private_segment_fixed_size 0
		.amdhsa_kernarg_size 56
		.amdhsa_user_sgpr_count 6
		.amdhsa_user_sgpr_private_segment_buffer 1
		.amdhsa_user_sgpr_dispatch_ptr 0
		.amdhsa_user_sgpr_queue_ptr 0
		.amdhsa_user_sgpr_kernarg_segment_ptr 1
		.amdhsa_user_sgpr_dispatch_id 0
		.amdhsa_user_sgpr_flat_scratch_init 0
		.amdhsa_user_sgpr_private_segment_size 0
		.amdhsa_wavefront_size32 1
		.amdhsa_uses_dynamic_stack 0
		.amdhsa_system_sgpr_private_segment_wavefront_offset 0
		.amdhsa_system_sgpr_workgroup_id_x 1
		.amdhsa_system_sgpr_workgroup_id_y 0
		.amdhsa_system_sgpr_workgroup_id_z 0
		.amdhsa_system_sgpr_workgroup_info 0
		.amdhsa_system_vgpr_workitem_id 0
		.amdhsa_next_free_vgpr 1
		.amdhsa_next_free_sgpr 1
		.amdhsa_reserve_vcc 0
		.amdhsa_reserve_flat_scratch 0
		.amdhsa_float_round_mode_32 0
		.amdhsa_float_round_mode_16_64 0
		.amdhsa_float_denorm_mode_32 3
		.amdhsa_float_denorm_mode_16_64 3
		.amdhsa_dx10_clamp 1
		.amdhsa_ieee_mode 1
		.amdhsa_fp16_overflow 0
		.amdhsa_workgroup_processor_mode 1
		.amdhsa_memory_ordered 1
		.amdhsa_forward_progress 1
		.amdhsa_shared_vgpr_count 0
		.amdhsa_exception_fp_ieee_invalid_op 0
		.amdhsa_exception_fp_denorm_src 0
		.amdhsa_exception_fp_ieee_div_zero 0
		.amdhsa_exception_fp_ieee_overflow 0
		.amdhsa_exception_fp_ieee_underflow 0
		.amdhsa_exception_fp_ieee_inexact 0
		.amdhsa_exception_int_div_zero 0
	.end_amdhsa_kernel
	.section	.text._ZN7rocprim17ROCPRIM_400000_NS6detail17trampoline_kernelINS0_14default_configENS1_32segmented_reduce_config_selectorIdEEZNS1_21segmented_reduce_implIS3_PKdPdPKidN6hipcub16HIPCUB_304000_NS6detail27convert_result_type_wrapperIS8_S9_N2at6native12_GLOBAL__N_110CustomProdEEEEE10hipError_tPvRmT0_T1_jT2_SQ_T4_T3_P12ihipStream_tbEUlT_E_NS1_11comp_targetILNS1_3genE9ELNS1_11target_archE1100ELNS1_3gpuE3ELNS1_3repE0EEENS1_30default_config_static_selectorELNS0_4arch9wavefront6targetE0EEEvSP_,"axG",@progbits,_ZN7rocprim17ROCPRIM_400000_NS6detail17trampoline_kernelINS0_14default_configENS1_32segmented_reduce_config_selectorIdEEZNS1_21segmented_reduce_implIS3_PKdPdPKidN6hipcub16HIPCUB_304000_NS6detail27convert_result_type_wrapperIS8_S9_N2at6native12_GLOBAL__N_110CustomProdEEEEE10hipError_tPvRmT0_T1_jT2_SQ_T4_T3_P12ihipStream_tbEUlT_E_NS1_11comp_targetILNS1_3genE9ELNS1_11target_archE1100ELNS1_3gpuE3ELNS1_3repE0EEENS1_30default_config_static_selectorELNS0_4arch9wavefront6targetE0EEEvSP_,comdat
.Lfunc_end40:
	.size	_ZN7rocprim17ROCPRIM_400000_NS6detail17trampoline_kernelINS0_14default_configENS1_32segmented_reduce_config_selectorIdEEZNS1_21segmented_reduce_implIS3_PKdPdPKidN6hipcub16HIPCUB_304000_NS6detail27convert_result_type_wrapperIS8_S9_N2at6native12_GLOBAL__N_110CustomProdEEEEE10hipError_tPvRmT0_T1_jT2_SQ_T4_T3_P12ihipStream_tbEUlT_E_NS1_11comp_targetILNS1_3genE9ELNS1_11target_archE1100ELNS1_3gpuE3ELNS1_3repE0EEENS1_30default_config_static_selectorELNS0_4arch9wavefront6targetE0EEEvSP_, .Lfunc_end40-_ZN7rocprim17ROCPRIM_400000_NS6detail17trampoline_kernelINS0_14default_configENS1_32segmented_reduce_config_selectorIdEEZNS1_21segmented_reduce_implIS3_PKdPdPKidN6hipcub16HIPCUB_304000_NS6detail27convert_result_type_wrapperIS8_S9_N2at6native12_GLOBAL__N_110CustomProdEEEEE10hipError_tPvRmT0_T1_jT2_SQ_T4_T3_P12ihipStream_tbEUlT_E_NS1_11comp_targetILNS1_3genE9ELNS1_11target_archE1100ELNS1_3gpuE3ELNS1_3repE0EEENS1_30default_config_static_selectorELNS0_4arch9wavefront6targetE0EEEvSP_
                                        ; -- End function
	.set _ZN7rocprim17ROCPRIM_400000_NS6detail17trampoline_kernelINS0_14default_configENS1_32segmented_reduce_config_selectorIdEEZNS1_21segmented_reduce_implIS3_PKdPdPKidN6hipcub16HIPCUB_304000_NS6detail27convert_result_type_wrapperIS8_S9_N2at6native12_GLOBAL__N_110CustomProdEEEEE10hipError_tPvRmT0_T1_jT2_SQ_T4_T3_P12ihipStream_tbEUlT_E_NS1_11comp_targetILNS1_3genE9ELNS1_11target_archE1100ELNS1_3gpuE3ELNS1_3repE0EEENS1_30default_config_static_selectorELNS0_4arch9wavefront6targetE0EEEvSP_.num_vgpr, 0
	.set _ZN7rocprim17ROCPRIM_400000_NS6detail17trampoline_kernelINS0_14default_configENS1_32segmented_reduce_config_selectorIdEEZNS1_21segmented_reduce_implIS3_PKdPdPKidN6hipcub16HIPCUB_304000_NS6detail27convert_result_type_wrapperIS8_S9_N2at6native12_GLOBAL__N_110CustomProdEEEEE10hipError_tPvRmT0_T1_jT2_SQ_T4_T3_P12ihipStream_tbEUlT_E_NS1_11comp_targetILNS1_3genE9ELNS1_11target_archE1100ELNS1_3gpuE3ELNS1_3repE0EEENS1_30default_config_static_selectorELNS0_4arch9wavefront6targetE0EEEvSP_.num_agpr, 0
	.set _ZN7rocprim17ROCPRIM_400000_NS6detail17trampoline_kernelINS0_14default_configENS1_32segmented_reduce_config_selectorIdEEZNS1_21segmented_reduce_implIS3_PKdPdPKidN6hipcub16HIPCUB_304000_NS6detail27convert_result_type_wrapperIS8_S9_N2at6native12_GLOBAL__N_110CustomProdEEEEE10hipError_tPvRmT0_T1_jT2_SQ_T4_T3_P12ihipStream_tbEUlT_E_NS1_11comp_targetILNS1_3genE9ELNS1_11target_archE1100ELNS1_3gpuE3ELNS1_3repE0EEENS1_30default_config_static_selectorELNS0_4arch9wavefront6targetE0EEEvSP_.numbered_sgpr, 0
	.set _ZN7rocprim17ROCPRIM_400000_NS6detail17trampoline_kernelINS0_14default_configENS1_32segmented_reduce_config_selectorIdEEZNS1_21segmented_reduce_implIS3_PKdPdPKidN6hipcub16HIPCUB_304000_NS6detail27convert_result_type_wrapperIS8_S9_N2at6native12_GLOBAL__N_110CustomProdEEEEE10hipError_tPvRmT0_T1_jT2_SQ_T4_T3_P12ihipStream_tbEUlT_E_NS1_11comp_targetILNS1_3genE9ELNS1_11target_archE1100ELNS1_3gpuE3ELNS1_3repE0EEENS1_30default_config_static_selectorELNS0_4arch9wavefront6targetE0EEEvSP_.num_named_barrier, 0
	.set _ZN7rocprim17ROCPRIM_400000_NS6detail17trampoline_kernelINS0_14default_configENS1_32segmented_reduce_config_selectorIdEEZNS1_21segmented_reduce_implIS3_PKdPdPKidN6hipcub16HIPCUB_304000_NS6detail27convert_result_type_wrapperIS8_S9_N2at6native12_GLOBAL__N_110CustomProdEEEEE10hipError_tPvRmT0_T1_jT2_SQ_T4_T3_P12ihipStream_tbEUlT_E_NS1_11comp_targetILNS1_3genE9ELNS1_11target_archE1100ELNS1_3gpuE3ELNS1_3repE0EEENS1_30default_config_static_selectorELNS0_4arch9wavefront6targetE0EEEvSP_.private_seg_size, 0
	.set _ZN7rocprim17ROCPRIM_400000_NS6detail17trampoline_kernelINS0_14default_configENS1_32segmented_reduce_config_selectorIdEEZNS1_21segmented_reduce_implIS3_PKdPdPKidN6hipcub16HIPCUB_304000_NS6detail27convert_result_type_wrapperIS8_S9_N2at6native12_GLOBAL__N_110CustomProdEEEEE10hipError_tPvRmT0_T1_jT2_SQ_T4_T3_P12ihipStream_tbEUlT_E_NS1_11comp_targetILNS1_3genE9ELNS1_11target_archE1100ELNS1_3gpuE3ELNS1_3repE0EEENS1_30default_config_static_selectorELNS0_4arch9wavefront6targetE0EEEvSP_.uses_vcc, 0
	.set _ZN7rocprim17ROCPRIM_400000_NS6detail17trampoline_kernelINS0_14default_configENS1_32segmented_reduce_config_selectorIdEEZNS1_21segmented_reduce_implIS3_PKdPdPKidN6hipcub16HIPCUB_304000_NS6detail27convert_result_type_wrapperIS8_S9_N2at6native12_GLOBAL__N_110CustomProdEEEEE10hipError_tPvRmT0_T1_jT2_SQ_T4_T3_P12ihipStream_tbEUlT_E_NS1_11comp_targetILNS1_3genE9ELNS1_11target_archE1100ELNS1_3gpuE3ELNS1_3repE0EEENS1_30default_config_static_selectorELNS0_4arch9wavefront6targetE0EEEvSP_.uses_flat_scratch, 0
	.set _ZN7rocprim17ROCPRIM_400000_NS6detail17trampoline_kernelINS0_14default_configENS1_32segmented_reduce_config_selectorIdEEZNS1_21segmented_reduce_implIS3_PKdPdPKidN6hipcub16HIPCUB_304000_NS6detail27convert_result_type_wrapperIS8_S9_N2at6native12_GLOBAL__N_110CustomProdEEEEE10hipError_tPvRmT0_T1_jT2_SQ_T4_T3_P12ihipStream_tbEUlT_E_NS1_11comp_targetILNS1_3genE9ELNS1_11target_archE1100ELNS1_3gpuE3ELNS1_3repE0EEENS1_30default_config_static_selectorELNS0_4arch9wavefront6targetE0EEEvSP_.has_dyn_sized_stack, 0
	.set _ZN7rocprim17ROCPRIM_400000_NS6detail17trampoline_kernelINS0_14default_configENS1_32segmented_reduce_config_selectorIdEEZNS1_21segmented_reduce_implIS3_PKdPdPKidN6hipcub16HIPCUB_304000_NS6detail27convert_result_type_wrapperIS8_S9_N2at6native12_GLOBAL__N_110CustomProdEEEEE10hipError_tPvRmT0_T1_jT2_SQ_T4_T3_P12ihipStream_tbEUlT_E_NS1_11comp_targetILNS1_3genE9ELNS1_11target_archE1100ELNS1_3gpuE3ELNS1_3repE0EEENS1_30default_config_static_selectorELNS0_4arch9wavefront6targetE0EEEvSP_.has_recursion, 0
	.set _ZN7rocprim17ROCPRIM_400000_NS6detail17trampoline_kernelINS0_14default_configENS1_32segmented_reduce_config_selectorIdEEZNS1_21segmented_reduce_implIS3_PKdPdPKidN6hipcub16HIPCUB_304000_NS6detail27convert_result_type_wrapperIS8_S9_N2at6native12_GLOBAL__N_110CustomProdEEEEE10hipError_tPvRmT0_T1_jT2_SQ_T4_T3_P12ihipStream_tbEUlT_E_NS1_11comp_targetILNS1_3genE9ELNS1_11target_archE1100ELNS1_3gpuE3ELNS1_3repE0EEENS1_30default_config_static_selectorELNS0_4arch9wavefront6targetE0EEEvSP_.has_indirect_call, 0
	.section	.AMDGPU.csdata,"",@progbits
; Kernel info:
; codeLenInByte = 0
; TotalNumSgprs: 0
; NumVgprs: 0
; ScratchSize: 0
; MemoryBound: 0
; FloatMode: 240
; IeeeMode: 1
; LDSByteSize: 0 bytes/workgroup (compile time only)
; SGPRBlocks: 0
; VGPRBlocks: 0
; NumSGPRsForWavesPerEU: 1
; NumVGPRsForWavesPerEU: 1
; Occupancy: 16
; WaveLimiterHint : 0
; COMPUTE_PGM_RSRC2:SCRATCH_EN: 0
; COMPUTE_PGM_RSRC2:USER_SGPR: 6
; COMPUTE_PGM_RSRC2:TRAP_HANDLER: 0
; COMPUTE_PGM_RSRC2:TGID_X_EN: 1
; COMPUTE_PGM_RSRC2:TGID_Y_EN: 0
; COMPUTE_PGM_RSRC2:TGID_Z_EN: 0
; COMPUTE_PGM_RSRC2:TIDIG_COMP_CNT: 0
	.section	.text._ZN7rocprim17ROCPRIM_400000_NS6detail17trampoline_kernelINS0_14default_configENS1_32segmented_reduce_config_selectorIdEEZNS1_21segmented_reduce_implIS3_PKdPdPKidN6hipcub16HIPCUB_304000_NS6detail27convert_result_type_wrapperIS8_S9_N2at6native12_GLOBAL__N_110CustomProdEEEEE10hipError_tPvRmT0_T1_jT2_SQ_T4_T3_P12ihipStream_tbEUlT_E_NS1_11comp_targetILNS1_3genE8ELNS1_11target_archE1030ELNS1_3gpuE2ELNS1_3repE0EEENS1_30default_config_static_selectorELNS0_4arch9wavefront6targetE0EEEvSP_,"axG",@progbits,_ZN7rocprim17ROCPRIM_400000_NS6detail17trampoline_kernelINS0_14default_configENS1_32segmented_reduce_config_selectorIdEEZNS1_21segmented_reduce_implIS3_PKdPdPKidN6hipcub16HIPCUB_304000_NS6detail27convert_result_type_wrapperIS8_S9_N2at6native12_GLOBAL__N_110CustomProdEEEEE10hipError_tPvRmT0_T1_jT2_SQ_T4_T3_P12ihipStream_tbEUlT_E_NS1_11comp_targetILNS1_3genE8ELNS1_11target_archE1030ELNS1_3gpuE2ELNS1_3repE0EEENS1_30default_config_static_selectorELNS0_4arch9wavefront6targetE0EEEvSP_,comdat
	.globl	_ZN7rocprim17ROCPRIM_400000_NS6detail17trampoline_kernelINS0_14default_configENS1_32segmented_reduce_config_selectorIdEEZNS1_21segmented_reduce_implIS3_PKdPdPKidN6hipcub16HIPCUB_304000_NS6detail27convert_result_type_wrapperIS8_S9_N2at6native12_GLOBAL__N_110CustomProdEEEEE10hipError_tPvRmT0_T1_jT2_SQ_T4_T3_P12ihipStream_tbEUlT_E_NS1_11comp_targetILNS1_3genE8ELNS1_11target_archE1030ELNS1_3gpuE2ELNS1_3repE0EEENS1_30default_config_static_selectorELNS0_4arch9wavefront6targetE0EEEvSP_ ; -- Begin function _ZN7rocprim17ROCPRIM_400000_NS6detail17trampoline_kernelINS0_14default_configENS1_32segmented_reduce_config_selectorIdEEZNS1_21segmented_reduce_implIS3_PKdPdPKidN6hipcub16HIPCUB_304000_NS6detail27convert_result_type_wrapperIS8_S9_N2at6native12_GLOBAL__N_110CustomProdEEEEE10hipError_tPvRmT0_T1_jT2_SQ_T4_T3_P12ihipStream_tbEUlT_E_NS1_11comp_targetILNS1_3genE8ELNS1_11target_archE1030ELNS1_3gpuE2ELNS1_3repE0EEENS1_30default_config_static_selectorELNS0_4arch9wavefront6targetE0EEEvSP_
	.p2align	8
	.type	_ZN7rocprim17ROCPRIM_400000_NS6detail17trampoline_kernelINS0_14default_configENS1_32segmented_reduce_config_selectorIdEEZNS1_21segmented_reduce_implIS3_PKdPdPKidN6hipcub16HIPCUB_304000_NS6detail27convert_result_type_wrapperIS8_S9_N2at6native12_GLOBAL__N_110CustomProdEEEEE10hipError_tPvRmT0_T1_jT2_SQ_T4_T3_P12ihipStream_tbEUlT_E_NS1_11comp_targetILNS1_3genE8ELNS1_11target_archE1030ELNS1_3gpuE2ELNS1_3repE0EEENS1_30default_config_static_selectorELNS0_4arch9wavefront6targetE0EEEvSP_,@function
_ZN7rocprim17ROCPRIM_400000_NS6detail17trampoline_kernelINS0_14default_configENS1_32segmented_reduce_config_selectorIdEEZNS1_21segmented_reduce_implIS3_PKdPdPKidN6hipcub16HIPCUB_304000_NS6detail27convert_result_type_wrapperIS8_S9_N2at6native12_GLOBAL__N_110CustomProdEEEEE10hipError_tPvRmT0_T1_jT2_SQ_T4_T3_P12ihipStream_tbEUlT_E_NS1_11comp_targetILNS1_3genE8ELNS1_11target_archE1030ELNS1_3gpuE2ELNS1_3repE0EEENS1_30default_config_static_selectorELNS0_4arch9wavefront6targetE0EEEvSP_: ; @_ZN7rocprim17ROCPRIM_400000_NS6detail17trampoline_kernelINS0_14default_configENS1_32segmented_reduce_config_selectorIdEEZNS1_21segmented_reduce_implIS3_PKdPdPKidN6hipcub16HIPCUB_304000_NS6detail27convert_result_type_wrapperIS8_S9_N2at6native12_GLOBAL__N_110CustomProdEEEEE10hipError_tPvRmT0_T1_jT2_SQ_T4_T3_P12ihipStream_tbEUlT_E_NS1_11comp_targetILNS1_3genE8ELNS1_11target_archE1030ELNS1_3gpuE2ELNS1_3repE0EEENS1_30default_config_static_selectorELNS0_4arch9wavefront6targetE0EEEvSP_
; %bb.0:
	s_clause 0x2
	s_load_dwordx8 s[20:27], s[4:5], 0x0
	s_load_dwordx2 s[0:1], s[4:5], 0x20
	s_load_dwordx2 s[18:19], s[4:5], 0x30
	s_mov_b32 s7, 0
	v_cmp_eq_u32_e32 vcc_lo, 0, v0
	s_mov_b32 s17, s7
	s_waitcnt lgkmcnt(0)
	s_lshl_b64 s[2:3], s[24:25], 2
	s_add_u32 s4, s26, s2
	s_addc_u32 s5, s27, s3
	s_add_u32 s8, s0, s2
	s_addc_u32 s9, s1, s3
	s_lshl_b64 s[0:1], s[6:7], 2
	s_add_u32 s2, s4, s0
	s_addc_u32 s3, s5, s1
	s_add_u32 s0, s8, s0
	s_addc_u32 s1, s9, s1
	s_load_dword s26, s[2:3], 0x0
	s_load_dword s30, s[0:1], 0x0
	s_mov_b32 s0, -1
	s_waitcnt lgkmcnt(0)
	s_cmp_gt_i32 s30, s26
	s_cbranch_scc1 .LBB41_2
; %bb.1:
	s_mov_b32 s0, 0
	s_and_b32 s17, vcc_lo, exec_lo
.LBB41_2:
	s_andn2_b32 vcc_lo, exec_lo, s0
	s_cbranch_vccnz .LBB41_44
; %bb.3:
	s_add_i32 s0, s26, 0x1000
	s_cmp_le_i32 s0, s30
	s_cbranch_scc0 .LBB41_45
; %bb.4:
	s_ashr_i32 s27, s26, 31
	v_lshlrev_b32_e32 v35, 3, v0
	s_lshl_b64 s[2:3], s[26:27], 3
	s_add_u32 s2, s20, s2
	s_addc_u32 s3, s21, s3
	v_add_co_u32 v5, s1, s2, v35
	v_add_co_ci_u32_e64 v6, null, s3, 0, s1
	s_add_i32 s1, s26, 0x2000
	v_add_co_u32 v1, vcc_lo, v5, 0x1000
	v_add_co_ci_u32_e64 v2, null, 0, v6, vcc_lo
	s_cmp_ge_i32 s1, s30
	s_clause 0x2
	global_load_dwordx2 v[27:28], v35, s[2:3]
	global_load_dwordx2 v[31:32], v[1:2], off offset:-2048
	global_load_dwordx2 v[23:24], v[1:2], off
	v_add_co_u32 v1, vcc_lo, v5, 0x2000
	v_add_co_ci_u32_e64 v2, null, 0, v6, vcc_lo
	s_clause 0x1
	global_load_dwordx2 v[29:30], v[1:2], off offset:-2048
	global_load_dwordx2 v[19:20], v[1:2], off
	v_add_co_u32 v1, vcc_lo, v5, 0x3000
	v_add_co_ci_u32_e64 v2, null, 0, v6, vcc_lo
	s_clause 0x1
	;; [unrolled: 5-line block ×6, first 2 shown]
	global_load_dwordx2 v[9:10], v[1:2], off offset:-2048
	global_load_dwordx2 v[1:2], v[1:2], off
	v_add_co_u32 v5, vcc_lo, 0x7800, v5
	v_add_co_ci_u32_e64 v6, null, 0, v6, vcc_lo
	global_load_dwordx2 v[5:6], v[5:6], off
	s_waitcnt vmcnt(14)
	v_mul_f64 v[33:34], v[27:28], v[31:32]
	s_waitcnt vmcnt(13)
	v_mul_f64 v[33:34], v[33:34], v[23:24]
	;; [unrolled: 2-line block ×15, first 2 shown]
	s_cbranch_scc1 .LBB41_7
; %bb.5:
	v_add_co_u32 v36, s1, s20, v35
	v_add_co_ci_u32_e64 v37, null, s21, 0, s1
.LBB41_6:                               ; =>This Inner Loop Header: Depth=1
	s_ashr_i32 s1, s0, 31
	s_lshl_b64 s[2:3], s[0:1], 3
	s_add_i32 s1, s0, 0x2000
	v_add_co_u32 v5, vcc_lo, v36, s2
	v_add_co_ci_u32_e64 v6, null, s3, v37, vcc_lo
	s_addk_i32 s0, 0x1000
	v_add_co_u32 v1, vcc_lo, v5, 0x1000
	global_load_dwordx2 v[27:28], v[5:6], off
	v_add_co_ci_u32_e64 v2, null, 0, v6, vcc_lo
	s_cmp_lt_i32 s1, s30
	s_clause 0x1
	global_load_dwordx2 v[31:32], v[1:2], off offset:-2048
	global_load_dwordx2 v[23:24], v[1:2], off
	v_add_co_u32 v1, vcc_lo, v5, 0x2000
	v_add_co_ci_u32_e64 v2, null, 0, v6, vcc_lo
	s_clause 0x1
	global_load_dwordx2 v[29:30], v[1:2], off offset:-2048
	global_load_dwordx2 v[19:20], v[1:2], off
	v_add_co_u32 v1, vcc_lo, v5, 0x3000
	v_add_co_ci_u32_e64 v2, null, 0, v6, vcc_lo
	;; [unrolled: 5-line block ×7, first 2 shown]
	global_load_dwordx2 v[5:6], v[5:6], off
	s_waitcnt vmcnt(15)
	v_mul_f64 v[33:34], v[33:34], v[27:28]
	s_waitcnt vmcnt(14)
	v_mul_f64 v[33:34], v[33:34], v[31:32]
	;; [unrolled: 2-line block ×16, first 2 shown]
	s_cbranch_scc1 .LBB41_6
.LBB41_7:
	s_ashr_i32 s1, s0, 31
	s_sub_i32 s16, s30, s0
	s_lshl_b64 s[0:1], s[0:1], 3
	v_cmp_gt_u32_e32 vcc_lo, s16, v0
	s_add_u32 s28, s20, s0
	s_addc_u32 s29, s21, s1
	s_and_saveexec_b32 s0, vcc_lo
	s_cbranch_execz .LBB41_9
; %bb.8:
	global_load_dwordx2 v[27:28], v35, s[28:29]
.LBB41_9:
	s_or_b32 exec_lo, exec_lo, s0
	v_or_b32_e32 v35, 0x100, v0
	v_cmp_gt_u32_e64 s0, s16, v35
	s_and_saveexec_b32 s1, s0
	s_cbranch_execz .LBB41_11
; %bb.10:
	v_lshlrev_b32_e32 v31, 3, v35
	global_load_dwordx2 v[31:32], v31, s[28:29]
.LBB41_11:
	s_or_b32 exec_lo, exec_lo, s1
	v_or_b32_e32 v35, 0x200, v0
	v_cmp_gt_u32_e64 s1, s16, v35
	s_and_saveexec_b32 s2, s1
	s_cbranch_execz .LBB41_13
; %bb.12:
	v_lshlrev_b32_e32 v23, 3, v35
	global_load_dwordx2 v[23:24], v23, s[28:29]
.LBB41_13:
	;; [unrolled: 9-line block ×15, first 2 shown]
	s_or_b32 exec_lo, exec_lo, s27
	s_waitcnt vmcnt(0)
	v_mul_f64 v[27:28], v[33:34], v[27:28]
	v_cndmask_b32_e32 v28, v34, v28, vcc_lo
	v_cndmask_b32_e32 v27, v33, v27, vcc_lo
	v_mul_f64 v[31:32], v[31:32], v[27:28]
	v_cndmask_b32_e64 v28, v28, v32, s0
	v_cndmask_b32_e64 v27, v27, v31, s0
	s_mov_b32 s0, exec_lo
	v_mul_f64 v[23:24], v[23:24], v[27:28]
	v_cndmask_b32_e64 v24, v28, v24, s1
	v_cndmask_b32_e64 v23, v27, v23, s1
	v_mul_f64 v[27:28], v[29:30], v[23:24]
	v_cndmask_b32_e64 v24, v24, v28, s2
	v_cndmask_b32_e64 v23, v23, v27, s2
	;; [unrolled: 3-line block ×14, first 2 shown]
	v_mov_b32_dpp v3, v1 quad_perm:[1,0,3,2] row_mask:0xf bank_mask:0xf
	v_mov_b32_dpp v4, v2 quad_perm:[1,0,3,2] row_mask:0xf bank_mask:0xf
	v_mul_f64 v[1:2], v[1:2], v[3:4]
	v_mov_b32_dpp v3, v1 quad_perm:[2,3,0,1] row_mask:0xf bank_mask:0xf
	v_mov_b32_dpp v4, v2 quad_perm:[2,3,0,1] row_mask:0xf bank_mask:0xf
	v_mul_f64 v[1:2], v[1:2], v[3:4]
	v_mov_b32_dpp v3, v1 row_ror:4 row_mask:0xf bank_mask:0xf
	v_mov_b32_dpp v4, v2 row_ror:4 row_mask:0xf bank_mask:0xf
	v_mul_f64 v[1:2], v[1:2], v[3:4]
	v_mov_b32_dpp v3, v1 row_ror:8 row_mask:0xf bank_mask:0xf
	v_mov_b32_dpp v4, v2 row_ror:8 row_mask:0xf bank_mask:0xf
	v_mul_f64 v[1:2], v[1:2], v[3:4]
	ds_swizzle_b32 v3, v1 offset:swizzle(BROADCAST,32,15)
	ds_swizzle_b32 v4, v2 offset:swizzle(BROADCAST,32,15)
	s_waitcnt lgkmcnt(0)
	v_mul_f64 v[1:2], v[1:2], v[3:4]
	v_mov_b32_e32 v3, 0
	ds_bpermute_b32 v1, v3, v1 offset:124
	ds_bpermute_b32 v2, v3, v2 offset:124
	v_mbcnt_lo_u32_b32 v3, -1, 0
	v_cmpx_eq_u32_e32 0, v3
	s_cbranch_execz .LBB41_41
; %bb.40:
	v_lshrrev_b32_e32 v4, 2, v0
	v_and_b32_e32 v4, 56, v4
	s_waitcnt lgkmcnt(0)
	ds_write_b64 v4, v[1:2]
.LBB41_41:
	s_or_b32 exec_lo, exec_lo, s0
	s_mov_b32 s0, exec_lo
	s_waitcnt lgkmcnt(0)
	s_barrier
	buffer_gl0_inv
	v_cmpx_gt_u32_e32 32, v0
	s_cbranch_execz .LBB41_43
; %bb.42:
	v_and_b32_e32 v6, 7, v3
	v_lshlrev_b32_e32 v1, 3, v6
	v_cmp_ne_u32_e32 vcc_lo, 7, v6
	ds_read_b64 v[1:2], v1
	v_add_co_ci_u32_e64 v4, null, 0, v3, vcc_lo
	v_cmp_gt_u32_e32 vcc_lo, 6, v6
	v_lshlrev_b32_e32 v5, 2, v4
	s_waitcnt lgkmcnt(0)
	ds_bpermute_b32 v4, v5, v1
	ds_bpermute_b32 v5, v5, v2
	s_waitcnt lgkmcnt(0)
	v_mul_f64 v[1:2], v[1:2], v[4:5]
	v_cndmask_b32_e64 v4, 0, 2, vcc_lo
	v_add_lshl_u32 v5, v4, v3, 2
	v_lshlrev_b32_e32 v3, 2, v3
	ds_bpermute_b32 v4, v5, v1
	ds_bpermute_b32 v5, v5, v2
	s_waitcnt lgkmcnt(0)
	v_mul_f64 v[1:2], v[1:2], v[4:5]
	v_or_b32_e32 v4, 16, v3
	ds_bpermute_b32 v3, v4, v1
	ds_bpermute_b32 v4, v4, v2
	s_waitcnt lgkmcnt(0)
	v_mul_f64 v[1:2], v[1:2], v[3:4]
.LBB41_43:
	s_or_b32 exec_lo, exec_lo, s0
	s_branch .LBB41_80
.LBB41_44:
	v_mov_b32_e32 v3, s18
	v_mov_b32_e32 v4, s19
	s_and_saveexec_b32 s0, s17
	s_cbranch_execnz .LBB41_83
	s_branch .LBB41_84
.LBB41_45:
                                        ; implicit-def: $vgpr1_vgpr2
	s_cbranch_execz .LBB41_80
; %bb.46:
	s_sub_i32 s0, s30, s26
	s_mov_b32 s1, exec_lo
                                        ; implicit-def: $vgpr3_vgpr4
	v_cmpx_gt_u32_e64 s0, v0
	s_cbranch_execz .LBB41_52
; %bb.47:
	v_add_nc_u32_e32 v1, s26, v0
	s_mov_b32 s2, exec_lo
	v_ashrrev_i32_e32 v2, 31, v1
	v_lshlrev_b64 v[2:3], 3, v[1:2]
	v_add_nc_u32_e32 v1, 0x100, v1
	v_add_co_u32 v2, vcc_lo, s20, v2
	v_add_co_ci_u32_e64 v3, null, s21, v3, vcc_lo
	global_load_dwordx2 v[3:4], v[2:3], off
	v_cmpx_gt_i32_e64 s30, v1
	s_cbranch_execz .LBB41_51
; %bb.48:
	s_mov_b32 s3, 0
	.p2align	6
.LBB41_49:                              ; =>This Inner Loop Header: Depth=1
	v_ashrrev_i32_e32 v2, 31, v1
	v_lshlrev_b64 v[5:6], 3, v[1:2]
	v_add_nc_u32_e32 v1, 0x100, v1
	v_add_co_u32 v5, vcc_lo, s20, v5
	v_add_co_ci_u32_e64 v6, null, s21, v6, vcc_lo
	v_cmp_le_i32_e32 vcc_lo, s30, v1
	global_load_dwordx2 v[5:6], v[5:6], off
	s_or_b32 s3, vcc_lo, s3
	s_waitcnt vmcnt(0)
	v_mul_f64 v[3:4], v[3:4], v[5:6]
	s_andn2_b32 exec_lo, exec_lo, s3
	s_cbranch_execnz .LBB41_49
; %bb.50:
	s_or_b32 exec_lo, exec_lo, s3
.LBB41_51:
	s_or_b32 exec_lo, exec_lo, s2
.LBB41_52:
	s_or_b32 exec_lo, exec_lo, s1
	v_mbcnt_lo_u32_b32 v7, -1, 0
	s_cmpk_lt_u32 s0, 0x100
	s_cbranch_scc0 .LBB41_74
; %bb.53:
	v_cmp_ne_u32_e32 vcc_lo, 31, v7
	s_waitcnt vmcnt(0)
	v_mov_b32_e32 v10, v4
	v_mov_b32_e32 v11, v3
	v_add_co_ci_u32_e64 v1, null, 0, v7, vcc_lo
	v_lshlrev_b32_e32 v1, 2, v1
	ds_bpermute_b32 v5, v1, v3
	ds_bpermute_b32 v6, v1, v4
	v_and_b32_e32 v1, 0xe0, v0
	v_sub_nc_u32_e64 v8, s0, v1 clamp
	v_add_nc_u32_e32 v1, 1, v7
	v_cmp_lt_u32_e32 vcc_lo, v1, v8
	v_mov_b32_e32 v1, v3
	v_mov_b32_e32 v2, v4
	s_and_saveexec_b32 s1, vcc_lo
	s_cbranch_execz .LBB41_55
; %bb.54:
	s_waitcnt lgkmcnt(0)
	v_mul_f64 v[1:2], v[3:4], v[5:6]
	v_mov_b32_e32 v10, v2
	v_mov_b32_e32 v11, v1
.LBB41_55:
	s_or_b32 exec_lo, exec_lo, s1
	v_cmp_gt_u32_e32 vcc_lo, 30, v7
	v_add_nc_u32_e32 v9, 2, v7
	s_mov_b32 s1, exec_lo
	s_waitcnt lgkmcnt(1)
	v_cndmask_b32_e64 v5, 0, 2, vcc_lo
	s_waitcnt lgkmcnt(0)
	v_add_lshl_u32 v6, v5, v7, 2
	ds_bpermute_b32 v5, v6, v11
	ds_bpermute_b32 v6, v6, v10
	v_cmpx_lt_u32_e64 v9, v8
	s_cbranch_execz .LBB41_57
; %bb.56:
	s_waitcnt lgkmcnt(0)
	v_mul_f64 v[1:2], v[1:2], v[5:6]
	v_mov_b32_e32 v10, v2
	v_mov_b32_e32 v11, v1
.LBB41_57:
	s_or_b32 exec_lo, exec_lo, s1
	v_cmp_gt_u32_e32 vcc_lo, 28, v7
	v_add_nc_u32_e32 v9, 4, v7
	s_mov_b32 s1, exec_lo
	s_waitcnt lgkmcnt(1)
	v_cndmask_b32_e64 v5, 0, 4, vcc_lo
	s_waitcnt lgkmcnt(0)
	v_add_lshl_u32 v6, v5, v7, 2
	ds_bpermute_b32 v5, v6, v11
	ds_bpermute_b32 v6, v6, v10
	v_cmpx_lt_u32_e64 v9, v8
	;; [unrolled: 18-line block ×3, first 2 shown]
	s_cbranch_execz .LBB41_61
; %bb.60:
	s_waitcnt lgkmcnt(0)
	v_mul_f64 v[1:2], v[1:2], v[5:6]
	v_mov_b32_e32 v10, v2
	v_mov_b32_e32 v11, v1
.LBB41_61:
	s_or_b32 exec_lo, exec_lo, s1
	v_lshlrev_b32_e32 v9, 2, v7
	s_mov_b32 s1, exec_lo
	s_waitcnt lgkmcnt(0)
	v_or_b32_e32 v6, 64, v9
	ds_bpermute_b32 v5, v6, v11
	ds_bpermute_b32 v6, v6, v10
	v_add_nc_u32_e32 v10, 16, v7
	v_cmpx_lt_u32_e64 v10, v8
	s_cbranch_execz .LBB41_63
; %bb.62:
	s_waitcnt lgkmcnt(0)
	v_mul_f64 v[1:2], v[1:2], v[5:6]
.LBB41_63:
	s_or_b32 exec_lo, exec_lo, s1
	s_mov_b32 s1, exec_lo
	v_cmpx_eq_u32_e32 0, v7
	s_cbranch_execz .LBB41_65
; %bb.64:
	s_waitcnt lgkmcnt(1)
	v_lshrrev_b32_e32 v5, 2, v0
	v_and_b32_e32 v5, 56, v5
	ds_write_b64 v5, v[1:2]
.LBB41_65:
	s_or_b32 exec_lo, exec_lo, s1
	s_mov_b32 s1, exec_lo
	s_waitcnt lgkmcnt(0)
	s_barrier
	buffer_gl0_inv
	v_cmpx_gt_u32_e32 8, v0
	s_cbranch_execz .LBB41_73
; %bb.66:
	v_lshlrev_b32_e32 v1, 3, v7
	v_and_b32_e32 v8, 7, v7
	s_add_i32 s0, s0, 31
	s_mov_b32 s2, exec_lo
	s_lshr_b32 s0, s0, 5
	ds_read_b64 v[1:2], v1
	v_cmp_ne_u32_e32 vcc_lo, 7, v8
	v_add_nc_u32_e32 v10, 1, v8
	v_add_co_ci_u32_e64 v5, null, 0, v7, vcc_lo
	v_lshlrev_b32_e32 v6, 2, v5
	s_waitcnt lgkmcnt(0)
	ds_bpermute_b32 v5, v6, v1
	ds_bpermute_b32 v6, v6, v2
	v_cmpx_gt_u32_e64 s0, v10
	s_cbranch_execz .LBB41_68
; %bb.67:
	s_waitcnt lgkmcnt(0)
	v_mul_f64 v[1:2], v[1:2], v[5:6]
.LBB41_68:
	s_or_b32 exec_lo, exec_lo, s2
	v_cmp_gt_u32_e32 vcc_lo, 6, v8
	v_add_nc_u32_e32 v10, 2, v8
	s_mov_b32 s2, exec_lo
	s_waitcnt lgkmcnt(1)
	v_cndmask_b32_e64 v5, 0, 2, vcc_lo
	s_waitcnt lgkmcnt(0)
	v_add_lshl_u32 v6, v5, v7, 2
	ds_bpermute_b32 v5, v6, v1
	ds_bpermute_b32 v6, v6, v2
	v_cmpx_gt_u32_e64 s0, v10
	s_cbranch_execz .LBB41_70
; %bb.69:
	s_waitcnt lgkmcnt(0)
	v_mul_f64 v[1:2], v[1:2], v[5:6]
.LBB41_70:
	s_or_b32 exec_lo, exec_lo, s2
	s_waitcnt lgkmcnt(0)
	v_or_b32_e32 v6, 16, v9
	v_add_nc_u32_e32 v8, 4, v8
	ds_bpermute_b32 v5, v6, v1
	ds_bpermute_b32 v6, v6, v2
	v_cmp_gt_u32_e32 vcc_lo, s0, v8
	s_and_saveexec_b32 s0, vcc_lo
	s_cbranch_execz .LBB41_72
; %bb.71:
	s_waitcnt lgkmcnt(0)
	v_mul_f64 v[1:2], v[1:2], v[5:6]
.LBB41_72:
	s_or_b32 exec_lo, exec_lo, s0
.LBB41_73:
	s_or_b32 exec_lo, exec_lo, s1
	s_branch .LBB41_80
.LBB41_74:
                                        ; implicit-def: $vgpr1_vgpr2
	s_cbranch_execz .LBB41_80
; %bb.75:
	s_waitcnt vmcnt(0)
	v_mov_b32_dpp v1, v3 quad_perm:[1,0,3,2] row_mask:0xf bank_mask:0xf
	v_mov_b32_dpp v2, v4 quad_perm:[1,0,3,2] row_mask:0xf bank_mask:0xf
	s_mov_b32 s0, exec_lo
	v_mul_f64 v[1:2], v[3:4], v[1:2]
	v_mov_b32_dpp v3, v1 quad_perm:[2,3,0,1] row_mask:0xf bank_mask:0xf
	v_mov_b32_dpp v4, v2 quad_perm:[2,3,0,1] row_mask:0xf bank_mask:0xf
	v_mul_f64 v[1:2], v[1:2], v[3:4]
	v_mov_b32_dpp v3, v1 row_ror:4 row_mask:0xf bank_mask:0xf
	v_mov_b32_dpp v4, v2 row_ror:4 row_mask:0xf bank_mask:0xf
	v_mul_f64 v[1:2], v[1:2], v[3:4]
	v_mov_b32_dpp v3, v1 row_ror:8 row_mask:0xf bank_mask:0xf
	v_mov_b32_dpp v4, v2 row_ror:8 row_mask:0xf bank_mask:0xf
	v_mul_f64 v[1:2], v[1:2], v[3:4]
	ds_swizzle_b32 v3, v1 offset:swizzle(BROADCAST,32,15)
	ds_swizzle_b32 v4, v2 offset:swizzle(BROADCAST,32,15)
	s_waitcnt lgkmcnt(0)
	v_mul_f64 v[1:2], v[1:2], v[3:4]
	v_mov_b32_e32 v3, 0
	ds_bpermute_b32 v1, v3, v1 offset:124
	ds_bpermute_b32 v2, v3, v2 offset:124
	v_cmpx_eq_u32_e32 0, v7
	s_cbranch_execz .LBB41_77
; %bb.76:
	v_lshrrev_b32_e32 v3, 2, v0
	v_and_b32_e32 v3, 56, v3
	s_waitcnt lgkmcnt(0)
	ds_write_b64 v3, v[1:2]
.LBB41_77:
	s_or_b32 exec_lo, exec_lo, s0
	s_mov_b32 s0, exec_lo
	s_waitcnt lgkmcnt(0)
	s_barrier
	buffer_gl0_inv
	v_cmpx_gt_u32_e32 32, v0
	s_cbranch_execz .LBB41_79
; %bb.78:
	v_and_b32_e32 v5, 7, v7
	v_lshlrev_b32_e32 v1, 3, v5
	v_cmp_ne_u32_e32 vcc_lo, 7, v5
	ds_read_b64 v[1:2], v1
	v_add_co_ci_u32_e64 v3, null, 0, v7, vcc_lo
	v_cmp_gt_u32_e32 vcc_lo, 6, v5
	v_lshlrev_b32_e32 v4, 2, v3
	s_waitcnt lgkmcnt(0)
	ds_bpermute_b32 v3, v4, v1
	ds_bpermute_b32 v4, v4, v2
	s_waitcnt lgkmcnt(0)
	v_mul_f64 v[1:2], v[1:2], v[3:4]
	v_cndmask_b32_e64 v3, 0, 2, vcc_lo
	v_add_lshl_u32 v4, v3, v7, 2
	ds_bpermute_b32 v3, v4, v1
	ds_bpermute_b32 v4, v4, v2
	s_waitcnt lgkmcnt(0)
	v_mul_f64 v[1:2], v[1:2], v[3:4]
	v_lshlrev_b32_e32 v3, 2, v7
	v_or_b32_e32 v4, 16, v3
	ds_bpermute_b32 v3, v4, v1
	ds_bpermute_b32 v4, v4, v2
	s_waitcnt lgkmcnt(0)
	v_mul_f64 v[1:2], v[1:2], v[3:4]
.LBB41_79:
	s_or_b32 exec_lo, exec_lo, s0
.LBB41_80:
	s_mov_b32 s0, exec_lo
                                        ; implicit-def: $vgpr3_vgpr4
	v_cmpx_eq_u32_e32 0, v0
	s_cbranch_execz .LBB41_82
; %bb.81:
	s_waitcnt vmcnt(0)
	v_mul_f64 v[3:4], s[18:19], v[1:2]
	s_or_b32 s17, s17, exec_lo
.LBB41_82:
	s_or_b32 exec_lo, exec_lo, s0
	s_and_saveexec_b32 s0, s17
	s_cbranch_execz .LBB41_84
.LBB41_83:
	s_lshl_b64 s[0:1], s[24:25], 3
	v_mov_b32_e32 v0, 0
	s_add_u32 s2, s22, s0
	s_addc_u32 s3, s23, s1
	s_lshl_b64 s[0:1], s[6:7], 3
	s_add_u32 s0, s2, s0
	s_addc_u32 s1, s3, s1
	s_waitcnt vmcnt(0)
	global_store_dwordx2 v0, v[3:4], s[0:1]
.LBB41_84:
	s_endpgm
	.section	.rodata,"a",@progbits
	.p2align	6, 0x0
	.amdhsa_kernel _ZN7rocprim17ROCPRIM_400000_NS6detail17trampoline_kernelINS0_14default_configENS1_32segmented_reduce_config_selectorIdEEZNS1_21segmented_reduce_implIS3_PKdPdPKidN6hipcub16HIPCUB_304000_NS6detail27convert_result_type_wrapperIS8_S9_N2at6native12_GLOBAL__N_110CustomProdEEEEE10hipError_tPvRmT0_T1_jT2_SQ_T4_T3_P12ihipStream_tbEUlT_E_NS1_11comp_targetILNS1_3genE8ELNS1_11target_archE1030ELNS1_3gpuE2ELNS1_3repE0EEENS1_30default_config_static_selectorELNS0_4arch9wavefront6targetE0EEEvSP_
		.amdhsa_group_segment_fixed_size 64
		.amdhsa_private_segment_fixed_size 0
		.amdhsa_kernarg_size 56
		.amdhsa_user_sgpr_count 6
		.amdhsa_user_sgpr_private_segment_buffer 1
		.amdhsa_user_sgpr_dispatch_ptr 0
		.amdhsa_user_sgpr_queue_ptr 0
		.amdhsa_user_sgpr_kernarg_segment_ptr 1
		.amdhsa_user_sgpr_dispatch_id 0
		.amdhsa_user_sgpr_flat_scratch_init 0
		.amdhsa_user_sgpr_private_segment_size 0
		.amdhsa_wavefront_size32 1
		.amdhsa_uses_dynamic_stack 0
		.amdhsa_system_sgpr_private_segment_wavefront_offset 0
		.amdhsa_system_sgpr_workgroup_id_x 1
		.amdhsa_system_sgpr_workgroup_id_y 0
		.amdhsa_system_sgpr_workgroup_id_z 0
		.amdhsa_system_sgpr_workgroup_info 0
		.amdhsa_system_vgpr_workitem_id 0
		.amdhsa_next_free_vgpr 38
		.amdhsa_next_free_sgpr 31
		.amdhsa_reserve_vcc 1
		.amdhsa_reserve_flat_scratch 0
		.amdhsa_float_round_mode_32 0
		.amdhsa_float_round_mode_16_64 0
		.amdhsa_float_denorm_mode_32 3
		.amdhsa_float_denorm_mode_16_64 3
		.amdhsa_dx10_clamp 1
		.amdhsa_ieee_mode 1
		.amdhsa_fp16_overflow 0
		.amdhsa_workgroup_processor_mode 1
		.amdhsa_memory_ordered 1
		.amdhsa_forward_progress 1
		.amdhsa_shared_vgpr_count 0
		.amdhsa_exception_fp_ieee_invalid_op 0
		.amdhsa_exception_fp_denorm_src 0
		.amdhsa_exception_fp_ieee_div_zero 0
		.amdhsa_exception_fp_ieee_overflow 0
		.amdhsa_exception_fp_ieee_underflow 0
		.amdhsa_exception_fp_ieee_inexact 0
		.amdhsa_exception_int_div_zero 0
	.end_amdhsa_kernel
	.section	.text._ZN7rocprim17ROCPRIM_400000_NS6detail17trampoline_kernelINS0_14default_configENS1_32segmented_reduce_config_selectorIdEEZNS1_21segmented_reduce_implIS3_PKdPdPKidN6hipcub16HIPCUB_304000_NS6detail27convert_result_type_wrapperIS8_S9_N2at6native12_GLOBAL__N_110CustomProdEEEEE10hipError_tPvRmT0_T1_jT2_SQ_T4_T3_P12ihipStream_tbEUlT_E_NS1_11comp_targetILNS1_3genE8ELNS1_11target_archE1030ELNS1_3gpuE2ELNS1_3repE0EEENS1_30default_config_static_selectorELNS0_4arch9wavefront6targetE0EEEvSP_,"axG",@progbits,_ZN7rocprim17ROCPRIM_400000_NS6detail17trampoline_kernelINS0_14default_configENS1_32segmented_reduce_config_selectorIdEEZNS1_21segmented_reduce_implIS3_PKdPdPKidN6hipcub16HIPCUB_304000_NS6detail27convert_result_type_wrapperIS8_S9_N2at6native12_GLOBAL__N_110CustomProdEEEEE10hipError_tPvRmT0_T1_jT2_SQ_T4_T3_P12ihipStream_tbEUlT_E_NS1_11comp_targetILNS1_3genE8ELNS1_11target_archE1030ELNS1_3gpuE2ELNS1_3repE0EEENS1_30default_config_static_selectorELNS0_4arch9wavefront6targetE0EEEvSP_,comdat
.Lfunc_end41:
	.size	_ZN7rocprim17ROCPRIM_400000_NS6detail17trampoline_kernelINS0_14default_configENS1_32segmented_reduce_config_selectorIdEEZNS1_21segmented_reduce_implIS3_PKdPdPKidN6hipcub16HIPCUB_304000_NS6detail27convert_result_type_wrapperIS8_S9_N2at6native12_GLOBAL__N_110CustomProdEEEEE10hipError_tPvRmT0_T1_jT2_SQ_T4_T3_P12ihipStream_tbEUlT_E_NS1_11comp_targetILNS1_3genE8ELNS1_11target_archE1030ELNS1_3gpuE2ELNS1_3repE0EEENS1_30default_config_static_selectorELNS0_4arch9wavefront6targetE0EEEvSP_, .Lfunc_end41-_ZN7rocprim17ROCPRIM_400000_NS6detail17trampoline_kernelINS0_14default_configENS1_32segmented_reduce_config_selectorIdEEZNS1_21segmented_reduce_implIS3_PKdPdPKidN6hipcub16HIPCUB_304000_NS6detail27convert_result_type_wrapperIS8_S9_N2at6native12_GLOBAL__N_110CustomProdEEEEE10hipError_tPvRmT0_T1_jT2_SQ_T4_T3_P12ihipStream_tbEUlT_E_NS1_11comp_targetILNS1_3genE8ELNS1_11target_archE1030ELNS1_3gpuE2ELNS1_3repE0EEENS1_30default_config_static_selectorELNS0_4arch9wavefront6targetE0EEEvSP_
                                        ; -- End function
	.set _ZN7rocprim17ROCPRIM_400000_NS6detail17trampoline_kernelINS0_14default_configENS1_32segmented_reduce_config_selectorIdEEZNS1_21segmented_reduce_implIS3_PKdPdPKidN6hipcub16HIPCUB_304000_NS6detail27convert_result_type_wrapperIS8_S9_N2at6native12_GLOBAL__N_110CustomProdEEEEE10hipError_tPvRmT0_T1_jT2_SQ_T4_T3_P12ihipStream_tbEUlT_E_NS1_11comp_targetILNS1_3genE8ELNS1_11target_archE1030ELNS1_3gpuE2ELNS1_3repE0EEENS1_30default_config_static_selectorELNS0_4arch9wavefront6targetE0EEEvSP_.num_vgpr, 38
	.set _ZN7rocprim17ROCPRIM_400000_NS6detail17trampoline_kernelINS0_14default_configENS1_32segmented_reduce_config_selectorIdEEZNS1_21segmented_reduce_implIS3_PKdPdPKidN6hipcub16HIPCUB_304000_NS6detail27convert_result_type_wrapperIS8_S9_N2at6native12_GLOBAL__N_110CustomProdEEEEE10hipError_tPvRmT0_T1_jT2_SQ_T4_T3_P12ihipStream_tbEUlT_E_NS1_11comp_targetILNS1_3genE8ELNS1_11target_archE1030ELNS1_3gpuE2ELNS1_3repE0EEENS1_30default_config_static_selectorELNS0_4arch9wavefront6targetE0EEEvSP_.num_agpr, 0
	.set _ZN7rocprim17ROCPRIM_400000_NS6detail17trampoline_kernelINS0_14default_configENS1_32segmented_reduce_config_selectorIdEEZNS1_21segmented_reduce_implIS3_PKdPdPKidN6hipcub16HIPCUB_304000_NS6detail27convert_result_type_wrapperIS8_S9_N2at6native12_GLOBAL__N_110CustomProdEEEEE10hipError_tPvRmT0_T1_jT2_SQ_T4_T3_P12ihipStream_tbEUlT_E_NS1_11comp_targetILNS1_3genE8ELNS1_11target_archE1030ELNS1_3gpuE2ELNS1_3repE0EEENS1_30default_config_static_selectorELNS0_4arch9wavefront6targetE0EEEvSP_.numbered_sgpr, 31
	.set _ZN7rocprim17ROCPRIM_400000_NS6detail17trampoline_kernelINS0_14default_configENS1_32segmented_reduce_config_selectorIdEEZNS1_21segmented_reduce_implIS3_PKdPdPKidN6hipcub16HIPCUB_304000_NS6detail27convert_result_type_wrapperIS8_S9_N2at6native12_GLOBAL__N_110CustomProdEEEEE10hipError_tPvRmT0_T1_jT2_SQ_T4_T3_P12ihipStream_tbEUlT_E_NS1_11comp_targetILNS1_3genE8ELNS1_11target_archE1030ELNS1_3gpuE2ELNS1_3repE0EEENS1_30default_config_static_selectorELNS0_4arch9wavefront6targetE0EEEvSP_.num_named_barrier, 0
	.set _ZN7rocprim17ROCPRIM_400000_NS6detail17trampoline_kernelINS0_14default_configENS1_32segmented_reduce_config_selectorIdEEZNS1_21segmented_reduce_implIS3_PKdPdPKidN6hipcub16HIPCUB_304000_NS6detail27convert_result_type_wrapperIS8_S9_N2at6native12_GLOBAL__N_110CustomProdEEEEE10hipError_tPvRmT0_T1_jT2_SQ_T4_T3_P12ihipStream_tbEUlT_E_NS1_11comp_targetILNS1_3genE8ELNS1_11target_archE1030ELNS1_3gpuE2ELNS1_3repE0EEENS1_30default_config_static_selectorELNS0_4arch9wavefront6targetE0EEEvSP_.private_seg_size, 0
	.set _ZN7rocprim17ROCPRIM_400000_NS6detail17trampoline_kernelINS0_14default_configENS1_32segmented_reduce_config_selectorIdEEZNS1_21segmented_reduce_implIS3_PKdPdPKidN6hipcub16HIPCUB_304000_NS6detail27convert_result_type_wrapperIS8_S9_N2at6native12_GLOBAL__N_110CustomProdEEEEE10hipError_tPvRmT0_T1_jT2_SQ_T4_T3_P12ihipStream_tbEUlT_E_NS1_11comp_targetILNS1_3genE8ELNS1_11target_archE1030ELNS1_3gpuE2ELNS1_3repE0EEENS1_30default_config_static_selectorELNS0_4arch9wavefront6targetE0EEEvSP_.uses_vcc, 1
	.set _ZN7rocprim17ROCPRIM_400000_NS6detail17trampoline_kernelINS0_14default_configENS1_32segmented_reduce_config_selectorIdEEZNS1_21segmented_reduce_implIS3_PKdPdPKidN6hipcub16HIPCUB_304000_NS6detail27convert_result_type_wrapperIS8_S9_N2at6native12_GLOBAL__N_110CustomProdEEEEE10hipError_tPvRmT0_T1_jT2_SQ_T4_T3_P12ihipStream_tbEUlT_E_NS1_11comp_targetILNS1_3genE8ELNS1_11target_archE1030ELNS1_3gpuE2ELNS1_3repE0EEENS1_30default_config_static_selectorELNS0_4arch9wavefront6targetE0EEEvSP_.uses_flat_scratch, 0
	.set _ZN7rocprim17ROCPRIM_400000_NS6detail17trampoline_kernelINS0_14default_configENS1_32segmented_reduce_config_selectorIdEEZNS1_21segmented_reduce_implIS3_PKdPdPKidN6hipcub16HIPCUB_304000_NS6detail27convert_result_type_wrapperIS8_S9_N2at6native12_GLOBAL__N_110CustomProdEEEEE10hipError_tPvRmT0_T1_jT2_SQ_T4_T3_P12ihipStream_tbEUlT_E_NS1_11comp_targetILNS1_3genE8ELNS1_11target_archE1030ELNS1_3gpuE2ELNS1_3repE0EEENS1_30default_config_static_selectorELNS0_4arch9wavefront6targetE0EEEvSP_.has_dyn_sized_stack, 0
	.set _ZN7rocprim17ROCPRIM_400000_NS6detail17trampoline_kernelINS0_14default_configENS1_32segmented_reduce_config_selectorIdEEZNS1_21segmented_reduce_implIS3_PKdPdPKidN6hipcub16HIPCUB_304000_NS6detail27convert_result_type_wrapperIS8_S9_N2at6native12_GLOBAL__N_110CustomProdEEEEE10hipError_tPvRmT0_T1_jT2_SQ_T4_T3_P12ihipStream_tbEUlT_E_NS1_11comp_targetILNS1_3genE8ELNS1_11target_archE1030ELNS1_3gpuE2ELNS1_3repE0EEENS1_30default_config_static_selectorELNS0_4arch9wavefront6targetE0EEEvSP_.has_recursion, 0
	.set _ZN7rocprim17ROCPRIM_400000_NS6detail17trampoline_kernelINS0_14default_configENS1_32segmented_reduce_config_selectorIdEEZNS1_21segmented_reduce_implIS3_PKdPdPKidN6hipcub16HIPCUB_304000_NS6detail27convert_result_type_wrapperIS8_S9_N2at6native12_GLOBAL__N_110CustomProdEEEEE10hipError_tPvRmT0_T1_jT2_SQ_T4_T3_P12ihipStream_tbEUlT_E_NS1_11comp_targetILNS1_3genE8ELNS1_11target_archE1030ELNS1_3gpuE2ELNS1_3repE0EEENS1_30default_config_static_selectorELNS0_4arch9wavefront6targetE0EEEvSP_.has_indirect_call, 0
	.section	.AMDGPU.csdata,"",@progbits
; Kernel info:
; codeLenInByte = 4108
; TotalNumSgprs: 33
; NumVgprs: 38
; ScratchSize: 0
; MemoryBound: 0
; FloatMode: 240
; IeeeMode: 1
; LDSByteSize: 64 bytes/workgroup (compile time only)
; SGPRBlocks: 0
; VGPRBlocks: 4
; NumSGPRsForWavesPerEU: 33
; NumVGPRsForWavesPerEU: 38
; Occupancy: 16
; WaveLimiterHint : 1
; COMPUTE_PGM_RSRC2:SCRATCH_EN: 0
; COMPUTE_PGM_RSRC2:USER_SGPR: 6
; COMPUTE_PGM_RSRC2:TRAP_HANDLER: 0
; COMPUTE_PGM_RSRC2:TGID_X_EN: 1
; COMPUTE_PGM_RSRC2:TGID_Y_EN: 0
; COMPUTE_PGM_RSRC2:TGID_Z_EN: 0
; COMPUTE_PGM_RSRC2:TIDIG_COMP_CNT: 0
	.section	.text._ZN2at6native12_GLOBAL__N_129segment_reduce_forward_kernelIfiEEvNS0_13ReductionTypeEPT_PKS4_PKT0_SA_llbS4_lllllll,"axG",@progbits,_ZN2at6native12_GLOBAL__N_129segment_reduce_forward_kernelIfiEEvNS0_13ReductionTypeEPT_PKS4_PKT0_SA_llbS4_lllllll,comdat
	.globl	_ZN2at6native12_GLOBAL__N_129segment_reduce_forward_kernelIfiEEvNS0_13ReductionTypeEPT_PKS4_PKT0_SA_llbS4_lllllll ; -- Begin function _ZN2at6native12_GLOBAL__N_129segment_reduce_forward_kernelIfiEEvNS0_13ReductionTypeEPT_PKS4_PKT0_SA_llbS4_lllllll
	.p2align	8
	.type	_ZN2at6native12_GLOBAL__N_129segment_reduce_forward_kernelIfiEEvNS0_13ReductionTypeEPT_PKS4_PKT0_SA_llbS4_lllllll,@function
_ZN2at6native12_GLOBAL__N_129segment_reduce_forward_kernelIfiEEvNS0_13ReductionTypeEPT_PKS4_PKT0_SA_llbS4_lllllll: ; @_ZN2at6native12_GLOBAL__N_129segment_reduce_forward_kernelIfiEEvNS0_13ReductionTypeEPT_PKS4_PKT0_SA_llbS4_lllllll
; %bb.0:
	s_clause 0x2
	s_load_dwordx4 s[36:39], s[4:5], 0x28
	s_load_dword s0, s[4:5], 0x84
	s_load_dwordx8 s[16:23], s[4:5], 0x40
	v_mov_b32_e32 v2, 0
	v_mov_b32_e32 v1, v2
	s_waitcnt lgkmcnt(0)
	s_and_b32 s0, s0, 0xffff
	s_mul_i32 s1, s16, s37
	s_mul_hi_u32 s2, s16, s36
	s_mul_i32 s3, s17, s36
	s_mul_i32 s7, s16, s36
	v_mad_u64_u32 v[0:1], null, s0, s6, v[0:1]
	s_add_i32 s0, s2, s1
	s_mul_i32 s1, s7, s19
	s_mul_hi_u32 s2, s7, s18
	s_add_i32 s0, s0, s3
	s_add_i32 s1, s2, s1
	s_mul_i32 s0, s0, s18
	s_add_i32 s1, s1, s0
	s_mul_i32 s0, s7, s18
	v_cmp_gt_i64_e32 vcc_lo, s[0:1], v[0:1]
	s_and_saveexec_b32 s0, vcc_lo
	s_cbranch_execz .LBB42_35
; %bb.1:
	v_or_b32_e32 v3, s19, v1
                                        ; implicit-def: $vgpr4_vgpr5
	s_mov_b32 s0, exec_lo
	v_cmpx_ne_u64_e32 0, v[2:3]
	s_xor_b32 s1, exec_lo, s0
	s_cbranch_execz .LBB42_3
; %bb.2:
	s_ashr_i32 s2, s19, 31
	v_ashrrev_i32_e32 v8, 31, v1
	s_add_u32 s6, s18, s2
	s_mov_b32 s3, s2
	s_addc_u32 s7, s19, s2
	s_xor_b64 s[6:7], s[6:7], s[2:3]
	v_add_co_u32 v4, vcc_lo, v0, v8
	v_cvt_f32_u32_e32 v2, s6
	v_cvt_f32_u32_e32 v3, s7
	s_sub_u32 s8, 0, s6
	s_subb_u32 s9, 0, s7
	v_add_co_ci_u32_e64 v5, null, v1, v8, vcc_lo
	v_fmamk_f32 v2, v3, 0x4f800000, v2
	v_xor_b32_e32 v9, v4, v8
	v_xor_b32_e32 v10, v5, v8
	v_rcp_f32_e32 v2, v2
	v_mul_f32_e32 v2, 0x5f7ffffc, v2
	v_mul_f32_e32 v3, 0x2f800000, v2
	v_trunc_f32_e32 v3, v3
	v_fmamk_f32 v2, v3, 0xcf800000, v2
	v_cvt_u32_f32_e32 v3, v3
	v_cvt_u32_f32_e32 v2, v2
	v_readfirstlane_b32 s0, v3
	v_readfirstlane_b32 s3, v2
	s_mul_i32 s10, s8, s0
	s_mul_hi_u32 s12, s8, s3
	s_mul_i32 s11, s9, s3
	s_add_i32 s10, s12, s10
	s_mul_i32 s13, s8, s3
	s_add_i32 s10, s10, s11
	s_mul_hi_u32 s12, s3, s13
	s_mul_i32 s15, s3, s10
	s_mul_hi_u32 s14, s0, s13
	s_mul_i32 s11, s0, s13
	s_mul_hi_u32 s13, s3, s10
	s_add_u32 s12, s12, s15
	s_addc_u32 s13, 0, s13
	s_mul_hi_u32 s16, s0, s10
	s_add_u32 s11, s12, s11
	s_mul_i32 s10, s0, s10
	s_addc_u32 s11, s13, s14
	s_addc_u32 s12, s16, 0
	s_add_u32 s10, s11, s10
	s_addc_u32 s11, 0, s12
	s_add_u32 s3, s3, s10
	s_cselect_b32 s10, -1, 0
	s_mul_hi_u32 s12, s8, s3
	s_cmp_lg_u32 s10, 0
	s_mul_i32 s10, s8, s3
	s_addc_u32 s0, s0, s11
	s_mul_i32 s9, s9, s3
	s_mul_i32 s8, s8, s0
	s_mul_hi_u32 s11, s3, s10
	s_add_i32 s8, s12, s8
	s_mul_hi_u32 s12, s0, s10
	s_add_i32 s8, s8, s9
	s_mul_i32 s9, s0, s10
	s_mul_i32 s14, s3, s8
	s_mul_hi_u32 s13, s3, s8
	s_add_u32 s11, s11, s14
	s_addc_u32 s13, 0, s13
	s_mul_hi_u32 s10, s0, s8
	s_add_u32 s9, s11, s9
	s_mul_i32 s8, s0, s8
	s_addc_u32 s9, s13, s12
	s_addc_u32 s10, s10, 0
	s_add_u32 s8, s9, s8
	s_addc_u32 s9, 0, s10
	s_add_u32 s3, s3, s8
	s_cselect_b32 s8, -1, 0
	v_mul_hi_u32 v11, v9, s3
	s_cmp_lg_u32 s8, 0
	v_mad_u64_u32 v[4:5], null, v10, s3, 0
	s_addc_u32 s0, s0, s9
	v_mad_u64_u32 v[2:3], null, v9, s0, 0
	v_mad_u64_u32 v[6:7], null, v10, s0, 0
	v_add_co_u32 v2, vcc_lo, v11, v2
	v_add_co_ci_u32_e64 v3, null, 0, v3, vcc_lo
	v_add_co_u32 v2, vcc_lo, v2, v4
	v_add_co_ci_u32_e32 v2, vcc_lo, v3, v5, vcc_lo
	v_add_co_ci_u32_e32 v3, vcc_lo, 0, v7, vcc_lo
	v_add_co_u32 v4, vcc_lo, v2, v6
	v_add_co_ci_u32_e64 v5, null, 0, v3, vcc_lo
	v_mul_lo_u32 v6, s7, v4
	v_mad_u64_u32 v[2:3], null, s6, v4, 0
	v_mul_lo_u32 v7, s6, v5
	v_sub_co_u32 v2, vcc_lo, v9, v2
	v_add3_u32 v3, v3, v7, v6
	v_add_co_u32 v7, s0, v4, 2
	v_add_co_ci_u32_e64 v9, null, 0, v5, s0
	v_sub_nc_u32_e32 v6, v10, v3
	v_sub_co_u32 v11, s0, v2, s6
	v_sub_co_ci_u32_e64 v3, null, v10, v3, vcc_lo
	v_subrev_co_ci_u32_e64 v6, null, s7, v6, vcc_lo
	v_cmp_le_u32_e32 vcc_lo, s6, v11
	v_subrev_co_ci_u32_e64 v6, null, 0, v6, s0
	v_cndmask_b32_e64 v10, 0, -1, vcc_lo
	v_cmp_le_u32_e32 vcc_lo, s7, v6
	v_cndmask_b32_e64 v11, 0, -1, vcc_lo
	v_cmp_le_u32_e32 vcc_lo, s6, v2
	;; [unrolled: 2-line block ×3, first 2 shown]
	v_cndmask_b32_e64 v12, 0, -1, vcc_lo
	v_cmp_eq_u32_e32 vcc_lo, s7, v6
	v_cndmask_b32_e32 v6, v11, v10, vcc_lo
	v_add_co_u32 v10, vcc_lo, v4, 1
	v_add_co_ci_u32_e64 v11, null, 0, v5, vcc_lo
	v_cmp_eq_u32_e32 vcc_lo, s7, v3
	v_cndmask_b32_e32 v2, v12, v2, vcc_lo
	v_cmp_ne_u32_e32 vcc_lo, 0, v6
	v_xor_b32_e32 v6, s2, v8
	v_cmp_ne_u32_e64 s0, 0, v2
	v_cndmask_b32_e32 v2, v10, v7, vcc_lo
	v_cndmask_b32_e32 v3, v11, v9, vcc_lo
	v_cndmask_b32_e64 v2, v4, v2, s0
	v_cndmask_b32_e64 v3, v5, v3, s0
	v_xor_b32_e32 v2, v2, v6
	v_xor_b32_e32 v3, v3, v6
	v_sub_co_u32 v4, vcc_lo, v2, v6
	v_sub_co_ci_u32_e64 v5, null, v3, v6, vcc_lo
.LBB42_3:
	s_or_saveexec_b32 s0, s1
	s_clause 0x1
	s_load_dwordx8 s[8:15], s[4:5], 0x8
	s_load_dwordx8 s[24:31], s[4:5], 0x60
	s_xor_b32 exec_lo, exec_lo, s0
	s_cbranch_execz .LBB42_5
; %bb.4:
	v_cvt_f32_u32_e32 v2, s18
	s_sub_i32 s1, 0, s18
	v_rcp_iflag_f32_e32 v2, v2
	v_mul_f32_e32 v2, 0x4f7ffffe, v2
	v_cvt_u32_f32_e32 v2, v2
	v_mul_lo_u32 v3, s1, v2
	v_mul_hi_u32 v3, v2, v3
	v_add_nc_u32_e32 v2, v2, v3
	v_mul_hi_u32 v2, v0, v2
	v_mul_lo_u32 v3, v2, s18
	v_add_nc_u32_e32 v4, 1, v2
	v_sub_nc_u32_e32 v3, v0, v3
	v_subrev_nc_u32_e32 v5, s18, v3
	v_cmp_le_u32_e32 vcc_lo, s18, v3
	v_cndmask_b32_e32 v3, v3, v5, vcc_lo
	v_cndmask_b32_e32 v2, v2, v4, vcc_lo
	v_mov_b32_e32 v5, 0
	v_cmp_le_u32_e32 vcc_lo, s18, v3
	v_add_nc_u32_e32 v4, 1, v2
	v_cndmask_b32_e32 v4, v2, v4, vcc_lo
.LBB42_5:
	s_or_b32 exec_lo, exec_lo, s0
	v_or_b32_e32 v3, s37, v5
	v_mov_b32_e32 v2, 0
	v_cmp_ne_u64_e32 vcc_lo, 0, v[2:3]
                                        ; implicit-def: $vgpr2_vgpr3
	s_and_saveexec_b32 s0, vcc_lo
	s_xor_b32 s1, exec_lo, s0
	s_cbranch_execz .LBB42_7
; %bb.6:
	s_ashr_i32 s2, s37, 31
	v_ashrrev_i32_e32 v10, 31, v5
	s_add_u32 s6, s36, s2
	s_mov_b32 s3, s2
	s_addc_u32 s7, s37, s2
	s_xor_b64 s[6:7], s[6:7], s[2:3]
	v_add_co_u32 v6, vcc_lo, v4, v10
	v_cvt_f32_u32_e32 v2, s6
	v_cvt_f32_u32_e32 v3, s7
	s_sub_u32 s16, 0, s6
	s_subb_u32 s17, 0, s7
	v_add_co_ci_u32_e64 v7, null, v5, v10, vcc_lo
	v_fmamk_f32 v2, v3, 0x4f800000, v2
	v_xor_b32_e32 v11, v6, v10
	v_xor_b32_e32 v12, v7, v10
	v_rcp_f32_e32 v2, v2
	v_mul_f32_e32 v2, 0x5f7ffffc, v2
	v_mul_f32_e32 v3, 0x2f800000, v2
	v_trunc_f32_e32 v3, v3
	v_fmamk_f32 v2, v3, 0xcf800000, v2
	v_cvt_u32_f32_e32 v3, v3
	v_cvt_u32_f32_e32 v2, v2
	v_readfirstlane_b32 s0, v3
	v_readfirstlane_b32 s3, v2
	s_waitcnt lgkmcnt(0)
	s_mul_i32 s30, s16, s0
	s_mul_hi_u32 s33, s16, s3
	s_mul_i32 s31, s17, s3
	s_add_i32 s30, s33, s30
	s_mul_i32 s34, s16, s3
	s_add_i32 s30, s30, s31
	s_mul_hi_u32 s33, s3, s34
	s_mul_i32 s40, s3, s30
	s_mul_hi_u32 s35, s0, s34
	s_mul_i32 s31, s0, s34
	s_mul_hi_u32 s34, s3, s30
	s_add_u32 s33, s33, s40
	s_addc_u32 s34, 0, s34
	s_mul_hi_u32 s41, s0, s30
	s_add_u32 s31, s33, s31
	s_mul_i32 s30, s0, s30
	s_addc_u32 s31, s34, s35
	s_addc_u32 s33, s41, 0
	s_add_u32 s30, s31, s30
	s_addc_u32 s31, 0, s33
	s_add_u32 s3, s3, s30
	s_cselect_b32 s30, -1, 0
	s_mul_hi_u32 s33, s16, s3
	s_cmp_lg_u32 s30, 0
	s_mul_i32 s30, s16, s3
	s_addc_u32 s0, s0, s31
	s_mul_i32 s17, s17, s3
	s_mul_i32 s16, s16, s0
	s_mul_hi_u32 s31, s3, s30
	s_add_i32 s16, s33, s16
	s_mul_hi_u32 s33, s0, s30
	s_add_i32 s16, s16, s17
	s_mul_i32 s17, s0, s30
	s_mul_i32 s35, s3, s16
	s_mul_hi_u32 s34, s3, s16
	s_add_u32 s31, s31, s35
	s_addc_u32 s34, 0, s34
	s_mul_hi_u32 s30, s0, s16
	s_add_u32 s17, s31, s17
	s_mul_i32 s16, s0, s16
	s_addc_u32 s17, s34, s33
	s_addc_u32 s30, s30, 0
	s_add_u32 s16, s17, s16
	s_addc_u32 s17, 0, s30
	s_add_u32 s3, s3, s16
	s_cselect_b32 s16, -1, 0
	v_mul_hi_u32 v13, v11, s3
	s_cmp_lg_u32 s16, 0
	v_mad_u64_u32 v[6:7], null, v12, s3, 0
	s_addc_u32 s0, s0, s17
	v_mad_u64_u32 v[2:3], null, v11, s0, 0
	v_mad_u64_u32 v[8:9], null, v12, s0, 0
	v_add_co_u32 v2, vcc_lo, v13, v2
	v_add_co_ci_u32_e64 v3, null, 0, v3, vcc_lo
	v_add_co_u32 v2, vcc_lo, v2, v6
	v_add_co_ci_u32_e32 v2, vcc_lo, v3, v7, vcc_lo
	v_add_co_ci_u32_e32 v3, vcc_lo, 0, v9, vcc_lo
	v_add_co_u32 v6, vcc_lo, v2, v8
	v_add_co_ci_u32_e64 v7, null, 0, v3, vcc_lo
	v_mul_lo_u32 v8, s7, v6
	v_mad_u64_u32 v[2:3], null, s6, v6, 0
	v_mul_lo_u32 v9, s6, v7
	v_sub_co_u32 v2, vcc_lo, v11, v2
	v_add3_u32 v3, v3, v9, v8
	v_add_co_u32 v9, s0, v6, 2
	v_add_co_ci_u32_e64 v11, null, 0, v7, s0
	v_sub_nc_u32_e32 v8, v12, v3
	v_sub_co_u32 v13, s0, v2, s6
	v_sub_co_ci_u32_e64 v3, null, v12, v3, vcc_lo
	v_subrev_co_ci_u32_e64 v8, null, s7, v8, vcc_lo
	v_cmp_le_u32_e32 vcc_lo, s6, v13
	v_subrev_co_ci_u32_e64 v8, null, 0, v8, s0
	v_cndmask_b32_e64 v12, 0, -1, vcc_lo
	v_cmp_le_u32_e32 vcc_lo, s7, v8
	v_cndmask_b32_e64 v13, 0, -1, vcc_lo
	v_cmp_le_u32_e32 vcc_lo, s6, v2
	;; [unrolled: 2-line block ×3, first 2 shown]
	v_cndmask_b32_e64 v14, 0, -1, vcc_lo
	v_cmp_eq_u32_e32 vcc_lo, s7, v8
	v_cndmask_b32_e32 v8, v13, v12, vcc_lo
	v_add_co_u32 v12, vcc_lo, v6, 1
	v_add_co_ci_u32_e64 v13, null, 0, v7, vcc_lo
	v_cmp_eq_u32_e32 vcc_lo, s7, v3
	v_cndmask_b32_e32 v2, v14, v2, vcc_lo
	v_cmp_ne_u32_e32 vcc_lo, 0, v8
	v_xor_b32_e32 v8, s2, v10
	v_cmp_ne_u32_e64 s0, 0, v2
	v_cndmask_b32_e32 v2, v12, v9, vcc_lo
	v_cndmask_b32_e32 v3, v13, v11, vcc_lo
	v_cndmask_b32_e64 v2, v6, v2, s0
	v_cndmask_b32_e64 v3, v7, v3, s0
	v_xor_b32_e32 v2, v2, v8
	v_xor_b32_e32 v3, v3, v8
	v_sub_co_u32 v2, vcc_lo, v2, v8
	v_sub_co_ci_u32_e64 v3, null, v3, v8, vcc_lo
.LBB42_7:
	s_andn2_saveexec_b32 s0, s1
	s_cbranch_execz .LBB42_9
; %bb.8:
	v_cvt_f32_u32_e32 v2, s36
	s_sub_i32 s1, 0, s36
	v_rcp_iflag_f32_e32 v2, v2
	v_mul_f32_e32 v2, 0x4f7ffffe, v2
	v_cvt_u32_f32_e32 v2, v2
	v_mul_lo_u32 v3, s1, v2
	v_mul_hi_u32 v3, v2, v3
	v_add_nc_u32_e32 v2, v2, v3
	v_mul_hi_u32 v2, v4, v2
	v_mul_lo_u32 v3, v2, s36
	v_add_nc_u32_e32 v6, 1, v2
	v_sub_nc_u32_e32 v3, v4, v3
	v_subrev_nc_u32_e32 v7, s36, v3
	v_cmp_le_u32_e32 vcc_lo, s36, v3
	v_cndmask_b32_e32 v3, v3, v7, vcc_lo
	v_cndmask_b32_e32 v2, v2, v6, vcc_lo
	v_cmp_le_u32_e32 vcc_lo, s36, v3
	v_add_nc_u32_e32 v6, 1, v2
	v_mov_b32_e32 v3, 0
	v_cndmask_b32_e32 v2, v2, v6, vcc_lo
.LBB42_9:
	s_or_b32 exec_lo, exec_lo, s0
	s_add_u32 s0, s36, 1
	s_addc_u32 s1, s37, 0
	s_waitcnt lgkmcnt(0)
	s_mul_hi_u32 s2, s28, s0
	s_mul_i32 s1, s28, s1
	v_mul_lo_u32 v6, v3, s36
	s_add_i32 s1, s2, s1
	s_mul_i32 s2, s29, s0
	s_mul_i32 s0, s28, s0
	s_add_i32 s1, s1, s2
	v_mul_lo_u32 v7, v2, s37
	v_mad_u64_u32 v[8:9], null, v2, s36, 0
	v_mul_lo_u32 v12, s0, v3
	v_mad_u64_u32 v[10:11], null, s0, v2, 0
	v_mul_lo_u32 v13, s1, v2
	v_mul_lo_u32 v14, v5, s18
	v_mul_lo_u32 v15, v4, s19
	v_add3_u32 v9, v9, v7, v6
	v_sub_co_u32 v6, vcc_lo, v4, v8
	s_mov_b32 s6, exec_lo
	v_add3_u32 v11, v11, v12, v13
	v_sub_co_ci_u32_e64 v7, null, v5, v9, vcc_lo
	v_mad_u64_u32 v[4:5], null, v4, s18, 0
	v_lshlrev_b64 v[12:13], 2, v[10:11]
	v_lshlrev_b64 v[10:11], 2, v[6:7]
	v_add_co_u32 v12, vcc_lo, s14, v12
	v_add_co_ci_u32_e64 v13, null, s15, v13, vcc_lo
	v_add3_u32 v5, v5, v15, v14
	v_add_co_u32 v12, vcc_lo, v12, v10
	v_add_co_ci_u32_e64 v13, null, v13, v11, vcc_lo
	global_load_dwordx2 v[12:13], v[12:13], off
	s_clause 0x1
	s_load_dwordx2 s[2:3], s[4:5], 0x38
	s_load_dword s1, s[4:5], 0x0
	s_waitcnt lgkmcnt(0)
	v_mov_b32_e32 v16, s3
	s_waitcnt vmcnt(0)
	v_cmpx_lt_i32_e64 v12, v13
	s_cbranch_execz .LBB42_28
; %bb.10:
	v_mul_lo_u32 v18, v3, s22
	v_mul_lo_u32 v19, v2, s23
	v_mad_u64_u32 v[14:15], null, v2, s22, 0
	v_ashrrev_i32_e32 v17, 31, v12
	v_mov_b32_e32 v16, v12
	s_cmp_lg_u32 s1, 0
	s_cselect_b32 s7, -1, 0
	s_and_b32 s0, s1, -3
	v_add3_u32 v15, v15, v19, v18
	v_lshlrev_b64 v[16:17], 2, v[16:17]
	s_cmp_lg_u32 s0, 1
	v_lshlrev_b64 v[14:15], 2, v[14:15]
	v_add_co_u32 v16, vcc_lo, v14, v16
	v_add_co_ci_u32_e64 v17, null, v15, v17, vcc_lo
	v_lshlrev_b64 v[14:15], 2, v[0:1]
	v_mul_lo_u32 v19, s21, v16
	v_mul_lo_u32 v18, s20, v17
	v_mad_u64_u32 v[14:15], null, s20, v16, v[14:15]
	v_lshlrev_b64 v[16:17], 2, v[4:5]
	v_add3_u32 v15, v19, v15, v18
	v_sub_co_u32 v14, vcc_lo, v14, v16
	v_sub_co_ci_u32_e64 v15, null, v15, v17, vcc_lo
	v_add_co_u32 v14, vcc_lo, s10, v14
	v_mov_b32_e32 v17, s3
	v_add_co_ci_u32_e64 v15, null, s11, v15, vcc_lo
	s_mov_b32 s3, 0
	s_cselect_b32 s10, -1, 0
	s_lshl_b64 s[4:5], s[20:21], 2
	s_branch .LBB42_12
.LBB42_11:                              ;   in Loop: Header=BB42_12 Depth=1
	v_add_nc_u32_e32 v12, 1, v12
	v_add_co_u32 v14, s0, v14, s4
	v_add_co_ci_u32_e64 v15, null, s5, v15, s0
	v_cmp_ge_i32_e32 vcc_lo, v12, v13
	v_mov_b32_e32 v17, v16
	s_or_b32 s3, vcc_lo, s3
	s_andn2_b32 exec_lo, exec_lo, s3
	s_cbranch_execz .LBB42_27
.LBB42_12:                              ; =>This Inner Loop Header: Depth=1
	global_load_dword v18, v[14:15], off
	s_and_b32 vcc_lo, exec_lo, s7
	s_cbranch_vccz .LBB42_25
; %bb.13:                               ;   in Loop: Header=BB42_12 Depth=1
	s_and_b32 vcc_lo, exec_lo, s10
	s_mov_b32 s0, -1
                                        ; implicit-def: $vgpr16
	s_cbranch_vccz .LBB42_22
; %bb.14:                               ;   in Loop: Header=BB42_12 Depth=1
	s_cmp_lt_i32 s1, 4
                                        ; implicit-def: $vgpr16
	s_cbranch_scc1 .LBB42_18
; %bb.15:                               ;   in Loop: Header=BB42_12 Depth=1
	v_mov_b32_e32 v16, v17
	s_cmp_eq_u32 s1, 4
	s_cbranch_scc0 .LBB42_17
; %bb.16:                               ;   in Loop: Header=BB42_12 Depth=1
	s_waitcnt vmcnt(0)
	v_mul_f32_e32 v16, v18, v17
.LBB42_17:                              ;   in Loop: Header=BB42_12 Depth=1
	s_mov_b32 s0, 0
.LBB42_18:                              ;   in Loop: Header=BB42_12 Depth=1
	s_andn2_b32 vcc_lo, exec_lo, s0
	s_cbranch_vccnz .LBB42_21
; %bb.19:                               ;   in Loop: Header=BB42_12 Depth=1
	v_mov_b32_e32 v16, v17
	s_cmp_lg_u32 s1, 2
	s_cbranch_scc1 .LBB42_21
; %bb.20:                               ;   in Loop: Header=BB42_12 Depth=1
	s_waitcnt vmcnt(0)
	v_cmp_u_f32_e32 vcc_lo, v18, v18
	v_cmp_lt_f32_e64 s0, v18, v17
	s_or_b32 vcc_lo, vcc_lo, s0
	v_cndmask_b32_e32 v16, v17, v18, vcc_lo
.LBB42_21:                              ;   in Loop: Header=BB42_12 Depth=1
	s_mov_b32 s0, 0
.LBB42_22:                              ;   in Loop: Header=BB42_12 Depth=1
	s_and_b32 vcc_lo, exec_lo, s0
	s_cbranch_vccz .LBB42_24
; %bb.23:                               ;   in Loop: Header=BB42_12 Depth=1
	s_waitcnt vmcnt(0)
	v_add_f32_e32 v16, v18, v17
.LBB42_24:                              ;   in Loop: Header=BB42_12 Depth=1
	s_cbranch_execnz .LBB42_11
	s_branch .LBB42_26
.LBB42_25:                              ;   in Loop: Header=BB42_12 Depth=1
                                        ; implicit-def: $vgpr16
.LBB42_26:                              ;   in Loop: Header=BB42_12 Depth=1
	s_waitcnt vmcnt(0)
	v_cmp_u_f32_e32 vcc_lo, v18, v18
	v_cmp_lt_f32_e64 s0, v17, v18
	s_or_b32 vcc_lo, vcc_lo, s0
	v_cndmask_b32_e32 v16, v17, v18, vcc_lo
	s_branch .LBB42_11
.LBB42_27:
	s_or_b32 exec_lo, exec_lo, s3
.LBB42_28:
	s_or_b32 exec_lo, exec_lo, s6
	v_mul_lo_u32 v12, v9, s38
	v_mul_lo_u32 v13, v8, s39
	v_mad_u64_u32 v[8:9], null, v8, s38, 0
	s_mov_b32 s0, exec_lo
	v_add3_u32 v9, v9, v13, v12
	v_lshlrev_b64 v[8:9], 2, v[8:9]
	v_add_co_u32 v8, vcc_lo, s12, v8
	v_add_co_ci_u32_e64 v9, null, s13, v9, vcc_lo
	v_add_co_u32 v8, vcc_lo, v8, v10
	v_add_co_ci_u32_e64 v9, null, v9, v11, vcc_lo
	global_load_dword v9, v[8:9], off
	s_waitcnt vmcnt(0)
	v_cmpx_lt_i32_e32 -1, v9
	s_xor_b32 s3, exec_lo, s0
	s_cbranch_execz .LBB42_34
; %bb.29:
	v_cmp_ne_u32_e32 vcc_lo, 0, v9
	s_bitcmp1_b32 s2, 0
	v_mov_b32_e32 v8, 0x7fc00000
	s_cselect_b32 s0, -1, 0
	s_or_b32 s0, s0, vcc_lo
	s_cmp_lg_u32 s1, 1
	s_cselect_b32 s2, -1, 0
	s_or_b32 s0, s2, s0
	s_and_saveexec_b32 s1, s0
	s_cbranch_execz .LBB42_33
; %bb.30:
	v_cmp_ne_u32_e32 vcc_lo, 0, v9
	v_cmp_o_f32_e64 s0, v16, v16
	s_xor_b32 s2, s2, -1
	s_and_b32 s2, s2, vcc_lo
	s_and_b32 s2, s2, s0
	s_and_saveexec_b32 s0, s2
	s_cbranch_execz .LBB42_32
; %bb.31:
	v_cvt_f32_u32_e32 v8, v9
	v_div_scale_f32 v9, null, v8, v8, v16
	v_rcp_f32_e32 v10, v9
	v_fma_f32 v11, -v9, v10, 1.0
	v_fmac_f32_e32 v10, v11, v10
	v_div_scale_f32 v11, vcc_lo, v16, v8, v16
	v_mul_f32_e32 v12, v11, v10
	v_fma_f32 v13, -v9, v12, v11
	v_fmac_f32_e32 v12, v13, v10
	v_fma_f32 v9, -v9, v12, v11
	v_div_fmas_f32 v9, v9, v10, v12
	v_div_fixup_f32 v16, v9, v8, v16
.LBB42_32:
	s_or_b32 exec_lo, exec_lo, s0
	v_mov_b32_e32 v8, v16
.LBB42_33:
	s_or_b32 exec_lo, exec_lo, s1
	s_mul_i32 s0, s26, s25
	s_mul_hi_u32 s1, s26, s24
	s_mul_i32 s2, s27, s24
	s_add_i32 s0, s1, s0
	s_mul_i32 s1, s26, s24
	s_add_i32 s0, s0, s2
	v_mul_lo_u32 v10, s1, v3
	v_mul_lo_u32 v9, s0, v2
	v_mad_u64_u32 v[2:3], null, s1, v2, 0
	v_mul_lo_u32 v11, v7, s24
	v_mul_lo_u32 v12, v6, s25
	v_mad_u64_u32 v[6:7], null, v6, s24, 0
	v_sub_co_u32 v0, vcc_lo, v0, v4
	v_add3_u32 v3, v3, v10, v9
	v_sub_co_ci_u32_e64 v1, null, v1, v5, vcc_lo
	v_add3_u32 v7, v7, v12, v11
	v_lshlrev_b64 v[2:3], 2, v[2:3]
	v_lshlrev_b64 v[0:1], 2, v[0:1]
	;; [unrolled: 1-line block ×3, first 2 shown]
	v_add_co_u32 v2, vcc_lo, s8, v2
	v_add_co_ci_u32_e64 v3, null, s9, v3, vcc_lo
	v_add_co_u32 v2, vcc_lo, v2, v4
	v_add_co_ci_u32_e64 v3, null, v3, v5, vcc_lo
	;; [unrolled: 2-line block ×3, first 2 shown]
	global_store_dword v[0:1], v8, off
.LBB42_34:
	s_andn2_saveexec_b32 s0, s3
	s_cbranch_execnz .LBB42_36
.LBB42_35:
	s_endpgm
.LBB42_36:
	s_trap 2
	; divergent unreachable
	s_endpgm
	.section	.rodata,"a",@progbits
	.p2align	6, 0x0
	.amdhsa_kernel _ZN2at6native12_GLOBAL__N_129segment_reduce_forward_kernelIfiEEvNS0_13ReductionTypeEPT_PKS4_PKT0_SA_llbS4_lllllll
		.amdhsa_group_segment_fixed_size 0
		.amdhsa_private_segment_fixed_size 0
		.amdhsa_kernarg_size 376
		.amdhsa_user_sgpr_count 6
		.amdhsa_user_sgpr_private_segment_buffer 1
		.amdhsa_user_sgpr_dispatch_ptr 0
		.amdhsa_user_sgpr_queue_ptr 0
		.amdhsa_user_sgpr_kernarg_segment_ptr 1
		.amdhsa_user_sgpr_dispatch_id 0
		.amdhsa_user_sgpr_flat_scratch_init 0
		.amdhsa_user_sgpr_private_segment_size 0
		.amdhsa_wavefront_size32 1
		.amdhsa_uses_dynamic_stack 0
		.amdhsa_system_sgpr_private_segment_wavefront_offset 0
		.amdhsa_system_sgpr_workgroup_id_x 1
		.amdhsa_system_sgpr_workgroup_id_y 0
		.amdhsa_system_sgpr_workgroup_id_z 0
		.amdhsa_system_sgpr_workgroup_info 0
		.amdhsa_system_vgpr_workitem_id 0
		.amdhsa_next_free_vgpr 20
		.amdhsa_next_free_sgpr 42
		.amdhsa_reserve_vcc 1
		.amdhsa_reserve_flat_scratch 0
		.amdhsa_float_round_mode_32 0
		.amdhsa_float_round_mode_16_64 0
		.amdhsa_float_denorm_mode_32 3
		.amdhsa_float_denorm_mode_16_64 3
		.amdhsa_dx10_clamp 1
		.amdhsa_ieee_mode 1
		.amdhsa_fp16_overflow 0
		.amdhsa_workgroup_processor_mode 1
		.amdhsa_memory_ordered 1
		.amdhsa_forward_progress 1
		.amdhsa_shared_vgpr_count 0
		.amdhsa_exception_fp_ieee_invalid_op 0
		.amdhsa_exception_fp_denorm_src 0
		.amdhsa_exception_fp_ieee_div_zero 0
		.amdhsa_exception_fp_ieee_overflow 0
		.amdhsa_exception_fp_ieee_underflow 0
		.amdhsa_exception_fp_ieee_inexact 0
		.amdhsa_exception_int_div_zero 0
	.end_amdhsa_kernel
	.section	.text._ZN2at6native12_GLOBAL__N_129segment_reduce_forward_kernelIfiEEvNS0_13ReductionTypeEPT_PKS4_PKT0_SA_llbS4_lllllll,"axG",@progbits,_ZN2at6native12_GLOBAL__N_129segment_reduce_forward_kernelIfiEEvNS0_13ReductionTypeEPT_PKS4_PKT0_SA_llbS4_lllllll,comdat
.Lfunc_end42:
	.size	_ZN2at6native12_GLOBAL__N_129segment_reduce_forward_kernelIfiEEvNS0_13ReductionTypeEPT_PKS4_PKT0_SA_llbS4_lllllll, .Lfunc_end42-_ZN2at6native12_GLOBAL__N_129segment_reduce_forward_kernelIfiEEvNS0_13ReductionTypeEPT_PKS4_PKT0_SA_llbS4_lllllll
                                        ; -- End function
	.set _ZN2at6native12_GLOBAL__N_129segment_reduce_forward_kernelIfiEEvNS0_13ReductionTypeEPT_PKS4_PKT0_SA_llbS4_lllllll.num_vgpr, 20
	.set _ZN2at6native12_GLOBAL__N_129segment_reduce_forward_kernelIfiEEvNS0_13ReductionTypeEPT_PKS4_PKT0_SA_llbS4_lllllll.num_agpr, 0
	.set _ZN2at6native12_GLOBAL__N_129segment_reduce_forward_kernelIfiEEvNS0_13ReductionTypeEPT_PKS4_PKT0_SA_llbS4_lllllll.numbered_sgpr, 42
	.set _ZN2at6native12_GLOBAL__N_129segment_reduce_forward_kernelIfiEEvNS0_13ReductionTypeEPT_PKS4_PKT0_SA_llbS4_lllllll.num_named_barrier, 0
	.set _ZN2at6native12_GLOBAL__N_129segment_reduce_forward_kernelIfiEEvNS0_13ReductionTypeEPT_PKS4_PKT0_SA_llbS4_lllllll.private_seg_size, 0
	.set _ZN2at6native12_GLOBAL__N_129segment_reduce_forward_kernelIfiEEvNS0_13ReductionTypeEPT_PKS4_PKT0_SA_llbS4_lllllll.uses_vcc, 1
	.set _ZN2at6native12_GLOBAL__N_129segment_reduce_forward_kernelIfiEEvNS0_13ReductionTypeEPT_PKS4_PKT0_SA_llbS4_lllllll.uses_flat_scratch, 0
	.set _ZN2at6native12_GLOBAL__N_129segment_reduce_forward_kernelIfiEEvNS0_13ReductionTypeEPT_PKS4_PKT0_SA_llbS4_lllllll.has_dyn_sized_stack, 0
	.set _ZN2at6native12_GLOBAL__N_129segment_reduce_forward_kernelIfiEEvNS0_13ReductionTypeEPT_PKS4_PKT0_SA_llbS4_lllllll.has_recursion, 0
	.set _ZN2at6native12_GLOBAL__N_129segment_reduce_forward_kernelIfiEEvNS0_13ReductionTypeEPT_PKS4_PKT0_SA_llbS4_lllllll.has_indirect_call, 0
	.section	.AMDGPU.csdata,"",@progbits
; Kernel info:
; codeLenInByte = 2784
; TotalNumSgprs: 44
; NumVgprs: 20
; ScratchSize: 0
; MemoryBound: 0
; FloatMode: 240
; IeeeMode: 1
; LDSByteSize: 0 bytes/workgroup (compile time only)
; SGPRBlocks: 0
; VGPRBlocks: 2
; NumSGPRsForWavesPerEU: 44
; NumVGPRsForWavesPerEU: 20
; Occupancy: 16
; WaveLimiterHint : 0
; COMPUTE_PGM_RSRC2:SCRATCH_EN: 0
; COMPUTE_PGM_RSRC2:USER_SGPR: 6
; COMPUTE_PGM_RSRC2:TRAP_HANDLER: 0
; COMPUTE_PGM_RSRC2:TGID_X_EN: 1
; COMPUTE_PGM_RSRC2:TGID_Y_EN: 0
; COMPUTE_PGM_RSRC2:TGID_Z_EN: 0
; COMPUTE_PGM_RSRC2:TIDIG_COMP_CNT: 0
	.section	.text._ZN7rocprim17ROCPRIM_400000_NS6detail17trampoline_kernelINS0_14default_configENS1_32segmented_reduce_config_selectorIfEEZNS1_21segmented_reduce_implIS3_PKfPfPKifN6hipcub16HIPCUB_304000_NS6detail27convert_result_type_wrapperIS8_S9_N2at6native12_GLOBAL__N_19CustomMaxEEEEE10hipError_tPvRmT0_T1_jT2_SQ_T4_T3_P12ihipStream_tbEUlT_E_NS1_11comp_targetILNS1_3genE0ELNS1_11target_archE4294967295ELNS1_3gpuE0ELNS1_3repE0EEENS1_30default_config_static_selectorELNS0_4arch9wavefront6targetE0EEEvSP_,"axG",@progbits,_ZN7rocprim17ROCPRIM_400000_NS6detail17trampoline_kernelINS0_14default_configENS1_32segmented_reduce_config_selectorIfEEZNS1_21segmented_reduce_implIS3_PKfPfPKifN6hipcub16HIPCUB_304000_NS6detail27convert_result_type_wrapperIS8_S9_N2at6native12_GLOBAL__N_19CustomMaxEEEEE10hipError_tPvRmT0_T1_jT2_SQ_T4_T3_P12ihipStream_tbEUlT_E_NS1_11comp_targetILNS1_3genE0ELNS1_11target_archE4294967295ELNS1_3gpuE0ELNS1_3repE0EEENS1_30default_config_static_selectorELNS0_4arch9wavefront6targetE0EEEvSP_,comdat
	.globl	_ZN7rocprim17ROCPRIM_400000_NS6detail17trampoline_kernelINS0_14default_configENS1_32segmented_reduce_config_selectorIfEEZNS1_21segmented_reduce_implIS3_PKfPfPKifN6hipcub16HIPCUB_304000_NS6detail27convert_result_type_wrapperIS8_S9_N2at6native12_GLOBAL__N_19CustomMaxEEEEE10hipError_tPvRmT0_T1_jT2_SQ_T4_T3_P12ihipStream_tbEUlT_E_NS1_11comp_targetILNS1_3genE0ELNS1_11target_archE4294967295ELNS1_3gpuE0ELNS1_3repE0EEENS1_30default_config_static_selectorELNS0_4arch9wavefront6targetE0EEEvSP_ ; -- Begin function _ZN7rocprim17ROCPRIM_400000_NS6detail17trampoline_kernelINS0_14default_configENS1_32segmented_reduce_config_selectorIfEEZNS1_21segmented_reduce_implIS3_PKfPfPKifN6hipcub16HIPCUB_304000_NS6detail27convert_result_type_wrapperIS8_S9_N2at6native12_GLOBAL__N_19CustomMaxEEEEE10hipError_tPvRmT0_T1_jT2_SQ_T4_T3_P12ihipStream_tbEUlT_E_NS1_11comp_targetILNS1_3genE0ELNS1_11target_archE4294967295ELNS1_3gpuE0ELNS1_3repE0EEENS1_30default_config_static_selectorELNS0_4arch9wavefront6targetE0EEEvSP_
	.p2align	8
	.type	_ZN7rocprim17ROCPRIM_400000_NS6detail17trampoline_kernelINS0_14default_configENS1_32segmented_reduce_config_selectorIfEEZNS1_21segmented_reduce_implIS3_PKfPfPKifN6hipcub16HIPCUB_304000_NS6detail27convert_result_type_wrapperIS8_S9_N2at6native12_GLOBAL__N_19CustomMaxEEEEE10hipError_tPvRmT0_T1_jT2_SQ_T4_T3_P12ihipStream_tbEUlT_E_NS1_11comp_targetILNS1_3genE0ELNS1_11target_archE4294967295ELNS1_3gpuE0ELNS1_3repE0EEENS1_30default_config_static_selectorELNS0_4arch9wavefront6targetE0EEEvSP_,@function
_ZN7rocprim17ROCPRIM_400000_NS6detail17trampoline_kernelINS0_14default_configENS1_32segmented_reduce_config_selectorIfEEZNS1_21segmented_reduce_implIS3_PKfPfPKifN6hipcub16HIPCUB_304000_NS6detail27convert_result_type_wrapperIS8_S9_N2at6native12_GLOBAL__N_19CustomMaxEEEEE10hipError_tPvRmT0_T1_jT2_SQ_T4_T3_P12ihipStream_tbEUlT_E_NS1_11comp_targetILNS1_3genE0ELNS1_11target_archE4294967295ELNS1_3gpuE0ELNS1_3repE0EEENS1_30default_config_static_selectorELNS0_4arch9wavefront6targetE0EEEvSP_: ; @_ZN7rocprim17ROCPRIM_400000_NS6detail17trampoline_kernelINS0_14default_configENS1_32segmented_reduce_config_selectorIfEEZNS1_21segmented_reduce_implIS3_PKfPfPKifN6hipcub16HIPCUB_304000_NS6detail27convert_result_type_wrapperIS8_S9_N2at6native12_GLOBAL__N_19CustomMaxEEEEE10hipError_tPvRmT0_T1_jT2_SQ_T4_T3_P12ihipStream_tbEUlT_E_NS1_11comp_targetILNS1_3genE0ELNS1_11target_archE4294967295ELNS1_3gpuE0ELNS1_3repE0EEENS1_30default_config_static_selectorELNS0_4arch9wavefront6targetE0EEEvSP_
; %bb.0:
	.section	.rodata,"a",@progbits
	.p2align	6, 0x0
	.amdhsa_kernel _ZN7rocprim17ROCPRIM_400000_NS6detail17trampoline_kernelINS0_14default_configENS1_32segmented_reduce_config_selectorIfEEZNS1_21segmented_reduce_implIS3_PKfPfPKifN6hipcub16HIPCUB_304000_NS6detail27convert_result_type_wrapperIS8_S9_N2at6native12_GLOBAL__N_19CustomMaxEEEEE10hipError_tPvRmT0_T1_jT2_SQ_T4_T3_P12ihipStream_tbEUlT_E_NS1_11comp_targetILNS1_3genE0ELNS1_11target_archE4294967295ELNS1_3gpuE0ELNS1_3repE0EEENS1_30default_config_static_selectorELNS0_4arch9wavefront6targetE0EEEvSP_
		.amdhsa_group_segment_fixed_size 0
		.amdhsa_private_segment_fixed_size 0
		.amdhsa_kernarg_size 48
		.amdhsa_user_sgpr_count 6
		.amdhsa_user_sgpr_private_segment_buffer 1
		.amdhsa_user_sgpr_dispatch_ptr 0
		.amdhsa_user_sgpr_queue_ptr 0
		.amdhsa_user_sgpr_kernarg_segment_ptr 1
		.amdhsa_user_sgpr_dispatch_id 0
		.amdhsa_user_sgpr_flat_scratch_init 0
		.amdhsa_user_sgpr_private_segment_size 0
		.amdhsa_wavefront_size32 1
		.amdhsa_uses_dynamic_stack 0
		.amdhsa_system_sgpr_private_segment_wavefront_offset 0
		.amdhsa_system_sgpr_workgroup_id_x 1
		.amdhsa_system_sgpr_workgroup_id_y 0
		.amdhsa_system_sgpr_workgroup_id_z 0
		.amdhsa_system_sgpr_workgroup_info 0
		.amdhsa_system_vgpr_workitem_id 0
		.amdhsa_next_free_vgpr 1
		.amdhsa_next_free_sgpr 1
		.amdhsa_reserve_vcc 0
		.amdhsa_reserve_flat_scratch 0
		.amdhsa_float_round_mode_32 0
		.amdhsa_float_round_mode_16_64 0
		.amdhsa_float_denorm_mode_32 3
		.amdhsa_float_denorm_mode_16_64 3
		.amdhsa_dx10_clamp 1
		.amdhsa_ieee_mode 1
		.amdhsa_fp16_overflow 0
		.amdhsa_workgroup_processor_mode 1
		.amdhsa_memory_ordered 1
		.amdhsa_forward_progress 1
		.amdhsa_shared_vgpr_count 0
		.amdhsa_exception_fp_ieee_invalid_op 0
		.amdhsa_exception_fp_denorm_src 0
		.amdhsa_exception_fp_ieee_div_zero 0
		.amdhsa_exception_fp_ieee_overflow 0
		.amdhsa_exception_fp_ieee_underflow 0
		.amdhsa_exception_fp_ieee_inexact 0
		.amdhsa_exception_int_div_zero 0
	.end_amdhsa_kernel
	.section	.text._ZN7rocprim17ROCPRIM_400000_NS6detail17trampoline_kernelINS0_14default_configENS1_32segmented_reduce_config_selectorIfEEZNS1_21segmented_reduce_implIS3_PKfPfPKifN6hipcub16HIPCUB_304000_NS6detail27convert_result_type_wrapperIS8_S9_N2at6native12_GLOBAL__N_19CustomMaxEEEEE10hipError_tPvRmT0_T1_jT2_SQ_T4_T3_P12ihipStream_tbEUlT_E_NS1_11comp_targetILNS1_3genE0ELNS1_11target_archE4294967295ELNS1_3gpuE0ELNS1_3repE0EEENS1_30default_config_static_selectorELNS0_4arch9wavefront6targetE0EEEvSP_,"axG",@progbits,_ZN7rocprim17ROCPRIM_400000_NS6detail17trampoline_kernelINS0_14default_configENS1_32segmented_reduce_config_selectorIfEEZNS1_21segmented_reduce_implIS3_PKfPfPKifN6hipcub16HIPCUB_304000_NS6detail27convert_result_type_wrapperIS8_S9_N2at6native12_GLOBAL__N_19CustomMaxEEEEE10hipError_tPvRmT0_T1_jT2_SQ_T4_T3_P12ihipStream_tbEUlT_E_NS1_11comp_targetILNS1_3genE0ELNS1_11target_archE4294967295ELNS1_3gpuE0ELNS1_3repE0EEENS1_30default_config_static_selectorELNS0_4arch9wavefront6targetE0EEEvSP_,comdat
.Lfunc_end43:
	.size	_ZN7rocprim17ROCPRIM_400000_NS6detail17trampoline_kernelINS0_14default_configENS1_32segmented_reduce_config_selectorIfEEZNS1_21segmented_reduce_implIS3_PKfPfPKifN6hipcub16HIPCUB_304000_NS6detail27convert_result_type_wrapperIS8_S9_N2at6native12_GLOBAL__N_19CustomMaxEEEEE10hipError_tPvRmT0_T1_jT2_SQ_T4_T3_P12ihipStream_tbEUlT_E_NS1_11comp_targetILNS1_3genE0ELNS1_11target_archE4294967295ELNS1_3gpuE0ELNS1_3repE0EEENS1_30default_config_static_selectorELNS0_4arch9wavefront6targetE0EEEvSP_, .Lfunc_end43-_ZN7rocprim17ROCPRIM_400000_NS6detail17trampoline_kernelINS0_14default_configENS1_32segmented_reduce_config_selectorIfEEZNS1_21segmented_reduce_implIS3_PKfPfPKifN6hipcub16HIPCUB_304000_NS6detail27convert_result_type_wrapperIS8_S9_N2at6native12_GLOBAL__N_19CustomMaxEEEEE10hipError_tPvRmT0_T1_jT2_SQ_T4_T3_P12ihipStream_tbEUlT_E_NS1_11comp_targetILNS1_3genE0ELNS1_11target_archE4294967295ELNS1_3gpuE0ELNS1_3repE0EEENS1_30default_config_static_selectorELNS0_4arch9wavefront6targetE0EEEvSP_
                                        ; -- End function
	.set _ZN7rocprim17ROCPRIM_400000_NS6detail17trampoline_kernelINS0_14default_configENS1_32segmented_reduce_config_selectorIfEEZNS1_21segmented_reduce_implIS3_PKfPfPKifN6hipcub16HIPCUB_304000_NS6detail27convert_result_type_wrapperIS8_S9_N2at6native12_GLOBAL__N_19CustomMaxEEEEE10hipError_tPvRmT0_T1_jT2_SQ_T4_T3_P12ihipStream_tbEUlT_E_NS1_11comp_targetILNS1_3genE0ELNS1_11target_archE4294967295ELNS1_3gpuE0ELNS1_3repE0EEENS1_30default_config_static_selectorELNS0_4arch9wavefront6targetE0EEEvSP_.num_vgpr, 0
	.set _ZN7rocprim17ROCPRIM_400000_NS6detail17trampoline_kernelINS0_14default_configENS1_32segmented_reduce_config_selectorIfEEZNS1_21segmented_reduce_implIS3_PKfPfPKifN6hipcub16HIPCUB_304000_NS6detail27convert_result_type_wrapperIS8_S9_N2at6native12_GLOBAL__N_19CustomMaxEEEEE10hipError_tPvRmT0_T1_jT2_SQ_T4_T3_P12ihipStream_tbEUlT_E_NS1_11comp_targetILNS1_3genE0ELNS1_11target_archE4294967295ELNS1_3gpuE0ELNS1_3repE0EEENS1_30default_config_static_selectorELNS0_4arch9wavefront6targetE0EEEvSP_.num_agpr, 0
	.set _ZN7rocprim17ROCPRIM_400000_NS6detail17trampoline_kernelINS0_14default_configENS1_32segmented_reduce_config_selectorIfEEZNS1_21segmented_reduce_implIS3_PKfPfPKifN6hipcub16HIPCUB_304000_NS6detail27convert_result_type_wrapperIS8_S9_N2at6native12_GLOBAL__N_19CustomMaxEEEEE10hipError_tPvRmT0_T1_jT2_SQ_T4_T3_P12ihipStream_tbEUlT_E_NS1_11comp_targetILNS1_3genE0ELNS1_11target_archE4294967295ELNS1_3gpuE0ELNS1_3repE0EEENS1_30default_config_static_selectorELNS0_4arch9wavefront6targetE0EEEvSP_.numbered_sgpr, 0
	.set _ZN7rocprim17ROCPRIM_400000_NS6detail17trampoline_kernelINS0_14default_configENS1_32segmented_reduce_config_selectorIfEEZNS1_21segmented_reduce_implIS3_PKfPfPKifN6hipcub16HIPCUB_304000_NS6detail27convert_result_type_wrapperIS8_S9_N2at6native12_GLOBAL__N_19CustomMaxEEEEE10hipError_tPvRmT0_T1_jT2_SQ_T4_T3_P12ihipStream_tbEUlT_E_NS1_11comp_targetILNS1_3genE0ELNS1_11target_archE4294967295ELNS1_3gpuE0ELNS1_3repE0EEENS1_30default_config_static_selectorELNS0_4arch9wavefront6targetE0EEEvSP_.num_named_barrier, 0
	.set _ZN7rocprim17ROCPRIM_400000_NS6detail17trampoline_kernelINS0_14default_configENS1_32segmented_reduce_config_selectorIfEEZNS1_21segmented_reduce_implIS3_PKfPfPKifN6hipcub16HIPCUB_304000_NS6detail27convert_result_type_wrapperIS8_S9_N2at6native12_GLOBAL__N_19CustomMaxEEEEE10hipError_tPvRmT0_T1_jT2_SQ_T4_T3_P12ihipStream_tbEUlT_E_NS1_11comp_targetILNS1_3genE0ELNS1_11target_archE4294967295ELNS1_3gpuE0ELNS1_3repE0EEENS1_30default_config_static_selectorELNS0_4arch9wavefront6targetE0EEEvSP_.private_seg_size, 0
	.set _ZN7rocprim17ROCPRIM_400000_NS6detail17trampoline_kernelINS0_14default_configENS1_32segmented_reduce_config_selectorIfEEZNS1_21segmented_reduce_implIS3_PKfPfPKifN6hipcub16HIPCUB_304000_NS6detail27convert_result_type_wrapperIS8_S9_N2at6native12_GLOBAL__N_19CustomMaxEEEEE10hipError_tPvRmT0_T1_jT2_SQ_T4_T3_P12ihipStream_tbEUlT_E_NS1_11comp_targetILNS1_3genE0ELNS1_11target_archE4294967295ELNS1_3gpuE0ELNS1_3repE0EEENS1_30default_config_static_selectorELNS0_4arch9wavefront6targetE0EEEvSP_.uses_vcc, 0
	.set _ZN7rocprim17ROCPRIM_400000_NS6detail17trampoline_kernelINS0_14default_configENS1_32segmented_reduce_config_selectorIfEEZNS1_21segmented_reduce_implIS3_PKfPfPKifN6hipcub16HIPCUB_304000_NS6detail27convert_result_type_wrapperIS8_S9_N2at6native12_GLOBAL__N_19CustomMaxEEEEE10hipError_tPvRmT0_T1_jT2_SQ_T4_T3_P12ihipStream_tbEUlT_E_NS1_11comp_targetILNS1_3genE0ELNS1_11target_archE4294967295ELNS1_3gpuE0ELNS1_3repE0EEENS1_30default_config_static_selectorELNS0_4arch9wavefront6targetE0EEEvSP_.uses_flat_scratch, 0
	.set _ZN7rocprim17ROCPRIM_400000_NS6detail17trampoline_kernelINS0_14default_configENS1_32segmented_reduce_config_selectorIfEEZNS1_21segmented_reduce_implIS3_PKfPfPKifN6hipcub16HIPCUB_304000_NS6detail27convert_result_type_wrapperIS8_S9_N2at6native12_GLOBAL__N_19CustomMaxEEEEE10hipError_tPvRmT0_T1_jT2_SQ_T4_T3_P12ihipStream_tbEUlT_E_NS1_11comp_targetILNS1_3genE0ELNS1_11target_archE4294967295ELNS1_3gpuE0ELNS1_3repE0EEENS1_30default_config_static_selectorELNS0_4arch9wavefront6targetE0EEEvSP_.has_dyn_sized_stack, 0
	.set _ZN7rocprim17ROCPRIM_400000_NS6detail17trampoline_kernelINS0_14default_configENS1_32segmented_reduce_config_selectorIfEEZNS1_21segmented_reduce_implIS3_PKfPfPKifN6hipcub16HIPCUB_304000_NS6detail27convert_result_type_wrapperIS8_S9_N2at6native12_GLOBAL__N_19CustomMaxEEEEE10hipError_tPvRmT0_T1_jT2_SQ_T4_T3_P12ihipStream_tbEUlT_E_NS1_11comp_targetILNS1_3genE0ELNS1_11target_archE4294967295ELNS1_3gpuE0ELNS1_3repE0EEENS1_30default_config_static_selectorELNS0_4arch9wavefront6targetE0EEEvSP_.has_recursion, 0
	.set _ZN7rocprim17ROCPRIM_400000_NS6detail17trampoline_kernelINS0_14default_configENS1_32segmented_reduce_config_selectorIfEEZNS1_21segmented_reduce_implIS3_PKfPfPKifN6hipcub16HIPCUB_304000_NS6detail27convert_result_type_wrapperIS8_S9_N2at6native12_GLOBAL__N_19CustomMaxEEEEE10hipError_tPvRmT0_T1_jT2_SQ_T4_T3_P12ihipStream_tbEUlT_E_NS1_11comp_targetILNS1_3genE0ELNS1_11target_archE4294967295ELNS1_3gpuE0ELNS1_3repE0EEENS1_30default_config_static_selectorELNS0_4arch9wavefront6targetE0EEEvSP_.has_indirect_call, 0
	.section	.AMDGPU.csdata,"",@progbits
; Kernel info:
; codeLenInByte = 0
; TotalNumSgprs: 0
; NumVgprs: 0
; ScratchSize: 0
; MemoryBound: 0
; FloatMode: 240
; IeeeMode: 1
; LDSByteSize: 0 bytes/workgroup (compile time only)
; SGPRBlocks: 0
; VGPRBlocks: 0
; NumSGPRsForWavesPerEU: 1
; NumVGPRsForWavesPerEU: 1
; Occupancy: 16
; WaveLimiterHint : 0
; COMPUTE_PGM_RSRC2:SCRATCH_EN: 0
; COMPUTE_PGM_RSRC2:USER_SGPR: 6
; COMPUTE_PGM_RSRC2:TRAP_HANDLER: 0
; COMPUTE_PGM_RSRC2:TGID_X_EN: 1
; COMPUTE_PGM_RSRC2:TGID_Y_EN: 0
; COMPUTE_PGM_RSRC2:TGID_Z_EN: 0
; COMPUTE_PGM_RSRC2:TIDIG_COMP_CNT: 0
	.section	.text._ZN7rocprim17ROCPRIM_400000_NS6detail17trampoline_kernelINS0_14default_configENS1_32segmented_reduce_config_selectorIfEEZNS1_21segmented_reduce_implIS3_PKfPfPKifN6hipcub16HIPCUB_304000_NS6detail27convert_result_type_wrapperIS8_S9_N2at6native12_GLOBAL__N_19CustomMaxEEEEE10hipError_tPvRmT0_T1_jT2_SQ_T4_T3_P12ihipStream_tbEUlT_E_NS1_11comp_targetILNS1_3genE5ELNS1_11target_archE942ELNS1_3gpuE9ELNS1_3repE0EEENS1_30default_config_static_selectorELNS0_4arch9wavefront6targetE0EEEvSP_,"axG",@progbits,_ZN7rocprim17ROCPRIM_400000_NS6detail17trampoline_kernelINS0_14default_configENS1_32segmented_reduce_config_selectorIfEEZNS1_21segmented_reduce_implIS3_PKfPfPKifN6hipcub16HIPCUB_304000_NS6detail27convert_result_type_wrapperIS8_S9_N2at6native12_GLOBAL__N_19CustomMaxEEEEE10hipError_tPvRmT0_T1_jT2_SQ_T4_T3_P12ihipStream_tbEUlT_E_NS1_11comp_targetILNS1_3genE5ELNS1_11target_archE942ELNS1_3gpuE9ELNS1_3repE0EEENS1_30default_config_static_selectorELNS0_4arch9wavefront6targetE0EEEvSP_,comdat
	.globl	_ZN7rocprim17ROCPRIM_400000_NS6detail17trampoline_kernelINS0_14default_configENS1_32segmented_reduce_config_selectorIfEEZNS1_21segmented_reduce_implIS3_PKfPfPKifN6hipcub16HIPCUB_304000_NS6detail27convert_result_type_wrapperIS8_S9_N2at6native12_GLOBAL__N_19CustomMaxEEEEE10hipError_tPvRmT0_T1_jT2_SQ_T4_T3_P12ihipStream_tbEUlT_E_NS1_11comp_targetILNS1_3genE5ELNS1_11target_archE942ELNS1_3gpuE9ELNS1_3repE0EEENS1_30default_config_static_selectorELNS0_4arch9wavefront6targetE0EEEvSP_ ; -- Begin function _ZN7rocprim17ROCPRIM_400000_NS6detail17trampoline_kernelINS0_14default_configENS1_32segmented_reduce_config_selectorIfEEZNS1_21segmented_reduce_implIS3_PKfPfPKifN6hipcub16HIPCUB_304000_NS6detail27convert_result_type_wrapperIS8_S9_N2at6native12_GLOBAL__N_19CustomMaxEEEEE10hipError_tPvRmT0_T1_jT2_SQ_T4_T3_P12ihipStream_tbEUlT_E_NS1_11comp_targetILNS1_3genE5ELNS1_11target_archE942ELNS1_3gpuE9ELNS1_3repE0EEENS1_30default_config_static_selectorELNS0_4arch9wavefront6targetE0EEEvSP_
	.p2align	8
	.type	_ZN7rocprim17ROCPRIM_400000_NS6detail17trampoline_kernelINS0_14default_configENS1_32segmented_reduce_config_selectorIfEEZNS1_21segmented_reduce_implIS3_PKfPfPKifN6hipcub16HIPCUB_304000_NS6detail27convert_result_type_wrapperIS8_S9_N2at6native12_GLOBAL__N_19CustomMaxEEEEE10hipError_tPvRmT0_T1_jT2_SQ_T4_T3_P12ihipStream_tbEUlT_E_NS1_11comp_targetILNS1_3genE5ELNS1_11target_archE942ELNS1_3gpuE9ELNS1_3repE0EEENS1_30default_config_static_selectorELNS0_4arch9wavefront6targetE0EEEvSP_,@function
_ZN7rocprim17ROCPRIM_400000_NS6detail17trampoline_kernelINS0_14default_configENS1_32segmented_reduce_config_selectorIfEEZNS1_21segmented_reduce_implIS3_PKfPfPKifN6hipcub16HIPCUB_304000_NS6detail27convert_result_type_wrapperIS8_S9_N2at6native12_GLOBAL__N_19CustomMaxEEEEE10hipError_tPvRmT0_T1_jT2_SQ_T4_T3_P12ihipStream_tbEUlT_E_NS1_11comp_targetILNS1_3genE5ELNS1_11target_archE942ELNS1_3gpuE9ELNS1_3repE0EEENS1_30default_config_static_selectorELNS0_4arch9wavefront6targetE0EEEvSP_: ; @_ZN7rocprim17ROCPRIM_400000_NS6detail17trampoline_kernelINS0_14default_configENS1_32segmented_reduce_config_selectorIfEEZNS1_21segmented_reduce_implIS3_PKfPfPKifN6hipcub16HIPCUB_304000_NS6detail27convert_result_type_wrapperIS8_S9_N2at6native12_GLOBAL__N_19CustomMaxEEEEE10hipError_tPvRmT0_T1_jT2_SQ_T4_T3_P12ihipStream_tbEUlT_E_NS1_11comp_targetILNS1_3genE5ELNS1_11target_archE942ELNS1_3gpuE9ELNS1_3repE0EEENS1_30default_config_static_selectorELNS0_4arch9wavefront6targetE0EEEvSP_
; %bb.0:
	.section	.rodata,"a",@progbits
	.p2align	6, 0x0
	.amdhsa_kernel _ZN7rocprim17ROCPRIM_400000_NS6detail17trampoline_kernelINS0_14default_configENS1_32segmented_reduce_config_selectorIfEEZNS1_21segmented_reduce_implIS3_PKfPfPKifN6hipcub16HIPCUB_304000_NS6detail27convert_result_type_wrapperIS8_S9_N2at6native12_GLOBAL__N_19CustomMaxEEEEE10hipError_tPvRmT0_T1_jT2_SQ_T4_T3_P12ihipStream_tbEUlT_E_NS1_11comp_targetILNS1_3genE5ELNS1_11target_archE942ELNS1_3gpuE9ELNS1_3repE0EEENS1_30default_config_static_selectorELNS0_4arch9wavefront6targetE0EEEvSP_
		.amdhsa_group_segment_fixed_size 0
		.amdhsa_private_segment_fixed_size 0
		.amdhsa_kernarg_size 48
		.amdhsa_user_sgpr_count 6
		.amdhsa_user_sgpr_private_segment_buffer 1
		.amdhsa_user_sgpr_dispatch_ptr 0
		.amdhsa_user_sgpr_queue_ptr 0
		.amdhsa_user_sgpr_kernarg_segment_ptr 1
		.amdhsa_user_sgpr_dispatch_id 0
		.amdhsa_user_sgpr_flat_scratch_init 0
		.amdhsa_user_sgpr_private_segment_size 0
		.amdhsa_wavefront_size32 1
		.amdhsa_uses_dynamic_stack 0
		.amdhsa_system_sgpr_private_segment_wavefront_offset 0
		.amdhsa_system_sgpr_workgroup_id_x 1
		.amdhsa_system_sgpr_workgroup_id_y 0
		.amdhsa_system_sgpr_workgroup_id_z 0
		.amdhsa_system_sgpr_workgroup_info 0
		.amdhsa_system_vgpr_workitem_id 0
		.amdhsa_next_free_vgpr 1
		.amdhsa_next_free_sgpr 1
		.amdhsa_reserve_vcc 0
		.amdhsa_reserve_flat_scratch 0
		.amdhsa_float_round_mode_32 0
		.amdhsa_float_round_mode_16_64 0
		.amdhsa_float_denorm_mode_32 3
		.amdhsa_float_denorm_mode_16_64 3
		.amdhsa_dx10_clamp 1
		.amdhsa_ieee_mode 1
		.amdhsa_fp16_overflow 0
		.amdhsa_workgroup_processor_mode 1
		.amdhsa_memory_ordered 1
		.amdhsa_forward_progress 1
		.amdhsa_shared_vgpr_count 0
		.amdhsa_exception_fp_ieee_invalid_op 0
		.amdhsa_exception_fp_denorm_src 0
		.amdhsa_exception_fp_ieee_div_zero 0
		.amdhsa_exception_fp_ieee_overflow 0
		.amdhsa_exception_fp_ieee_underflow 0
		.amdhsa_exception_fp_ieee_inexact 0
		.amdhsa_exception_int_div_zero 0
	.end_amdhsa_kernel
	.section	.text._ZN7rocprim17ROCPRIM_400000_NS6detail17trampoline_kernelINS0_14default_configENS1_32segmented_reduce_config_selectorIfEEZNS1_21segmented_reduce_implIS3_PKfPfPKifN6hipcub16HIPCUB_304000_NS6detail27convert_result_type_wrapperIS8_S9_N2at6native12_GLOBAL__N_19CustomMaxEEEEE10hipError_tPvRmT0_T1_jT2_SQ_T4_T3_P12ihipStream_tbEUlT_E_NS1_11comp_targetILNS1_3genE5ELNS1_11target_archE942ELNS1_3gpuE9ELNS1_3repE0EEENS1_30default_config_static_selectorELNS0_4arch9wavefront6targetE0EEEvSP_,"axG",@progbits,_ZN7rocprim17ROCPRIM_400000_NS6detail17trampoline_kernelINS0_14default_configENS1_32segmented_reduce_config_selectorIfEEZNS1_21segmented_reduce_implIS3_PKfPfPKifN6hipcub16HIPCUB_304000_NS6detail27convert_result_type_wrapperIS8_S9_N2at6native12_GLOBAL__N_19CustomMaxEEEEE10hipError_tPvRmT0_T1_jT2_SQ_T4_T3_P12ihipStream_tbEUlT_E_NS1_11comp_targetILNS1_3genE5ELNS1_11target_archE942ELNS1_3gpuE9ELNS1_3repE0EEENS1_30default_config_static_selectorELNS0_4arch9wavefront6targetE0EEEvSP_,comdat
.Lfunc_end44:
	.size	_ZN7rocprim17ROCPRIM_400000_NS6detail17trampoline_kernelINS0_14default_configENS1_32segmented_reduce_config_selectorIfEEZNS1_21segmented_reduce_implIS3_PKfPfPKifN6hipcub16HIPCUB_304000_NS6detail27convert_result_type_wrapperIS8_S9_N2at6native12_GLOBAL__N_19CustomMaxEEEEE10hipError_tPvRmT0_T1_jT2_SQ_T4_T3_P12ihipStream_tbEUlT_E_NS1_11comp_targetILNS1_3genE5ELNS1_11target_archE942ELNS1_3gpuE9ELNS1_3repE0EEENS1_30default_config_static_selectorELNS0_4arch9wavefront6targetE0EEEvSP_, .Lfunc_end44-_ZN7rocprim17ROCPRIM_400000_NS6detail17trampoline_kernelINS0_14default_configENS1_32segmented_reduce_config_selectorIfEEZNS1_21segmented_reduce_implIS3_PKfPfPKifN6hipcub16HIPCUB_304000_NS6detail27convert_result_type_wrapperIS8_S9_N2at6native12_GLOBAL__N_19CustomMaxEEEEE10hipError_tPvRmT0_T1_jT2_SQ_T4_T3_P12ihipStream_tbEUlT_E_NS1_11comp_targetILNS1_3genE5ELNS1_11target_archE942ELNS1_3gpuE9ELNS1_3repE0EEENS1_30default_config_static_selectorELNS0_4arch9wavefront6targetE0EEEvSP_
                                        ; -- End function
	.set _ZN7rocprim17ROCPRIM_400000_NS6detail17trampoline_kernelINS0_14default_configENS1_32segmented_reduce_config_selectorIfEEZNS1_21segmented_reduce_implIS3_PKfPfPKifN6hipcub16HIPCUB_304000_NS6detail27convert_result_type_wrapperIS8_S9_N2at6native12_GLOBAL__N_19CustomMaxEEEEE10hipError_tPvRmT0_T1_jT2_SQ_T4_T3_P12ihipStream_tbEUlT_E_NS1_11comp_targetILNS1_3genE5ELNS1_11target_archE942ELNS1_3gpuE9ELNS1_3repE0EEENS1_30default_config_static_selectorELNS0_4arch9wavefront6targetE0EEEvSP_.num_vgpr, 0
	.set _ZN7rocprim17ROCPRIM_400000_NS6detail17trampoline_kernelINS0_14default_configENS1_32segmented_reduce_config_selectorIfEEZNS1_21segmented_reduce_implIS3_PKfPfPKifN6hipcub16HIPCUB_304000_NS6detail27convert_result_type_wrapperIS8_S9_N2at6native12_GLOBAL__N_19CustomMaxEEEEE10hipError_tPvRmT0_T1_jT2_SQ_T4_T3_P12ihipStream_tbEUlT_E_NS1_11comp_targetILNS1_3genE5ELNS1_11target_archE942ELNS1_3gpuE9ELNS1_3repE0EEENS1_30default_config_static_selectorELNS0_4arch9wavefront6targetE0EEEvSP_.num_agpr, 0
	.set _ZN7rocprim17ROCPRIM_400000_NS6detail17trampoline_kernelINS0_14default_configENS1_32segmented_reduce_config_selectorIfEEZNS1_21segmented_reduce_implIS3_PKfPfPKifN6hipcub16HIPCUB_304000_NS6detail27convert_result_type_wrapperIS8_S9_N2at6native12_GLOBAL__N_19CustomMaxEEEEE10hipError_tPvRmT0_T1_jT2_SQ_T4_T3_P12ihipStream_tbEUlT_E_NS1_11comp_targetILNS1_3genE5ELNS1_11target_archE942ELNS1_3gpuE9ELNS1_3repE0EEENS1_30default_config_static_selectorELNS0_4arch9wavefront6targetE0EEEvSP_.numbered_sgpr, 0
	.set _ZN7rocprim17ROCPRIM_400000_NS6detail17trampoline_kernelINS0_14default_configENS1_32segmented_reduce_config_selectorIfEEZNS1_21segmented_reduce_implIS3_PKfPfPKifN6hipcub16HIPCUB_304000_NS6detail27convert_result_type_wrapperIS8_S9_N2at6native12_GLOBAL__N_19CustomMaxEEEEE10hipError_tPvRmT0_T1_jT2_SQ_T4_T3_P12ihipStream_tbEUlT_E_NS1_11comp_targetILNS1_3genE5ELNS1_11target_archE942ELNS1_3gpuE9ELNS1_3repE0EEENS1_30default_config_static_selectorELNS0_4arch9wavefront6targetE0EEEvSP_.num_named_barrier, 0
	.set _ZN7rocprim17ROCPRIM_400000_NS6detail17trampoline_kernelINS0_14default_configENS1_32segmented_reduce_config_selectorIfEEZNS1_21segmented_reduce_implIS3_PKfPfPKifN6hipcub16HIPCUB_304000_NS6detail27convert_result_type_wrapperIS8_S9_N2at6native12_GLOBAL__N_19CustomMaxEEEEE10hipError_tPvRmT0_T1_jT2_SQ_T4_T3_P12ihipStream_tbEUlT_E_NS1_11comp_targetILNS1_3genE5ELNS1_11target_archE942ELNS1_3gpuE9ELNS1_3repE0EEENS1_30default_config_static_selectorELNS0_4arch9wavefront6targetE0EEEvSP_.private_seg_size, 0
	.set _ZN7rocprim17ROCPRIM_400000_NS6detail17trampoline_kernelINS0_14default_configENS1_32segmented_reduce_config_selectorIfEEZNS1_21segmented_reduce_implIS3_PKfPfPKifN6hipcub16HIPCUB_304000_NS6detail27convert_result_type_wrapperIS8_S9_N2at6native12_GLOBAL__N_19CustomMaxEEEEE10hipError_tPvRmT0_T1_jT2_SQ_T4_T3_P12ihipStream_tbEUlT_E_NS1_11comp_targetILNS1_3genE5ELNS1_11target_archE942ELNS1_3gpuE9ELNS1_3repE0EEENS1_30default_config_static_selectorELNS0_4arch9wavefront6targetE0EEEvSP_.uses_vcc, 0
	.set _ZN7rocprim17ROCPRIM_400000_NS6detail17trampoline_kernelINS0_14default_configENS1_32segmented_reduce_config_selectorIfEEZNS1_21segmented_reduce_implIS3_PKfPfPKifN6hipcub16HIPCUB_304000_NS6detail27convert_result_type_wrapperIS8_S9_N2at6native12_GLOBAL__N_19CustomMaxEEEEE10hipError_tPvRmT0_T1_jT2_SQ_T4_T3_P12ihipStream_tbEUlT_E_NS1_11comp_targetILNS1_3genE5ELNS1_11target_archE942ELNS1_3gpuE9ELNS1_3repE0EEENS1_30default_config_static_selectorELNS0_4arch9wavefront6targetE0EEEvSP_.uses_flat_scratch, 0
	.set _ZN7rocprim17ROCPRIM_400000_NS6detail17trampoline_kernelINS0_14default_configENS1_32segmented_reduce_config_selectorIfEEZNS1_21segmented_reduce_implIS3_PKfPfPKifN6hipcub16HIPCUB_304000_NS6detail27convert_result_type_wrapperIS8_S9_N2at6native12_GLOBAL__N_19CustomMaxEEEEE10hipError_tPvRmT0_T1_jT2_SQ_T4_T3_P12ihipStream_tbEUlT_E_NS1_11comp_targetILNS1_3genE5ELNS1_11target_archE942ELNS1_3gpuE9ELNS1_3repE0EEENS1_30default_config_static_selectorELNS0_4arch9wavefront6targetE0EEEvSP_.has_dyn_sized_stack, 0
	.set _ZN7rocprim17ROCPRIM_400000_NS6detail17trampoline_kernelINS0_14default_configENS1_32segmented_reduce_config_selectorIfEEZNS1_21segmented_reduce_implIS3_PKfPfPKifN6hipcub16HIPCUB_304000_NS6detail27convert_result_type_wrapperIS8_S9_N2at6native12_GLOBAL__N_19CustomMaxEEEEE10hipError_tPvRmT0_T1_jT2_SQ_T4_T3_P12ihipStream_tbEUlT_E_NS1_11comp_targetILNS1_3genE5ELNS1_11target_archE942ELNS1_3gpuE9ELNS1_3repE0EEENS1_30default_config_static_selectorELNS0_4arch9wavefront6targetE0EEEvSP_.has_recursion, 0
	.set _ZN7rocprim17ROCPRIM_400000_NS6detail17trampoline_kernelINS0_14default_configENS1_32segmented_reduce_config_selectorIfEEZNS1_21segmented_reduce_implIS3_PKfPfPKifN6hipcub16HIPCUB_304000_NS6detail27convert_result_type_wrapperIS8_S9_N2at6native12_GLOBAL__N_19CustomMaxEEEEE10hipError_tPvRmT0_T1_jT2_SQ_T4_T3_P12ihipStream_tbEUlT_E_NS1_11comp_targetILNS1_3genE5ELNS1_11target_archE942ELNS1_3gpuE9ELNS1_3repE0EEENS1_30default_config_static_selectorELNS0_4arch9wavefront6targetE0EEEvSP_.has_indirect_call, 0
	.section	.AMDGPU.csdata,"",@progbits
; Kernel info:
; codeLenInByte = 0
; TotalNumSgprs: 0
; NumVgprs: 0
; ScratchSize: 0
; MemoryBound: 0
; FloatMode: 240
; IeeeMode: 1
; LDSByteSize: 0 bytes/workgroup (compile time only)
; SGPRBlocks: 0
; VGPRBlocks: 0
; NumSGPRsForWavesPerEU: 1
; NumVGPRsForWavesPerEU: 1
; Occupancy: 16
; WaveLimiterHint : 0
; COMPUTE_PGM_RSRC2:SCRATCH_EN: 0
; COMPUTE_PGM_RSRC2:USER_SGPR: 6
; COMPUTE_PGM_RSRC2:TRAP_HANDLER: 0
; COMPUTE_PGM_RSRC2:TGID_X_EN: 1
; COMPUTE_PGM_RSRC2:TGID_Y_EN: 0
; COMPUTE_PGM_RSRC2:TGID_Z_EN: 0
; COMPUTE_PGM_RSRC2:TIDIG_COMP_CNT: 0
	.section	.text._ZN7rocprim17ROCPRIM_400000_NS6detail17trampoline_kernelINS0_14default_configENS1_32segmented_reduce_config_selectorIfEEZNS1_21segmented_reduce_implIS3_PKfPfPKifN6hipcub16HIPCUB_304000_NS6detail27convert_result_type_wrapperIS8_S9_N2at6native12_GLOBAL__N_19CustomMaxEEEEE10hipError_tPvRmT0_T1_jT2_SQ_T4_T3_P12ihipStream_tbEUlT_E_NS1_11comp_targetILNS1_3genE10ELNS1_11target_archE1201ELNS1_3gpuE5ELNS1_3repE0EEENS1_30default_config_static_selectorELNS0_4arch9wavefront6targetE0EEEvSP_,"axG",@progbits,_ZN7rocprim17ROCPRIM_400000_NS6detail17trampoline_kernelINS0_14default_configENS1_32segmented_reduce_config_selectorIfEEZNS1_21segmented_reduce_implIS3_PKfPfPKifN6hipcub16HIPCUB_304000_NS6detail27convert_result_type_wrapperIS8_S9_N2at6native12_GLOBAL__N_19CustomMaxEEEEE10hipError_tPvRmT0_T1_jT2_SQ_T4_T3_P12ihipStream_tbEUlT_E_NS1_11comp_targetILNS1_3genE10ELNS1_11target_archE1201ELNS1_3gpuE5ELNS1_3repE0EEENS1_30default_config_static_selectorELNS0_4arch9wavefront6targetE0EEEvSP_,comdat
	.globl	_ZN7rocprim17ROCPRIM_400000_NS6detail17trampoline_kernelINS0_14default_configENS1_32segmented_reduce_config_selectorIfEEZNS1_21segmented_reduce_implIS3_PKfPfPKifN6hipcub16HIPCUB_304000_NS6detail27convert_result_type_wrapperIS8_S9_N2at6native12_GLOBAL__N_19CustomMaxEEEEE10hipError_tPvRmT0_T1_jT2_SQ_T4_T3_P12ihipStream_tbEUlT_E_NS1_11comp_targetILNS1_3genE10ELNS1_11target_archE1201ELNS1_3gpuE5ELNS1_3repE0EEENS1_30default_config_static_selectorELNS0_4arch9wavefront6targetE0EEEvSP_ ; -- Begin function _ZN7rocprim17ROCPRIM_400000_NS6detail17trampoline_kernelINS0_14default_configENS1_32segmented_reduce_config_selectorIfEEZNS1_21segmented_reduce_implIS3_PKfPfPKifN6hipcub16HIPCUB_304000_NS6detail27convert_result_type_wrapperIS8_S9_N2at6native12_GLOBAL__N_19CustomMaxEEEEE10hipError_tPvRmT0_T1_jT2_SQ_T4_T3_P12ihipStream_tbEUlT_E_NS1_11comp_targetILNS1_3genE10ELNS1_11target_archE1201ELNS1_3gpuE5ELNS1_3repE0EEENS1_30default_config_static_selectorELNS0_4arch9wavefront6targetE0EEEvSP_
	.p2align	8
	.type	_ZN7rocprim17ROCPRIM_400000_NS6detail17trampoline_kernelINS0_14default_configENS1_32segmented_reduce_config_selectorIfEEZNS1_21segmented_reduce_implIS3_PKfPfPKifN6hipcub16HIPCUB_304000_NS6detail27convert_result_type_wrapperIS8_S9_N2at6native12_GLOBAL__N_19CustomMaxEEEEE10hipError_tPvRmT0_T1_jT2_SQ_T4_T3_P12ihipStream_tbEUlT_E_NS1_11comp_targetILNS1_3genE10ELNS1_11target_archE1201ELNS1_3gpuE5ELNS1_3repE0EEENS1_30default_config_static_selectorELNS0_4arch9wavefront6targetE0EEEvSP_,@function
_ZN7rocprim17ROCPRIM_400000_NS6detail17trampoline_kernelINS0_14default_configENS1_32segmented_reduce_config_selectorIfEEZNS1_21segmented_reduce_implIS3_PKfPfPKifN6hipcub16HIPCUB_304000_NS6detail27convert_result_type_wrapperIS8_S9_N2at6native12_GLOBAL__N_19CustomMaxEEEEE10hipError_tPvRmT0_T1_jT2_SQ_T4_T3_P12ihipStream_tbEUlT_E_NS1_11comp_targetILNS1_3genE10ELNS1_11target_archE1201ELNS1_3gpuE5ELNS1_3repE0EEENS1_30default_config_static_selectorELNS0_4arch9wavefront6targetE0EEEvSP_: ; @_ZN7rocprim17ROCPRIM_400000_NS6detail17trampoline_kernelINS0_14default_configENS1_32segmented_reduce_config_selectorIfEEZNS1_21segmented_reduce_implIS3_PKfPfPKifN6hipcub16HIPCUB_304000_NS6detail27convert_result_type_wrapperIS8_S9_N2at6native12_GLOBAL__N_19CustomMaxEEEEE10hipError_tPvRmT0_T1_jT2_SQ_T4_T3_P12ihipStream_tbEUlT_E_NS1_11comp_targetILNS1_3genE10ELNS1_11target_archE1201ELNS1_3gpuE5ELNS1_3repE0EEENS1_30default_config_static_selectorELNS0_4arch9wavefront6targetE0EEEvSP_
; %bb.0:
	.section	.rodata,"a",@progbits
	.p2align	6, 0x0
	.amdhsa_kernel _ZN7rocprim17ROCPRIM_400000_NS6detail17trampoline_kernelINS0_14default_configENS1_32segmented_reduce_config_selectorIfEEZNS1_21segmented_reduce_implIS3_PKfPfPKifN6hipcub16HIPCUB_304000_NS6detail27convert_result_type_wrapperIS8_S9_N2at6native12_GLOBAL__N_19CustomMaxEEEEE10hipError_tPvRmT0_T1_jT2_SQ_T4_T3_P12ihipStream_tbEUlT_E_NS1_11comp_targetILNS1_3genE10ELNS1_11target_archE1201ELNS1_3gpuE5ELNS1_3repE0EEENS1_30default_config_static_selectorELNS0_4arch9wavefront6targetE0EEEvSP_
		.amdhsa_group_segment_fixed_size 0
		.amdhsa_private_segment_fixed_size 0
		.amdhsa_kernarg_size 48
		.amdhsa_user_sgpr_count 6
		.amdhsa_user_sgpr_private_segment_buffer 1
		.amdhsa_user_sgpr_dispatch_ptr 0
		.amdhsa_user_sgpr_queue_ptr 0
		.amdhsa_user_sgpr_kernarg_segment_ptr 1
		.amdhsa_user_sgpr_dispatch_id 0
		.amdhsa_user_sgpr_flat_scratch_init 0
		.amdhsa_user_sgpr_private_segment_size 0
		.amdhsa_wavefront_size32 1
		.amdhsa_uses_dynamic_stack 0
		.amdhsa_system_sgpr_private_segment_wavefront_offset 0
		.amdhsa_system_sgpr_workgroup_id_x 1
		.amdhsa_system_sgpr_workgroup_id_y 0
		.amdhsa_system_sgpr_workgroup_id_z 0
		.amdhsa_system_sgpr_workgroup_info 0
		.amdhsa_system_vgpr_workitem_id 0
		.amdhsa_next_free_vgpr 1
		.amdhsa_next_free_sgpr 1
		.amdhsa_reserve_vcc 0
		.amdhsa_reserve_flat_scratch 0
		.amdhsa_float_round_mode_32 0
		.amdhsa_float_round_mode_16_64 0
		.amdhsa_float_denorm_mode_32 3
		.amdhsa_float_denorm_mode_16_64 3
		.amdhsa_dx10_clamp 1
		.amdhsa_ieee_mode 1
		.amdhsa_fp16_overflow 0
		.amdhsa_workgroup_processor_mode 1
		.amdhsa_memory_ordered 1
		.amdhsa_forward_progress 1
		.amdhsa_shared_vgpr_count 0
		.amdhsa_exception_fp_ieee_invalid_op 0
		.amdhsa_exception_fp_denorm_src 0
		.amdhsa_exception_fp_ieee_div_zero 0
		.amdhsa_exception_fp_ieee_overflow 0
		.amdhsa_exception_fp_ieee_underflow 0
		.amdhsa_exception_fp_ieee_inexact 0
		.amdhsa_exception_int_div_zero 0
	.end_amdhsa_kernel
	.section	.text._ZN7rocprim17ROCPRIM_400000_NS6detail17trampoline_kernelINS0_14default_configENS1_32segmented_reduce_config_selectorIfEEZNS1_21segmented_reduce_implIS3_PKfPfPKifN6hipcub16HIPCUB_304000_NS6detail27convert_result_type_wrapperIS8_S9_N2at6native12_GLOBAL__N_19CustomMaxEEEEE10hipError_tPvRmT0_T1_jT2_SQ_T4_T3_P12ihipStream_tbEUlT_E_NS1_11comp_targetILNS1_3genE10ELNS1_11target_archE1201ELNS1_3gpuE5ELNS1_3repE0EEENS1_30default_config_static_selectorELNS0_4arch9wavefront6targetE0EEEvSP_,"axG",@progbits,_ZN7rocprim17ROCPRIM_400000_NS6detail17trampoline_kernelINS0_14default_configENS1_32segmented_reduce_config_selectorIfEEZNS1_21segmented_reduce_implIS3_PKfPfPKifN6hipcub16HIPCUB_304000_NS6detail27convert_result_type_wrapperIS8_S9_N2at6native12_GLOBAL__N_19CustomMaxEEEEE10hipError_tPvRmT0_T1_jT2_SQ_T4_T3_P12ihipStream_tbEUlT_E_NS1_11comp_targetILNS1_3genE10ELNS1_11target_archE1201ELNS1_3gpuE5ELNS1_3repE0EEENS1_30default_config_static_selectorELNS0_4arch9wavefront6targetE0EEEvSP_,comdat
.Lfunc_end45:
	.size	_ZN7rocprim17ROCPRIM_400000_NS6detail17trampoline_kernelINS0_14default_configENS1_32segmented_reduce_config_selectorIfEEZNS1_21segmented_reduce_implIS3_PKfPfPKifN6hipcub16HIPCUB_304000_NS6detail27convert_result_type_wrapperIS8_S9_N2at6native12_GLOBAL__N_19CustomMaxEEEEE10hipError_tPvRmT0_T1_jT2_SQ_T4_T3_P12ihipStream_tbEUlT_E_NS1_11comp_targetILNS1_3genE10ELNS1_11target_archE1201ELNS1_3gpuE5ELNS1_3repE0EEENS1_30default_config_static_selectorELNS0_4arch9wavefront6targetE0EEEvSP_, .Lfunc_end45-_ZN7rocprim17ROCPRIM_400000_NS6detail17trampoline_kernelINS0_14default_configENS1_32segmented_reduce_config_selectorIfEEZNS1_21segmented_reduce_implIS3_PKfPfPKifN6hipcub16HIPCUB_304000_NS6detail27convert_result_type_wrapperIS8_S9_N2at6native12_GLOBAL__N_19CustomMaxEEEEE10hipError_tPvRmT0_T1_jT2_SQ_T4_T3_P12ihipStream_tbEUlT_E_NS1_11comp_targetILNS1_3genE10ELNS1_11target_archE1201ELNS1_3gpuE5ELNS1_3repE0EEENS1_30default_config_static_selectorELNS0_4arch9wavefront6targetE0EEEvSP_
                                        ; -- End function
	.set _ZN7rocprim17ROCPRIM_400000_NS6detail17trampoline_kernelINS0_14default_configENS1_32segmented_reduce_config_selectorIfEEZNS1_21segmented_reduce_implIS3_PKfPfPKifN6hipcub16HIPCUB_304000_NS6detail27convert_result_type_wrapperIS8_S9_N2at6native12_GLOBAL__N_19CustomMaxEEEEE10hipError_tPvRmT0_T1_jT2_SQ_T4_T3_P12ihipStream_tbEUlT_E_NS1_11comp_targetILNS1_3genE10ELNS1_11target_archE1201ELNS1_3gpuE5ELNS1_3repE0EEENS1_30default_config_static_selectorELNS0_4arch9wavefront6targetE0EEEvSP_.num_vgpr, 0
	.set _ZN7rocprim17ROCPRIM_400000_NS6detail17trampoline_kernelINS0_14default_configENS1_32segmented_reduce_config_selectorIfEEZNS1_21segmented_reduce_implIS3_PKfPfPKifN6hipcub16HIPCUB_304000_NS6detail27convert_result_type_wrapperIS8_S9_N2at6native12_GLOBAL__N_19CustomMaxEEEEE10hipError_tPvRmT0_T1_jT2_SQ_T4_T3_P12ihipStream_tbEUlT_E_NS1_11comp_targetILNS1_3genE10ELNS1_11target_archE1201ELNS1_3gpuE5ELNS1_3repE0EEENS1_30default_config_static_selectorELNS0_4arch9wavefront6targetE0EEEvSP_.num_agpr, 0
	.set _ZN7rocprim17ROCPRIM_400000_NS6detail17trampoline_kernelINS0_14default_configENS1_32segmented_reduce_config_selectorIfEEZNS1_21segmented_reduce_implIS3_PKfPfPKifN6hipcub16HIPCUB_304000_NS6detail27convert_result_type_wrapperIS8_S9_N2at6native12_GLOBAL__N_19CustomMaxEEEEE10hipError_tPvRmT0_T1_jT2_SQ_T4_T3_P12ihipStream_tbEUlT_E_NS1_11comp_targetILNS1_3genE10ELNS1_11target_archE1201ELNS1_3gpuE5ELNS1_3repE0EEENS1_30default_config_static_selectorELNS0_4arch9wavefront6targetE0EEEvSP_.numbered_sgpr, 0
	.set _ZN7rocprim17ROCPRIM_400000_NS6detail17trampoline_kernelINS0_14default_configENS1_32segmented_reduce_config_selectorIfEEZNS1_21segmented_reduce_implIS3_PKfPfPKifN6hipcub16HIPCUB_304000_NS6detail27convert_result_type_wrapperIS8_S9_N2at6native12_GLOBAL__N_19CustomMaxEEEEE10hipError_tPvRmT0_T1_jT2_SQ_T4_T3_P12ihipStream_tbEUlT_E_NS1_11comp_targetILNS1_3genE10ELNS1_11target_archE1201ELNS1_3gpuE5ELNS1_3repE0EEENS1_30default_config_static_selectorELNS0_4arch9wavefront6targetE0EEEvSP_.num_named_barrier, 0
	.set _ZN7rocprim17ROCPRIM_400000_NS6detail17trampoline_kernelINS0_14default_configENS1_32segmented_reduce_config_selectorIfEEZNS1_21segmented_reduce_implIS3_PKfPfPKifN6hipcub16HIPCUB_304000_NS6detail27convert_result_type_wrapperIS8_S9_N2at6native12_GLOBAL__N_19CustomMaxEEEEE10hipError_tPvRmT0_T1_jT2_SQ_T4_T3_P12ihipStream_tbEUlT_E_NS1_11comp_targetILNS1_3genE10ELNS1_11target_archE1201ELNS1_3gpuE5ELNS1_3repE0EEENS1_30default_config_static_selectorELNS0_4arch9wavefront6targetE0EEEvSP_.private_seg_size, 0
	.set _ZN7rocprim17ROCPRIM_400000_NS6detail17trampoline_kernelINS0_14default_configENS1_32segmented_reduce_config_selectorIfEEZNS1_21segmented_reduce_implIS3_PKfPfPKifN6hipcub16HIPCUB_304000_NS6detail27convert_result_type_wrapperIS8_S9_N2at6native12_GLOBAL__N_19CustomMaxEEEEE10hipError_tPvRmT0_T1_jT2_SQ_T4_T3_P12ihipStream_tbEUlT_E_NS1_11comp_targetILNS1_3genE10ELNS1_11target_archE1201ELNS1_3gpuE5ELNS1_3repE0EEENS1_30default_config_static_selectorELNS0_4arch9wavefront6targetE0EEEvSP_.uses_vcc, 0
	.set _ZN7rocprim17ROCPRIM_400000_NS6detail17trampoline_kernelINS0_14default_configENS1_32segmented_reduce_config_selectorIfEEZNS1_21segmented_reduce_implIS3_PKfPfPKifN6hipcub16HIPCUB_304000_NS6detail27convert_result_type_wrapperIS8_S9_N2at6native12_GLOBAL__N_19CustomMaxEEEEE10hipError_tPvRmT0_T1_jT2_SQ_T4_T3_P12ihipStream_tbEUlT_E_NS1_11comp_targetILNS1_3genE10ELNS1_11target_archE1201ELNS1_3gpuE5ELNS1_3repE0EEENS1_30default_config_static_selectorELNS0_4arch9wavefront6targetE0EEEvSP_.uses_flat_scratch, 0
	.set _ZN7rocprim17ROCPRIM_400000_NS6detail17trampoline_kernelINS0_14default_configENS1_32segmented_reduce_config_selectorIfEEZNS1_21segmented_reduce_implIS3_PKfPfPKifN6hipcub16HIPCUB_304000_NS6detail27convert_result_type_wrapperIS8_S9_N2at6native12_GLOBAL__N_19CustomMaxEEEEE10hipError_tPvRmT0_T1_jT2_SQ_T4_T3_P12ihipStream_tbEUlT_E_NS1_11comp_targetILNS1_3genE10ELNS1_11target_archE1201ELNS1_3gpuE5ELNS1_3repE0EEENS1_30default_config_static_selectorELNS0_4arch9wavefront6targetE0EEEvSP_.has_dyn_sized_stack, 0
	.set _ZN7rocprim17ROCPRIM_400000_NS6detail17trampoline_kernelINS0_14default_configENS1_32segmented_reduce_config_selectorIfEEZNS1_21segmented_reduce_implIS3_PKfPfPKifN6hipcub16HIPCUB_304000_NS6detail27convert_result_type_wrapperIS8_S9_N2at6native12_GLOBAL__N_19CustomMaxEEEEE10hipError_tPvRmT0_T1_jT2_SQ_T4_T3_P12ihipStream_tbEUlT_E_NS1_11comp_targetILNS1_3genE10ELNS1_11target_archE1201ELNS1_3gpuE5ELNS1_3repE0EEENS1_30default_config_static_selectorELNS0_4arch9wavefront6targetE0EEEvSP_.has_recursion, 0
	.set _ZN7rocprim17ROCPRIM_400000_NS6detail17trampoline_kernelINS0_14default_configENS1_32segmented_reduce_config_selectorIfEEZNS1_21segmented_reduce_implIS3_PKfPfPKifN6hipcub16HIPCUB_304000_NS6detail27convert_result_type_wrapperIS8_S9_N2at6native12_GLOBAL__N_19CustomMaxEEEEE10hipError_tPvRmT0_T1_jT2_SQ_T4_T3_P12ihipStream_tbEUlT_E_NS1_11comp_targetILNS1_3genE10ELNS1_11target_archE1201ELNS1_3gpuE5ELNS1_3repE0EEENS1_30default_config_static_selectorELNS0_4arch9wavefront6targetE0EEEvSP_.has_indirect_call, 0
	.section	.AMDGPU.csdata,"",@progbits
; Kernel info:
; codeLenInByte = 0
; TotalNumSgprs: 0
; NumVgprs: 0
; ScratchSize: 0
; MemoryBound: 0
; FloatMode: 240
; IeeeMode: 1
; LDSByteSize: 0 bytes/workgroup (compile time only)
; SGPRBlocks: 0
; VGPRBlocks: 0
; NumSGPRsForWavesPerEU: 1
; NumVGPRsForWavesPerEU: 1
; Occupancy: 16
; WaveLimiterHint : 0
; COMPUTE_PGM_RSRC2:SCRATCH_EN: 0
; COMPUTE_PGM_RSRC2:USER_SGPR: 6
; COMPUTE_PGM_RSRC2:TRAP_HANDLER: 0
; COMPUTE_PGM_RSRC2:TGID_X_EN: 1
; COMPUTE_PGM_RSRC2:TGID_Y_EN: 0
; COMPUTE_PGM_RSRC2:TGID_Z_EN: 0
; COMPUTE_PGM_RSRC2:TIDIG_COMP_CNT: 0
	.section	.text._ZN7rocprim17ROCPRIM_400000_NS6detail17trampoline_kernelINS0_14default_configENS1_32segmented_reduce_config_selectorIfEEZNS1_21segmented_reduce_implIS3_PKfPfPKifN6hipcub16HIPCUB_304000_NS6detail27convert_result_type_wrapperIS8_S9_N2at6native12_GLOBAL__N_19CustomMaxEEEEE10hipError_tPvRmT0_T1_jT2_SQ_T4_T3_P12ihipStream_tbEUlT_E_NS1_11comp_targetILNS1_3genE4ELNS1_11target_archE910ELNS1_3gpuE8ELNS1_3repE0EEENS1_30default_config_static_selectorELNS0_4arch9wavefront6targetE0EEEvSP_,"axG",@progbits,_ZN7rocprim17ROCPRIM_400000_NS6detail17trampoline_kernelINS0_14default_configENS1_32segmented_reduce_config_selectorIfEEZNS1_21segmented_reduce_implIS3_PKfPfPKifN6hipcub16HIPCUB_304000_NS6detail27convert_result_type_wrapperIS8_S9_N2at6native12_GLOBAL__N_19CustomMaxEEEEE10hipError_tPvRmT0_T1_jT2_SQ_T4_T3_P12ihipStream_tbEUlT_E_NS1_11comp_targetILNS1_3genE4ELNS1_11target_archE910ELNS1_3gpuE8ELNS1_3repE0EEENS1_30default_config_static_selectorELNS0_4arch9wavefront6targetE0EEEvSP_,comdat
	.globl	_ZN7rocprim17ROCPRIM_400000_NS6detail17trampoline_kernelINS0_14default_configENS1_32segmented_reduce_config_selectorIfEEZNS1_21segmented_reduce_implIS3_PKfPfPKifN6hipcub16HIPCUB_304000_NS6detail27convert_result_type_wrapperIS8_S9_N2at6native12_GLOBAL__N_19CustomMaxEEEEE10hipError_tPvRmT0_T1_jT2_SQ_T4_T3_P12ihipStream_tbEUlT_E_NS1_11comp_targetILNS1_3genE4ELNS1_11target_archE910ELNS1_3gpuE8ELNS1_3repE0EEENS1_30default_config_static_selectorELNS0_4arch9wavefront6targetE0EEEvSP_ ; -- Begin function _ZN7rocprim17ROCPRIM_400000_NS6detail17trampoline_kernelINS0_14default_configENS1_32segmented_reduce_config_selectorIfEEZNS1_21segmented_reduce_implIS3_PKfPfPKifN6hipcub16HIPCUB_304000_NS6detail27convert_result_type_wrapperIS8_S9_N2at6native12_GLOBAL__N_19CustomMaxEEEEE10hipError_tPvRmT0_T1_jT2_SQ_T4_T3_P12ihipStream_tbEUlT_E_NS1_11comp_targetILNS1_3genE4ELNS1_11target_archE910ELNS1_3gpuE8ELNS1_3repE0EEENS1_30default_config_static_selectorELNS0_4arch9wavefront6targetE0EEEvSP_
	.p2align	8
	.type	_ZN7rocprim17ROCPRIM_400000_NS6detail17trampoline_kernelINS0_14default_configENS1_32segmented_reduce_config_selectorIfEEZNS1_21segmented_reduce_implIS3_PKfPfPKifN6hipcub16HIPCUB_304000_NS6detail27convert_result_type_wrapperIS8_S9_N2at6native12_GLOBAL__N_19CustomMaxEEEEE10hipError_tPvRmT0_T1_jT2_SQ_T4_T3_P12ihipStream_tbEUlT_E_NS1_11comp_targetILNS1_3genE4ELNS1_11target_archE910ELNS1_3gpuE8ELNS1_3repE0EEENS1_30default_config_static_selectorELNS0_4arch9wavefront6targetE0EEEvSP_,@function
_ZN7rocprim17ROCPRIM_400000_NS6detail17trampoline_kernelINS0_14default_configENS1_32segmented_reduce_config_selectorIfEEZNS1_21segmented_reduce_implIS3_PKfPfPKifN6hipcub16HIPCUB_304000_NS6detail27convert_result_type_wrapperIS8_S9_N2at6native12_GLOBAL__N_19CustomMaxEEEEE10hipError_tPvRmT0_T1_jT2_SQ_T4_T3_P12ihipStream_tbEUlT_E_NS1_11comp_targetILNS1_3genE4ELNS1_11target_archE910ELNS1_3gpuE8ELNS1_3repE0EEENS1_30default_config_static_selectorELNS0_4arch9wavefront6targetE0EEEvSP_: ; @_ZN7rocprim17ROCPRIM_400000_NS6detail17trampoline_kernelINS0_14default_configENS1_32segmented_reduce_config_selectorIfEEZNS1_21segmented_reduce_implIS3_PKfPfPKifN6hipcub16HIPCUB_304000_NS6detail27convert_result_type_wrapperIS8_S9_N2at6native12_GLOBAL__N_19CustomMaxEEEEE10hipError_tPvRmT0_T1_jT2_SQ_T4_T3_P12ihipStream_tbEUlT_E_NS1_11comp_targetILNS1_3genE4ELNS1_11target_archE910ELNS1_3gpuE8ELNS1_3repE0EEENS1_30default_config_static_selectorELNS0_4arch9wavefront6targetE0EEEvSP_
; %bb.0:
	.section	.rodata,"a",@progbits
	.p2align	6, 0x0
	.amdhsa_kernel _ZN7rocprim17ROCPRIM_400000_NS6detail17trampoline_kernelINS0_14default_configENS1_32segmented_reduce_config_selectorIfEEZNS1_21segmented_reduce_implIS3_PKfPfPKifN6hipcub16HIPCUB_304000_NS6detail27convert_result_type_wrapperIS8_S9_N2at6native12_GLOBAL__N_19CustomMaxEEEEE10hipError_tPvRmT0_T1_jT2_SQ_T4_T3_P12ihipStream_tbEUlT_E_NS1_11comp_targetILNS1_3genE4ELNS1_11target_archE910ELNS1_3gpuE8ELNS1_3repE0EEENS1_30default_config_static_selectorELNS0_4arch9wavefront6targetE0EEEvSP_
		.amdhsa_group_segment_fixed_size 0
		.amdhsa_private_segment_fixed_size 0
		.amdhsa_kernarg_size 48
		.amdhsa_user_sgpr_count 6
		.amdhsa_user_sgpr_private_segment_buffer 1
		.amdhsa_user_sgpr_dispatch_ptr 0
		.amdhsa_user_sgpr_queue_ptr 0
		.amdhsa_user_sgpr_kernarg_segment_ptr 1
		.amdhsa_user_sgpr_dispatch_id 0
		.amdhsa_user_sgpr_flat_scratch_init 0
		.amdhsa_user_sgpr_private_segment_size 0
		.amdhsa_wavefront_size32 1
		.amdhsa_uses_dynamic_stack 0
		.amdhsa_system_sgpr_private_segment_wavefront_offset 0
		.amdhsa_system_sgpr_workgroup_id_x 1
		.amdhsa_system_sgpr_workgroup_id_y 0
		.amdhsa_system_sgpr_workgroup_id_z 0
		.amdhsa_system_sgpr_workgroup_info 0
		.amdhsa_system_vgpr_workitem_id 0
		.amdhsa_next_free_vgpr 1
		.amdhsa_next_free_sgpr 1
		.amdhsa_reserve_vcc 0
		.amdhsa_reserve_flat_scratch 0
		.amdhsa_float_round_mode_32 0
		.amdhsa_float_round_mode_16_64 0
		.amdhsa_float_denorm_mode_32 3
		.amdhsa_float_denorm_mode_16_64 3
		.amdhsa_dx10_clamp 1
		.amdhsa_ieee_mode 1
		.amdhsa_fp16_overflow 0
		.amdhsa_workgroup_processor_mode 1
		.amdhsa_memory_ordered 1
		.amdhsa_forward_progress 1
		.amdhsa_shared_vgpr_count 0
		.amdhsa_exception_fp_ieee_invalid_op 0
		.amdhsa_exception_fp_denorm_src 0
		.amdhsa_exception_fp_ieee_div_zero 0
		.amdhsa_exception_fp_ieee_overflow 0
		.amdhsa_exception_fp_ieee_underflow 0
		.amdhsa_exception_fp_ieee_inexact 0
		.amdhsa_exception_int_div_zero 0
	.end_amdhsa_kernel
	.section	.text._ZN7rocprim17ROCPRIM_400000_NS6detail17trampoline_kernelINS0_14default_configENS1_32segmented_reduce_config_selectorIfEEZNS1_21segmented_reduce_implIS3_PKfPfPKifN6hipcub16HIPCUB_304000_NS6detail27convert_result_type_wrapperIS8_S9_N2at6native12_GLOBAL__N_19CustomMaxEEEEE10hipError_tPvRmT0_T1_jT2_SQ_T4_T3_P12ihipStream_tbEUlT_E_NS1_11comp_targetILNS1_3genE4ELNS1_11target_archE910ELNS1_3gpuE8ELNS1_3repE0EEENS1_30default_config_static_selectorELNS0_4arch9wavefront6targetE0EEEvSP_,"axG",@progbits,_ZN7rocprim17ROCPRIM_400000_NS6detail17trampoline_kernelINS0_14default_configENS1_32segmented_reduce_config_selectorIfEEZNS1_21segmented_reduce_implIS3_PKfPfPKifN6hipcub16HIPCUB_304000_NS6detail27convert_result_type_wrapperIS8_S9_N2at6native12_GLOBAL__N_19CustomMaxEEEEE10hipError_tPvRmT0_T1_jT2_SQ_T4_T3_P12ihipStream_tbEUlT_E_NS1_11comp_targetILNS1_3genE4ELNS1_11target_archE910ELNS1_3gpuE8ELNS1_3repE0EEENS1_30default_config_static_selectorELNS0_4arch9wavefront6targetE0EEEvSP_,comdat
.Lfunc_end46:
	.size	_ZN7rocprim17ROCPRIM_400000_NS6detail17trampoline_kernelINS0_14default_configENS1_32segmented_reduce_config_selectorIfEEZNS1_21segmented_reduce_implIS3_PKfPfPKifN6hipcub16HIPCUB_304000_NS6detail27convert_result_type_wrapperIS8_S9_N2at6native12_GLOBAL__N_19CustomMaxEEEEE10hipError_tPvRmT0_T1_jT2_SQ_T4_T3_P12ihipStream_tbEUlT_E_NS1_11comp_targetILNS1_3genE4ELNS1_11target_archE910ELNS1_3gpuE8ELNS1_3repE0EEENS1_30default_config_static_selectorELNS0_4arch9wavefront6targetE0EEEvSP_, .Lfunc_end46-_ZN7rocprim17ROCPRIM_400000_NS6detail17trampoline_kernelINS0_14default_configENS1_32segmented_reduce_config_selectorIfEEZNS1_21segmented_reduce_implIS3_PKfPfPKifN6hipcub16HIPCUB_304000_NS6detail27convert_result_type_wrapperIS8_S9_N2at6native12_GLOBAL__N_19CustomMaxEEEEE10hipError_tPvRmT0_T1_jT2_SQ_T4_T3_P12ihipStream_tbEUlT_E_NS1_11comp_targetILNS1_3genE4ELNS1_11target_archE910ELNS1_3gpuE8ELNS1_3repE0EEENS1_30default_config_static_selectorELNS0_4arch9wavefront6targetE0EEEvSP_
                                        ; -- End function
	.set _ZN7rocprim17ROCPRIM_400000_NS6detail17trampoline_kernelINS0_14default_configENS1_32segmented_reduce_config_selectorIfEEZNS1_21segmented_reduce_implIS3_PKfPfPKifN6hipcub16HIPCUB_304000_NS6detail27convert_result_type_wrapperIS8_S9_N2at6native12_GLOBAL__N_19CustomMaxEEEEE10hipError_tPvRmT0_T1_jT2_SQ_T4_T3_P12ihipStream_tbEUlT_E_NS1_11comp_targetILNS1_3genE4ELNS1_11target_archE910ELNS1_3gpuE8ELNS1_3repE0EEENS1_30default_config_static_selectorELNS0_4arch9wavefront6targetE0EEEvSP_.num_vgpr, 0
	.set _ZN7rocprim17ROCPRIM_400000_NS6detail17trampoline_kernelINS0_14default_configENS1_32segmented_reduce_config_selectorIfEEZNS1_21segmented_reduce_implIS3_PKfPfPKifN6hipcub16HIPCUB_304000_NS6detail27convert_result_type_wrapperIS8_S9_N2at6native12_GLOBAL__N_19CustomMaxEEEEE10hipError_tPvRmT0_T1_jT2_SQ_T4_T3_P12ihipStream_tbEUlT_E_NS1_11comp_targetILNS1_3genE4ELNS1_11target_archE910ELNS1_3gpuE8ELNS1_3repE0EEENS1_30default_config_static_selectorELNS0_4arch9wavefront6targetE0EEEvSP_.num_agpr, 0
	.set _ZN7rocprim17ROCPRIM_400000_NS6detail17trampoline_kernelINS0_14default_configENS1_32segmented_reduce_config_selectorIfEEZNS1_21segmented_reduce_implIS3_PKfPfPKifN6hipcub16HIPCUB_304000_NS6detail27convert_result_type_wrapperIS8_S9_N2at6native12_GLOBAL__N_19CustomMaxEEEEE10hipError_tPvRmT0_T1_jT2_SQ_T4_T3_P12ihipStream_tbEUlT_E_NS1_11comp_targetILNS1_3genE4ELNS1_11target_archE910ELNS1_3gpuE8ELNS1_3repE0EEENS1_30default_config_static_selectorELNS0_4arch9wavefront6targetE0EEEvSP_.numbered_sgpr, 0
	.set _ZN7rocprim17ROCPRIM_400000_NS6detail17trampoline_kernelINS0_14default_configENS1_32segmented_reduce_config_selectorIfEEZNS1_21segmented_reduce_implIS3_PKfPfPKifN6hipcub16HIPCUB_304000_NS6detail27convert_result_type_wrapperIS8_S9_N2at6native12_GLOBAL__N_19CustomMaxEEEEE10hipError_tPvRmT0_T1_jT2_SQ_T4_T3_P12ihipStream_tbEUlT_E_NS1_11comp_targetILNS1_3genE4ELNS1_11target_archE910ELNS1_3gpuE8ELNS1_3repE0EEENS1_30default_config_static_selectorELNS0_4arch9wavefront6targetE0EEEvSP_.num_named_barrier, 0
	.set _ZN7rocprim17ROCPRIM_400000_NS6detail17trampoline_kernelINS0_14default_configENS1_32segmented_reduce_config_selectorIfEEZNS1_21segmented_reduce_implIS3_PKfPfPKifN6hipcub16HIPCUB_304000_NS6detail27convert_result_type_wrapperIS8_S9_N2at6native12_GLOBAL__N_19CustomMaxEEEEE10hipError_tPvRmT0_T1_jT2_SQ_T4_T3_P12ihipStream_tbEUlT_E_NS1_11comp_targetILNS1_3genE4ELNS1_11target_archE910ELNS1_3gpuE8ELNS1_3repE0EEENS1_30default_config_static_selectorELNS0_4arch9wavefront6targetE0EEEvSP_.private_seg_size, 0
	.set _ZN7rocprim17ROCPRIM_400000_NS6detail17trampoline_kernelINS0_14default_configENS1_32segmented_reduce_config_selectorIfEEZNS1_21segmented_reduce_implIS3_PKfPfPKifN6hipcub16HIPCUB_304000_NS6detail27convert_result_type_wrapperIS8_S9_N2at6native12_GLOBAL__N_19CustomMaxEEEEE10hipError_tPvRmT0_T1_jT2_SQ_T4_T3_P12ihipStream_tbEUlT_E_NS1_11comp_targetILNS1_3genE4ELNS1_11target_archE910ELNS1_3gpuE8ELNS1_3repE0EEENS1_30default_config_static_selectorELNS0_4arch9wavefront6targetE0EEEvSP_.uses_vcc, 0
	.set _ZN7rocprim17ROCPRIM_400000_NS6detail17trampoline_kernelINS0_14default_configENS1_32segmented_reduce_config_selectorIfEEZNS1_21segmented_reduce_implIS3_PKfPfPKifN6hipcub16HIPCUB_304000_NS6detail27convert_result_type_wrapperIS8_S9_N2at6native12_GLOBAL__N_19CustomMaxEEEEE10hipError_tPvRmT0_T1_jT2_SQ_T4_T3_P12ihipStream_tbEUlT_E_NS1_11comp_targetILNS1_3genE4ELNS1_11target_archE910ELNS1_3gpuE8ELNS1_3repE0EEENS1_30default_config_static_selectorELNS0_4arch9wavefront6targetE0EEEvSP_.uses_flat_scratch, 0
	.set _ZN7rocprim17ROCPRIM_400000_NS6detail17trampoline_kernelINS0_14default_configENS1_32segmented_reduce_config_selectorIfEEZNS1_21segmented_reduce_implIS3_PKfPfPKifN6hipcub16HIPCUB_304000_NS6detail27convert_result_type_wrapperIS8_S9_N2at6native12_GLOBAL__N_19CustomMaxEEEEE10hipError_tPvRmT0_T1_jT2_SQ_T4_T3_P12ihipStream_tbEUlT_E_NS1_11comp_targetILNS1_3genE4ELNS1_11target_archE910ELNS1_3gpuE8ELNS1_3repE0EEENS1_30default_config_static_selectorELNS0_4arch9wavefront6targetE0EEEvSP_.has_dyn_sized_stack, 0
	.set _ZN7rocprim17ROCPRIM_400000_NS6detail17trampoline_kernelINS0_14default_configENS1_32segmented_reduce_config_selectorIfEEZNS1_21segmented_reduce_implIS3_PKfPfPKifN6hipcub16HIPCUB_304000_NS6detail27convert_result_type_wrapperIS8_S9_N2at6native12_GLOBAL__N_19CustomMaxEEEEE10hipError_tPvRmT0_T1_jT2_SQ_T4_T3_P12ihipStream_tbEUlT_E_NS1_11comp_targetILNS1_3genE4ELNS1_11target_archE910ELNS1_3gpuE8ELNS1_3repE0EEENS1_30default_config_static_selectorELNS0_4arch9wavefront6targetE0EEEvSP_.has_recursion, 0
	.set _ZN7rocprim17ROCPRIM_400000_NS6detail17trampoline_kernelINS0_14default_configENS1_32segmented_reduce_config_selectorIfEEZNS1_21segmented_reduce_implIS3_PKfPfPKifN6hipcub16HIPCUB_304000_NS6detail27convert_result_type_wrapperIS8_S9_N2at6native12_GLOBAL__N_19CustomMaxEEEEE10hipError_tPvRmT0_T1_jT2_SQ_T4_T3_P12ihipStream_tbEUlT_E_NS1_11comp_targetILNS1_3genE4ELNS1_11target_archE910ELNS1_3gpuE8ELNS1_3repE0EEENS1_30default_config_static_selectorELNS0_4arch9wavefront6targetE0EEEvSP_.has_indirect_call, 0
	.section	.AMDGPU.csdata,"",@progbits
; Kernel info:
; codeLenInByte = 0
; TotalNumSgprs: 0
; NumVgprs: 0
; ScratchSize: 0
; MemoryBound: 0
; FloatMode: 240
; IeeeMode: 1
; LDSByteSize: 0 bytes/workgroup (compile time only)
; SGPRBlocks: 0
; VGPRBlocks: 0
; NumSGPRsForWavesPerEU: 1
; NumVGPRsForWavesPerEU: 1
; Occupancy: 16
; WaveLimiterHint : 0
; COMPUTE_PGM_RSRC2:SCRATCH_EN: 0
; COMPUTE_PGM_RSRC2:USER_SGPR: 6
; COMPUTE_PGM_RSRC2:TRAP_HANDLER: 0
; COMPUTE_PGM_RSRC2:TGID_X_EN: 1
; COMPUTE_PGM_RSRC2:TGID_Y_EN: 0
; COMPUTE_PGM_RSRC2:TGID_Z_EN: 0
; COMPUTE_PGM_RSRC2:TIDIG_COMP_CNT: 0
	.section	.text._ZN7rocprim17ROCPRIM_400000_NS6detail17trampoline_kernelINS0_14default_configENS1_32segmented_reduce_config_selectorIfEEZNS1_21segmented_reduce_implIS3_PKfPfPKifN6hipcub16HIPCUB_304000_NS6detail27convert_result_type_wrapperIS8_S9_N2at6native12_GLOBAL__N_19CustomMaxEEEEE10hipError_tPvRmT0_T1_jT2_SQ_T4_T3_P12ihipStream_tbEUlT_E_NS1_11comp_targetILNS1_3genE3ELNS1_11target_archE908ELNS1_3gpuE7ELNS1_3repE0EEENS1_30default_config_static_selectorELNS0_4arch9wavefront6targetE0EEEvSP_,"axG",@progbits,_ZN7rocprim17ROCPRIM_400000_NS6detail17trampoline_kernelINS0_14default_configENS1_32segmented_reduce_config_selectorIfEEZNS1_21segmented_reduce_implIS3_PKfPfPKifN6hipcub16HIPCUB_304000_NS6detail27convert_result_type_wrapperIS8_S9_N2at6native12_GLOBAL__N_19CustomMaxEEEEE10hipError_tPvRmT0_T1_jT2_SQ_T4_T3_P12ihipStream_tbEUlT_E_NS1_11comp_targetILNS1_3genE3ELNS1_11target_archE908ELNS1_3gpuE7ELNS1_3repE0EEENS1_30default_config_static_selectorELNS0_4arch9wavefront6targetE0EEEvSP_,comdat
	.globl	_ZN7rocprim17ROCPRIM_400000_NS6detail17trampoline_kernelINS0_14default_configENS1_32segmented_reduce_config_selectorIfEEZNS1_21segmented_reduce_implIS3_PKfPfPKifN6hipcub16HIPCUB_304000_NS6detail27convert_result_type_wrapperIS8_S9_N2at6native12_GLOBAL__N_19CustomMaxEEEEE10hipError_tPvRmT0_T1_jT2_SQ_T4_T3_P12ihipStream_tbEUlT_E_NS1_11comp_targetILNS1_3genE3ELNS1_11target_archE908ELNS1_3gpuE7ELNS1_3repE0EEENS1_30default_config_static_selectorELNS0_4arch9wavefront6targetE0EEEvSP_ ; -- Begin function _ZN7rocprim17ROCPRIM_400000_NS6detail17trampoline_kernelINS0_14default_configENS1_32segmented_reduce_config_selectorIfEEZNS1_21segmented_reduce_implIS3_PKfPfPKifN6hipcub16HIPCUB_304000_NS6detail27convert_result_type_wrapperIS8_S9_N2at6native12_GLOBAL__N_19CustomMaxEEEEE10hipError_tPvRmT0_T1_jT2_SQ_T4_T3_P12ihipStream_tbEUlT_E_NS1_11comp_targetILNS1_3genE3ELNS1_11target_archE908ELNS1_3gpuE7ELNS1_3repE0EEENS1_30default_config_static_selectorELNS0_4arch9wavefront6targetE0EEEvSP_
	.p2align	8
	.type	_ZN7rocprim17ROCPRIM_400000_NS6detail17trampoline_kernelINS0_14default_configENS1_32segmented_reduce_config_selectorIfEEZNS1_21segmented_reduce_implIS3_PKfPfPKifN6hipcub16HIPCUB_304000_NS6detail27convert_result_type_wrapperIS8_S9_N2at6native12_GLOBAL__N_19CustomMaxEEEEE10hipError_tPvRmT0_T1_jT2_SQ_T4_T3_P12ihipStream_tbEUlT_E_NS1_11comp_targetILNS1_3genE3ELNS1_11target_archE908ELNS1_3gpuE7ELNS1_3repE0EEENS1_30default_config_static_selectorELNS0_4arch9wavefront6targetE0EEEvSP_,@function
_ZN7rocprim17ROCPRIM_400000_NS6detail17trampoline_kernelINS0_14default_configENS1_32segmented_reduce_config_selectorIfEEZNS1_21segmented_reduce_implIS3_PKfPfPKifN6hipcub16HIPCUB_304000_NS6detail27convert_result_type_wrapperIS8_S9_N2at6native12_GLOBAL__N_19CustomMaxEEEEE10hipError_tPvRmT0_T1_jT2_SQ_T4_T3_P12ihipStream_tbEUlT_E_NS1_11comp_targetILNS1_3genE3ELNS1_11target_archE908ELNS1_3gpuE7ELNS1_3repE0EEENS1_30default_config_static_selectorELNS0_4arch9wavefront6targetE0EEEvSP_: ; @_ZN7rocprim17ROCPRIM_400000_NS6detail17trampoline_kernelINS0_14default_configENS1_32segmented_reduce_config_selectorIfEEZNS1_21segmented_reduce_implIS3_PKfPfPKifN6hipcub16HIPCUB_304000_NS6detail27convert_result_type_wrapperIS8_S9_N2at6native12_GLOBAL__N_19CustomMaxEEEEE10hipError_tPvRmT0_T1_jT2_SQ_T4_T3_P12ihipStream_tbEUlT_E_NS1_11comp_targetILNS1_3genE3ELNS1_11target_archE908ELNS1_3gpuE7ELNS1_3repE0EEENS1_30default_config_static_selectorELNS0_4arch9wavefront6targetE0EEEvSP_
; %bb.0:
	.section	.rodata,"a",@progbits
	.p2align	6, 0x0
	.amdhsa_kernel _ZN7rocprim17ROCPRIM_400000_NS6detail17trampoline_kernelINS0_14default_configENS1_32segmented_reduce_config_selectorIfEEZNS1_21segmented_reduce_implIS3_PKfPfPKifN6hipcub16HIPCUB_304000_NS6detail27convert_result_type_wrapperIS8_S9_N2at6native12_GLOBAL__N_19CustomMaxEEEEE10hipError_tPvRmT0_T1_jT2_SQ_T4_T3_P12ihipStream_tbEUlT_E_NS1_11comp_targetILNS1_3genE3ELNS1_11target_archE908ELNS1_3gpuE7ELNS1_3repE0EEENS1_30default_config_static_selectorELNS0_4arch9wavefront6targetE0EEEvSP_
		.amdhsa_group_segment_fixed_size 0
		.amdhsa_private_segment_fixed_size 0
		.amdhsa_kernarg_size 48
		.amdhsa_user_sgpr_count 6
		.amdhsa_user_sgpr_private_segment_buffer 1
		.amdhsa_user_sgpr_dispatch_ptr 0
		.amdhsa_user_sgpr_queue_ptr 0
		.amdhsa_user_sgpr_kernarg_segment_ptr 1
		.amdhsa_user_sgpr_dispatch_id 0
		.amdhsa_user_sgpr_flat_scratch_init 0
		.amdhsa_user_sgpr_private_segment_size 0
		.amdhsa_wavefront_size32 1
		.amdhsa_uses_dynamic_stack 0
		.amdhsa_system_sgpr_private_segment_wavefront_offset 0
		.amdhsa_system_sgpr_workgroup_id_x 1
		.amdhsa_system_sgpr_workgroup_id_y 0
		.amdhsa_system_sgpr_workgroup_id_z 0
		.amdhsa_system_sgpr_workgroup_info 0
		.amdhsa_system_vgpr_workitem_id 0
		.amdhsa_next_free_vgpr 1
		.amdhsa_next_free_sgpr 1
		.amdhsa_reserve_vcc 0
		.amdhsa_reserve_flat_scratch 0
		.amdhsa_float_round_mode_32 0
		.amdhsa_float_round_mode_16_64 0
		.amdhsa_float_denorm_mode_32 3
		.amdhsa_float_denorm_mode_16_64 3
		.amdhsa_dx10_clamp 1
		.amdhsa_ieee_mode 1
		.amdhsa_fp16_overflow 0
		.amdhsa_workgroup_processor_mode 1
		.amdhsa_memory_ordered 1
		.amdhsa_forward_progress 1
		.amdhsa_shared_vgpr_count 0
		.amdhsa_exception_fp_ieee_invalid_op 0
		.amdhsa_exception_fp_denorm_src 0
		.amdhsa_exception_fp_ieee_div_zero 0
		.amdhsa_exception_fp_ieee_overflow 0
		.amdhsa_exception_fp_ieee_underflow 0
		.amdhsa_exception_fp_ieee_inexact 0
		.amdhsa_exception_int_div_zero 0
	.end_amdhsa_kernel
	.section	.text._ZN7rocprim17ROCPRIM_400000_NS6detail17trampoline_kernelINS0_14default_configENS1_32segmented_reduce_config_selectorIfEEZNS1_21segmented_reduce_implIS3_PKfPfPKifN6hipcub16HIPCUB_304000_NS6detail27convert_result_type_wrapperIS8_S9_N2at6native12_GLOBAL__N_19CustomMaxEEEEE10hipError_tPvRmT0_T1_jT2_SQ_T4_T3_P12ihipStream_tbEUlT_E_NS1_11comp_targetILNS1_3genE3ELNS1_11target_archE908ELNS1_3gpuE7ELNS1_3repE0EEENS1_30default_config_static_selectorELNS0_4arch9wavefront6targetE0EEEvSP_,"axG",@progbits,_ZN7rocprim17ROCPRIM_400000_NS6detail17trampoline_kernelINS0_14default_configENS1_32segmented_reduce_config_selectorIfEEZNS1_21segmented_reduce_implIS3_PKfPfPKifN6hipcub16HIPCUB_304000_NS6detail27convert_result_type_wrapperIS8_S9_N2at6native12_GLOBAL__N_19CustomMaxEEEEE10hipError_tPvRmT0_T1_jT2_SQ_T4_T3_P12ihipStream_tbEUlT_E_NS1_11comp_targetILNS1_3genE3ELNS1_11target_archE908ELNS1_3gpuE7ELNS1_3repE0EEENS1_30default_config_static_selectorELNS0_4arch9wavefront6targetE0EEEvSP_,comdat
.Lfunc_end47:
	.size	_ZN7rocprim17ROCPRIM_400000_NS6detail17trampoline_kernelINS0_14default_configENS1_32segmented_reduce_config_selectorIfEEZNS1_21segmented_reduce_implIS3_PKfPfPKifN6hipcub16HIPCUB_304000_NS6detail27convert_result_type_wrapperIS8_S9_N2at6native12_GLOBAL__N_19CustomMaxEEEEE10hipError_tPvRmT0_T1_jT2_SQ_T4_T3_P12ihipStream_tbEUlT_E_NS1_11comp_targetILNS1_3genE3ELNS1_11target_archE908ELNS1_3gpuE7ELNS1_3repE0EEENS1_30default_config_static_selectorELNS0_4arch9wavefront6targetE0EEEvSP_, .Lfunc_end47-_ZN7rocprim17ROCPRIM_400000_NS6detail17trampoline_kernelINS0_14default_configENS1_32segmented_reduce_config_selectorIfEEZNS1_21segmented_reduce_implIS3_PKfPfPKifN6hipcub16HIPCUB_304000_NS6detail27convert_result_type_wrapperIS8_S9_N2at6native12_GLOBAL__N_19CustomMaxEEEEE10hipError_tPvRmT0_T1_jT2_SQ_T4_T3_P12ihipStream_tbEUlT_E_NS1_11comp_targetILNS1_3genE3ELNS1_11target_archE908ELNS1_3gpuE7ELNS1_3repE0EEENS1_30default_config_static_selectorELNS0_4arch9wavefront6targetE0EEEvSP_
                                        ; -- End function
	.set _ZN7rocprim17ROCPRIM_400000_NS6detail17trampoline_kernelINS0_14default_configENS1_32segmented_reduce_config_selectorIfEEZNS1_21segmented_reduce_implIS3_PKfPfPKifN6hipcub16HIPCUB_304000_NS6detail27convert_result_type_wrapperIS8_S9_N2at6native12_GLOBAL__N_19CustomMaxEEEEE10hipError_tPvRmT0_T1_jT2_SQ_T4_T3_P12ihipStream_tbEUlT_E_NS1_11comp_targetILNS1_3genE3ELNS1_11target_archE908ELNS1_3gpuE7ELNS1_3repE0EEENS1_30default_config_static_selectorELNS0_4arch9wavefront6targetE0EEEvSP_.num_vgpr, 0
	.set _ZN7rocprim17ROCPRIM_400000_NS6detail17trampoline_kernelINS0_14default_configENS1_32segmented_reduce_config_selectorIfEEZNS1_21segmented_reduce_implIS3_PKfPfPKifN6hipcub16HIPCUB_304000_NS6detail27convert_result_type_wrapperIS8_S9_N2at6native12_GLOBAL__N_19CustomMaxEEEEE10hipError_tPvRmT0_T1_jT2_SQ_T4_T3_P12ihipStream_tbEUlT_E_NS1_11comp_targetILNS1_3genE3ELNS1_11target_archE908ELNS1_3gpuE7ELNS1_3repE0EEENS1_30default_config_static_selectorELNS0_4arch9wavefront6targetE0EEEvSP_.num_agpr, 0
	.set _ZN7rocprim17ROCPRIM_400000_NS6detail17trampoline_kernelINS0_14default_configENS1_32segmented_reduce_config_selectorIfEEZNS1_21segmented_reduce_implIS3_PKfPfPKifN6hipcub16HIPCUB_304000_NS6detail27convert_result_type_wrapperIS8_S9_N2at6native12_GLOBAL__N_19CustomMaxEEEEE10hipError_tPvRmT0_T1_jT2_SQ_T4_T3_P12ihipStream_tbEUlT_E_NS1_11comp_targetILNS1_3genE3ELNS1_11target_archE908ELNS1_3gpuE7ELNS1_3repE0EEENS1_30default_config_static_selectorELNS0_4arch9wavefront6targetE0EEEvSP_.numbered_sgpr, 0
	.set _ZN7rocprim17ROCPRIM_400000_NS6detail17trampoline_kernelINS0_14default_configENS1_32segmented_reduce_config_selectorIfEEZNS1_21segmented_reduce_implIS3_PKfPfPKifN6hipcub16HIPCUB_304000_NS6detail27convert_result_type_wrapperIS8_S9_N2at6native12_GLOBAL__N_19CustomMaxEEEEE10hipError_tPvRmT0_T1_jT2_SQ_T4_T3_P12ihipStream_tbEUlT_E_NS1_11comp_targetILNS1_3genE3ELNS1_11target_archE908ELNS1_3gpuE7ELNS1_3repE0EEENS1_30default_config_static_selectorELNS0_4arch9wavefront6targetE0EEEvSP_.num_named_barrier, 0
	.set _ZN7rocprim17ROCPRIM_400000_NS6detail17trampoline_kernelINS0_14default_configENS1_32segmented_reduce_config_selectorIfEEZNS1_21segmented_reduce_implIS3_PKfPfPKifN6hipcub16HIPCUB_304000_NS6detail27convert_result_type_wrapperIS8_S9_N2at6native12_GLOBAL__N_19CustomMaxEEEEE10hipError_tPvRmT0_T1_jT2_SQ_T4_T3_P12ihipStream_tbEUlT_E_NS1_11comp_targetILNS1_3genE3ELNS1_11target_archE908ELNS1_3gpuE7ELNS1_3repE0EEENS1_30default_config_static_selectorELNS0_4arch9wavefront6targetE0EEEvSP_.private_seg_size, 0
	.set _ZN7rocprim17ROCPRIM_400000_NS6detail17trampoline_kernelINS0_14default_configENS1_32segmented_reduce_config_selectorIfEEZNS1_21segmented_reduce_implIS3_PKfPfPKifN6hipcub16HIPCUB_304000_NS6detail27convert_result_type_wrapperIS8_S9_N2at6native12_GLOBAL__N_19CustomMaxEEEEE10hipError_tPvRmT0_T1_jT2_SQ_T4_T3_P12ihipStream_tbEUlT_E_NS1_11comp_targetILNS1_3genE3ELNS1_11target_archE908ELNS1_3gpuE7ELNS1_3repE0EEENS1_30default_config_static_selectorELNS0_4arch9wavefront6targetE0EEEvSP_.uses_vcc, 0
	.set _ZN7rocprim17ROCPRIM_400000_NS6detail17trampoline_kernelINS0_14default_configENS1_32segmented_reduce_config_selectorIfEEZNS1_21segmented_reduce_implIS3_PKfPfPKifN6hipcub16HIPCUB_304000_NS6detail27convert_result_type_wrapperIS8_S9_N2at6native12_GLOBAL__N_19CustomMaxEEEEE10hipError_tPvRmT0_T1_jT2_SQ_T4_T3_P12ihipStream_tbEUlT_E_NS1_11comp_targetILNS1_3genE3ELNS1_11target_archE908ELNS1_3gpuE7ELNS1_3repE0EEENS1_30default_config_static_selectorELNS0_4arch9wavefront6targetE0EEEvSP_.uses_flat_scratch, 0
	.set _ZN7rocprim17ROCPRIM_400000_NS6detail17trampoline_kernelINS0_14default_configENS1_32segmented_reduce_config_selectorIfEEZNS1_21segmented_reduce_implIS3_PKfPfPKifN6hipcub16HIPCUB_304000_NS6detail27convert_result_type_wrapperIS8_S9_N2at6native12_GLOBAL__N_19CustomMaxEEEEE10hipError_tPvRmT0_T1_jT2_SQ_T4_T3_P12ihipStream_tbEUlT_E_NS1_11comp_targetILNS1_3genE3ELNS1_11target_archE908ELNS1_3gpuE7ELNS1_3repE0EEENS1_30default_config_static_selectorELNS0_4arch9wavefront6targetE0EEEvSP_.has_dyn_sized_stack, 0
	.set _ZN7rocprim17ROCPRIM_400000_NS6detail17trampoline_kernelINS0_14default_configENS1_32segmented_reduce_config_selectorIfEEZNS1_21segmented_reduce_implIS3_PKfPfPKifN6hipcub16HIPCUB_304000_NS6detail27convert_result_type_wrapperIS8_S9_N2at6native12_GLOBAL__N_19CustomMaxEEEEE10hipError_tPvRmT0_T1_jT2_SQ_T4_T3_P12ihipStream_tbEUlT_E_NS1_11comp_targetILNS1_3genE3ELNS1_11target_archE908ELNS1_3gpuE7ELNS1_3repE0EEENS1_30default_config_static_selectorELNS0_4arch9wavefront6targetE0EEEvSP_.has_recursion, 0
	.set _ZN7rocprim17ROCPRIM_400000_NS6detail17trampoline_kernelINS0_14default_configENS1_32segmented_reduce_config_selectorIfEEZNS1_21segmented_reduce_implIS3_PKfPfPKifN6hipcub16HIPCUB_304000_NS6detail27convert_result_type_wrapperIS8_S9_N2at6native12_GLOBAL__N_19CustomMaxEEEEE10hipError_tPvRmT0_T1_jT2_SQ_T4_T3_P12ihipStream_tbEUlT_E_NS1_11comp_targetILNS1_3genE3ELNS1_11target_archE908ELNS1_3gpuE7ELNS1_3repE0EEENS1_30default_config_static_selectorELNS0_4arch9wavefront6targetE0EEEvSP_.has_indirect_call, 0
	.section	.AMDGPU.csdata,"",@progbits
; Kernel info:
; codeLenInByte = 0
; TotalNumSgprs: 0
; NumVgprs: 0
; ScratchSize: 0
; MemoryBound: 0
; FloatMode: 240
; IeeeMode: 1
; LDSByteSize: 0 bytes/workgroup (compile time only)
; SGPRBlocks: 0
; VGPRBlocks: 0
; NumSGPRsForWavesPerEU: 1
; NumVGPRsForWavesPerEU: 1
; Occupancy: 16
; WaveLimiterHint : 0
; COMPUTE_PGM_RSRC2:SCRATCH_EN: 0
; COMPUTE_PGM_RSRC2:USER_SGPR: 6
; COMPUTE_PGM_RSRC2:TRAP_HANDLER: 0
; COMPUTE_PGM_RSRC2:TGID_X_EN: 1
; COMPUTE_PGM_RSRC2:TGID_Y_EN: 0
; COMPUTE_PGM_RSRC2:TGID_Z_EN: 0
; COMPUTE_PGM_RSRC2:TIDIG_COMP_CNT: 0
	.section	.text._ZN7rocprim17ROCPRIM_400000_NS6detail17trampoline_kernelINS0_14default_configENS1_32segmented_reduce_config_selectorIfEEZNS1_21segmented_reduce_implIS3_PKfPfPKifN6hipcub16HIPCUB_304000_NS6detail27convert_result_type_wrapperIS8_S9_N2at6native12_GLOBAL__N_19CustomMaxEEEEE10hipError_tPvRmT0_T1_jT2_SQ_T4_T3_P12ihipStream_tbEUlT_E_NS1_11comp_targetILNS1_3genE2ELNS1_11target_archE906ELNS1_3gpuE6ELNS1_3repE0EEENS1_30default_config_static_selectorELNS0_4arch9wavefront6targetE0EEEvSP_,"axG",@progbits,_ZN7rocprim17ROCPRIM_400000_NS6detail17trampoline_kernelINS0_14default_configENS1_32segmented_reduce_config_selectorIfEEZNS1_21segmented_reduce_implIS3_PKfPfPKifN6hipcub16HIPCUB_304000_NS6detail27convert_result_type_wrapperIS8_S9_N2at6native12_GLOBAL__N_19CustomMaxEEEEE10hipError_tPvRmT0_T1_jT2_SQ_T4_T3_P12ihipStream_tbEUlT_E_NS1_11comp_targetILNS1_3genE2ELNS1_11target_archE906ELNS1_3gpuE6ELNS1_3repE0EEENS1_30default_config_static_selectorELNS0_4arch9wavefront6targetE0EEEvSP_,comdat
	.globl	_ZN7rocprim17ROCPRIM_400000_NS6detail17trampoline_kernelINS0_14default_configENS1_32segmented_reduce_config_selectorIfEEZNS1_21segmented_reduce_implIS3_PKfPfPKifN6hipcub16HIPCUB_304000_NS6detail27convert_result_type_wrapperIS8_S9_N2at6native12_GLOBAL__N_19CustomMaxEEEEE10hipError_tPvRmT0_T1_jT2_SQ_T4_T3_P12ihipStream_tbEUlT_E_NS1_11comp_targetILNS1_3genE2ELNS1_11target_archE906ELNS1_3gpuE6ELNS1_3repE0EEENS1_30default_config_static_selectorELNS0_4arch9wavefront6targetE0EEEvSP_ ; -- Begin function _ZN7rocprim17ROCPRIM_400000_NS6detail17trampoline_kernelINS0_14default_configENS1_32segmented_reduce_config_selectorIfEEZNS1_21segmented_reduce_implIS3_PKfPfPKifN6hipcub16HIPCUB_304000_NS6detail27convert_result_type_wrapperIS8_S9_N2at6native12_GLOBAL__N_19CustomMaxEEEEE10hipError_tPvRmT0_T1_jT2_SQ_T4_T3_P12ihipStream_tbEUlT_E_NS1_11comp_targetILNS1_3genE2ELNS1_11target_archE906ELNS1_3gpuE6ELNS1_3repE0EEENS1_30default_config_static_selectorELNS0_4arch9wavefront6targetE0EEEvSP_
	.p2align	8
	.type	_ZN7rocprim17ROCPRIM_400000_NS6detail17trampoline_kernelINS0_14default_configENS1_32segmented_reduce_config_selectorIfEEZNS1_21segmented_reduce_implIS3_PKfPfPKifN6hipcub16HIPCUB_304000_NS6detail27convert_result_type_wrapperIS8_S9_N2at6native12_GLOBAL__N_19CustomMaxEEEEE10hipError_tPvRmT0_T1_jT2_SQ_T4_T3_P12ihipStream_tbEUlT_E_NS1_11comp_targetILNS1_3genE2ELNS1_11target_archE906ELNS1_3gpuE6ELNS1_3repE0EEENS1_30default_config_static_selectorELNS0_4arch9wavefront6targetE0EEEvSP_,@function
_ZN7rocprim17ROCPRIM_400000_NS6detail17trampoline_kernelINS0_14default_configENS1_32segmented_reduce_config_selectorIfEEZNS1_21segmented_reduce_implIS3_PKfPfPKifN6hipcub16HIPCUB_304000_NS6detail27convert_result_type_wrapperIS8_S9_N2at6native12_GLOBAL__N_19CustomMaxEEEEE10hipError_tPvRmT0_T1_jT2_SQ_T4_T3_P12ihipStream_tbEUlT_E_NS1_11comp_targetILNS1_3genE2ELNS1_11target_archE906ELNS1_3gpuE6ELNS1_3repE0EEENS1_30default_config_static_selectorELNS0_4arch9wavefront6targetE0EEEvSP_: ; @_ZN7rocprim17ROCPRIM_400000_NS6detail17trampoline_kernelINS0_14default_configENS1_32segmented_reduce_config_selectorIfEEZNS1_21segmented_reduce_implIS3_PKfPfPKifN6hipcub16HIPCUB_304000_NS6detail27convert_result_type_wrapperIS8_S9_N2at6native12_GLOBAL__N_19CustomMaxEEEEE10hipError_tPvRmT0_T1_jT2_SQ_T4_T3_P12ihipStream_tbEUlT_E_NS1_11comp_targetILNS1_3genE2ELNS1_11target_archE906ELNS1_3gpuE6ELNS1_3repE0EEENS1_30default_config_static_selectorELNS0_4arch9wavefront6targetE0EEEvSP_
; %bb.0:
	.section	.rodata,"a",@progbits
	.p2align	6, 0x0
	.amdhsa_kernel _ZN7rocprim17ROCPRIM_400000_NS6detail17trampoline_kernelINS0_14default_configENS1_32segmented_reduce_config_selectorIfEEZNS1_21segmented_reduce_implIS3_PKfPfPKifN6hipcub16HIPCUB_304000_NS6detail27convert_result_type_wrapperIS8_S9_N2at6native12_GLOBAL__N_19CustomMaxEEEEE10hipError_tPvRmT0_T1_jT2_SQ_T4_T3_P12ihipStream_tbEUlT_E_NS1_11comp_targetILNS1_3genE2ELNS1_11target_archE906ELNS1_3gpuE6ELNS1_3repE0EEENS1_30default_config_static_selectorELNS0_4arch9wavefront6targetE0EEEvSP_
		.amdhsa_group_segment_fixed_size 0
		.amdhsa_private_segment_fixed_size 0
		.amdhsa_kernarg_size 48
		.amdhsa_user_sgpr_count 6
		.amdhsa_user_sgpr_private_segment_buffer 1
		.amdhsa_user_sgpr_dispatch_ptr 0
		.amdhsa_user_sgpr_queue_ptr 0
		.amdhsa_user_sgpr_kernarg_segment_ptr 1
		.amdhsa_user_sgpr_dispatch_id 0
		.amdhsa_user_sgpr_flat_scratch_init 0
		.amdhsa_user_sgpr_private_segment_size 0
		.amdhsa_wavefront_size32 1
		.amdhsa_uses_dynamic_stack 0
		.amdhsa_system_sgpr_private_segment_wavefront_offset 0
		.amdhsa_system_sgpr_workgroup_id_x 1
		.amdhsa_system_sgpr_workgroup_id_y 0
		.amdhsa_system_sgpr_workgroup_id_z 0
		.amdhsa_system_sgpr_workgroup_info 0
		.amdhsa_system_vgpr_workitem_id 0
		.amdhsa_next_free_vgpr 1
		.amdhsa_next_free_sgpr 1
		.amdhsa_reserve_vcc 0
		.amdhsa_reserve_flat_scratch 0
		.amdhsa_float_round_mode_32 0
		.amdhsa_float_round_mode_16_64 0
		.amdhsa_float_denorm_mode_32 3
		.amdhsa_float_denorm_mode_16_64 3
		.amdhsa_dx10_clamp 1
		.amdhsa_ieee_mode 1
		.amdhsa_fp16_overflow 0
		.amdhsa_workgroup_processor_mode 1
		.amdhsa_memory_ordered 1
		.amdhsa_forward_progress 1
		.amdhsa_shared_vgpr_count 0
		.amdhsa_exception_fp_ieee_invalid_op 0
		.amdhsa_exception_fp_denorm_src 0
		.amdhsa_exception_fp_ieee_div_zero 0
		.amdhsa_exception_fp_ieee_overflow 0
		.amdhsa_exception_fp_ieee_underflow 0
		.amdhsa_exception_fp_ieee_inexact 0
		.amdhsa_exception_int_div_zero 0
	.end_amdhsa_kernel
	.section	.text._ZN7rocprim17ROCPRIM_400000_NS6detail17trampoline_kernelINS0_14default_configENS1_32segmented_reduce_config_selectorIfEEZNS1_21segmented_reduce_implIS3_PKfPfPKifN6hipcub16HIPCUB_304000_NS6detail27convert_result_type_wrapperIS8_S9_N2at6native12_GLOBAL__N_19CustomMaxEEEEE10hipError_tPvRmT0_T1_jT2_SQ_T4_T3_P12ihipStream_tbEUlT_E_NS1_11comp_targetILNS1_3genE2ELNS1_11target_archE906ELNS1_3gpuE6ELNS1_3repE0EEENS1_30default_config_static_selectorELNS0_4arch9wavefront6targetE0EEEvSP_,"axG",@progbits,_ZN7rocprim17ROCPRIM_400000_NS6detail17trampoline_kernelINS0_14default_configENS1_32segmented_reduce_config_selectorIfEEZNS1_21segmented_reduce_implIS3_PKfPfPKifN6hipcub16HIPCUB_304000_NS6detail27convert_result_type_wrapperIS8_S9_N2at6native12_GLOBAL__N_19CustomMaxEEEEE10hipError_tPvRmT0_T1_jT2_SQ_T4_T3_P12ihipStream_tbEUlT_E_NS1_11comp_targetILNS1_3genE2ELNS1_11target_archE906ELNS1_3gpuE6ELNS1_3repE0EEENS1_30default_config_static_selectorELNS0_4arch9wavefront6targetE0EEEvSP_,comdat
.Lfunc_end48:
	.size	_ZN7rocprim17ROCPRIM_400000_NS6detail17trampoline_kernelINS0_14default_configENS1_32segmented_reduce_config_selectorIfEEZNS1_21segmented_reduce_implIS3_PKfPfPKifN6hipcub16HIPCUB_304000_NS6detail27convert_result_type_wrapperIS8_S9_N2at6native12_GLOBAL__N_19CustomMaxEEEEE10hipError_tPvRmT0_T1_jT2_SQ_T4_T3_P12ihipStream_tbEUlT_E_NS1_11comp_targetILNS1_3genE2ELNS1_11target_archE906ELNS1_3gpuE6ELNS1_3repE0EEENS1_30default_config_static_selectorELNS0_4arch9wavefront6targetE0EEEvSP_, .Lfunc_end48-_ZN7rocprim17ROCPRIM_400000_NS6detail17trampoline_kernelINS0_14default_configENS1_32segmented_reduce_config_selectorIfEEZNS1_21segmented_reduce_implIS3_PKfPfPKifN6hipcub16HIPCUB_304000_NS6detail27convert_result_type_wrapperIS8_S9_N2at6native12_GLOBAL__N_19CustomMaxEEEEE10hipError_tPvRmT0_T1_jT2_SQ_T4_T3_P12ihipStream_tbEUlT_E_NS1_11comp_targetILNS1_3genE2ELNS1_11target_archE906ELNS1_3gpuE6ELNS1_3repE0EEENS1_30default_config_static_selectorELNS0_4arch9wavefront6targetE0EEEvSP_
                                        ; -- End function
	.set _ZN7rocprim17ROCPRIM_400000_NS6detail17trampoline_kernelINS0_14default_configENS1_32segmented_reduce_config_selectorIfEEZNS1_21segmented_reduce_implIS3_PKfPfPKifN6hipcub16HIPCUB_304000_NS6detail27convert_result_type_wrapperIS8_S9_N2at6native12_GLOBAL__N_19CustomMaxEEEEE10hipError_tPvRmT0_T1_jT2_SQ_T4_T3_P12ihipStream_tbEUlT_E_NS1_11comp_targetILNS1_3genE2ELNS1_11target_archE906ELNS1_3gpuE6ELNS1_3repE0EEENS1_30default_config_static_selectorELNS0_4arch9wavefront6targetE0EEEvSP_.num_vgpr, 0
	.set _ZN7rocprim17ROCPRIM_400000_NS6detail17trampoline_kernelINS0_14default_configENS1_32segmented_reduce_config_selectorIfEEZNS1_21segmented_reduce_implIS3_PKfPfPKifN6hipcub16HIPCUB_304000_NS6detail27convert_result_type_wrapperIS8_S9_N2at6native12_GLOBAL__N_19CustomMaxEEEEE10hipError_tPvRmT0_T1_jT2_SQ_T4_T3_P12ihipStream_tbEUlT_E_NS1_11comp_targetILNS1_3genE2ELNS1_11target_archE906ELNS1_3gpuE6ELNS1_3repE0EEENS1_30default_config_static_selectorELNS0_4arch9wavefront6targetE0EEEvSP_.num_agpr, 0
	.set _ZN7rocprim17ROCPRIM_400000_NS6detail17trampoline_kernelINS0_14default_configENS1_32segmented_reduce_config_selectorIfEEZNS1_21segmented_reduce_implIS3_PKfPfPKifN6hipcub16HIPCUB_304000_NS6detail27convert_result_type_wrapperIS8_S9_N2at6native12_GLOBAL__N_19CustomMaxEEEEE10hipError_tPvRmT0_T1_jT2_SQ_T4_T3_P12ihipStream_tbEUlT_E_NS1_11comp_targetILNS1_3genE2ELNS1_11target_archE906ELNS1_3gpuE6ELNS1_3repE0EEENS1_30default_config_static_selectorELNS0_4arch9wavefront6targetE0EEEvSP_.numbered_sgpr, 0
	.set _ZN7rocprim17ROCPRIM_400000_NS6detail17trampoline_kernelINS0_14default_configENS1_32segmented_reduce_config_selectorIfEEZNS1_21segmented_reduce_implIS3_PKfPfPKifN6hipcub16HIPCUB_304000_NS6detail27convert_result_type_wrapperIS8_S9_N2at6native12_GLOBAL__N_19CustomMaxEEEEE10hipError_tPvRmT0_T1_jT2_SQ_T4_T3_P12ihipStream_tbEUlT_E_NS1_11comp_targetILNS1_3genE2ELNS1_11target_archE906ELNS1_3gpuE6ELNS1_3repE0EEENS1_30default_config_static_selectorELNS0_4arch9wavefront6targetE0EEEvSP_.num_named_barrier, 0
	.set _ZN7rocprim17ROCPRIM_400000_NS6detail17trampoline_kernelINS0_14default_configENS1_32segmented_reduce_config_selectorIfEEZNS1_21segmented_reduce_implIS3_PKfPfPKifN6hipcub16HIPCUB_304000_NS6detail27convert_result_type_wrapperIS8_S9_N2at6native12_GLOBAL__N_19CustomMaxEEEEE10hipError_tPvRmT0_T1_jT2_SQ_T4_T3_P12ihipStream_tbEUlT_E_NS1_11comp_targetILNS1_3genE2ELNS1_11target_archE906ELNS1_3gpuE6ELNS1_3repE0EEENS1_30default_config_static_selectorELNS0_4arch9wavefront6targetE0EEEvSP_.private_seg_size, 0
	.set _ZN7rocprim17ROCPRIM_400000_NS6detail17trampoline_kernelINS0_14default_configENS1_32segmented_reduce_config_selectorIfEEZNS1_21segmented_reduce_implIS3_PKfPfPKifN6hipcub16HIPCUB_304000_NS6detail27convert_result_type_wrapperIS8_S9_N2at6native12_GLOBAL__N_19CustomMaxEEEEE10hipError_tPvRmT0_T1_jT2_SQ_T4_T3_P12ihipStream_tbEUlT_E_NS1_11comp_targetILNS1_3genE2ELNS1_11target_archE906ELNS1_3gpuE6ELNS1_3repE0EEENS1_30default_config_static_selectorELNS0_4arch9wavefront6targetE0EEEvSP_.uses_vcc, 0
	.set _ZN7rocprim17ROCPRIM_400000_NS6detail17trampoline_kernelINS0_14default_configENS1_32segmented_reduce_config_selectorIfEEZNS1_21segmented_reduce_implIS3_PKfPfPKifN6hipcub16HIPCUB_304000_NS6detail27convert_result_type_wrapperIS8_S9_N2at6native12_GLOBAL__N_19CustomMaxEEEEE10hipError_tPvRmT0_T1_jT2_SQ_T4_T3_P12ihipStream_tbEUlT_E_NS1_11comp_targetILNS1_3genE2ELNS1_11target_archE906ELNS1_3gpuE6ELNS1_3repE0EEENS1_30default_config_static_selectorELNS0_4arch9wavefront6targetE0EEEvSP_.uses_flat_scratch, 0
	.set _ZN7rocprim17ROCPRIM_400000_NS6detail17trampoline_kernelINS0_14default_configENS1_32segmented_reduce_config_selectorIfEEZNS1_21segmented_reduce_implIS3_PKfPfPKifN6hipcub16HIPCUB_304000_NS6detail27convert_result_type_wrapperIS8_S9_N2at6native12_GLOBAL__N_19CustomMaxEEEEE10hipError_tPvRmT0_T1_jT2_SQ_T4_T3_P12ihipStream_tbEUlT_E_NS1_11comp_targetILNS1_3genE2ELNS1_11target_archE906ELNS1_3gpuE6ELNS1_3repE0EEENS1_30default_config_static_selectorELNS0_4arch9wavefront6targetE0EEEvSP_.has_dyn_sized_stack, 0
	.set _ZN7rocprim17ROCPRIM_400000_NS6detail17trampoline_kernelINS0_14default_configENS1_32segmented_reduce_config_selectorIfEEZNS1_21segmented_reduce_implIS3_PKfPfPKifN6hipcub16HIPCUB_304000_NS6detail27convert_result_type_wrapperIS8_S9_N2at6native12_GLOBAL__N_19CustomMaxEEEEE10hipError_tPvRmT0_T1_jT2_SQ_T4_T3_P12ihipStream_tbEUlT_E_NS1_11comp_targetILNS1_3genE2ELNS1_11target_archE906ELNS1_3gpuE6ELNS1_3repE0EEENS1_30default_config_static_selectorELNS0_4arch9wavefront6targetE0EEEvSP_.has_recursion, 0
	.set _ZN7rocprim17ROCPRIM_400000_NS6detail17trampoline_kernelINS0_14default_configENS1_32segmented_reduce_config_selectorIfEEZNS1_21segmented_reduce_implIS3_PKfPfPKifN6hipcub16HIPCUB_304000_NS6detail27convert_result_type_wrapperIS8_S9_N2at6native12_GLOBAL__N_19CustomMaxEEEEE10hipError_tPvRmT0_T1_jT2_SQ_T4_T3_P12ihipStream_tbEUlT_E_NS1_11comp_targetILNS1_3genE2ELNS1_11target_archE906ELNS1_3gpuE6ELNS1_3repE0EEENS1_30default_config_static_selectorELNS0_4arch9wavefront6targetE0EEEvSP_.has_indirect_call, 0
	.section	.AMDGPU.csdata,"",@progbits
; Kernel info:
; codeLenInByte = 0
; TotalNumSgprs: 0
; NumVgprs: 0
; ScratchSize: 0
; MemoryBound: 0
; FloatMode: 240
; IeeeMode: 1
; LDSByteSize: 0 bytes/workgroup (compile time only)
; SGPRBlocks: 0
; VGPRBlocks: 0
; NumSGPRsForWavesPerEU: 1
; NumVGPRsForWavesPerEU: 1
; Occupancy: 16
; WaveLimiterHint : 0
; COMPUTE_PGM_RSRC2:SCRATCH_EN: 0
; COMPUTE_PGM_RSRC2:USER_SGPR: 6
; COMPUTE_PGM_RSRC2:TRAP_HANDLER: 0
; COMPUTE_PGM_RSRC2:TGID_X_EN: 1
; COMPUTE_PGM_RSRC2:TGID_Y_EN: 0
; COMPUTE_PGM_RSRC2:TGID_Z_EN: 0
; COMPUTE_PGM_RSRC2:TIDIG_COMP_CNT: 0
	.section	.text._ZN7rocprim17ROCPRIM_400000_NS6detail17trampoline_kernelINS0_14default_configENS1_32segmented_reduce_config_selectorIfEEZNS1_21segmented_reduce_implIS3_PKfPfPKifN6hipcub16HIPCUB_304000_NS6detail27convert_result_type_wrapperIS8_S9_N2at6native12_GLOBAL__N_19CustomMaxEEEEE10hipError_tPvRmT0_T1_jT2_SQ_T4_T3_P12ihipStream_tbEUlT_E_NS1_11comp_targetILNS1_3genE9ELNS1_11target_archE1100ELNS1_3gpuE3ELNS1_3repE0EEENS1_30default_config_static_selectorELNS0_4arch9wavefront6targetE0EEEvSP_,"axG",@progbits,_ZN7rocprim17ROCPRIM_400000_NS6detail17trampoline_kernelINS0_14default_configENS1_32segmented_reduce_config_selectorIfEEZNS1_21segmented_reduce_implIS3_PKfPfPKifN6hipcub16HIPCUB_304000_NS6detail27convert_result_type_wrapperIS8_S9_N2at6native12_GLOBAL__N_19CustomMaxEEEEE10hipError_tPvRmT0_T1_jT2_SQ_T4_T3_P12ihipStream_tbEUlT_E_NS1_11comp_targetILNS1_3genE9ELNS1_11target_archE1100ELNS1_3gpuE3ELNS1_3repE0EEENS1_30default_config_static_selectorELNS0_4arch9wavefront6targetE0EEEvSP_,comdat
	.globl	_ZN7rocprim17ROCPRIM_400000_NS6detail17trampoline_kernelINS0_14default_configENS1_32segmented_reduce_config_selectorIfEEZNS1_21segmented_reduce_implIS3_PKfPfPKifN6hipcub16HIPCUB_304000_NS6detail27convert_result_type_wrapperIS8_S9_N2at6native12_GLOBAL__N_19CustomMaxEEEEE10hipError_tPvRmT0_T1_jT2_SQ_T4_T3_P12ihipStream_tbEUlT_E_NS1_11comp_targetILNS1_3genE9ELNS1_11target_archE1100ELNS1_3gpuE3ELNS1_3repE0EEENS1_30default_config_static_selectorELNS0_4arch9wavefront6targetE0EEEvSP_ ; -- Begin function _ZN7rocprim17ROCPRIM_400000_NS6detail17trampoline_kernelINS0_14default_configENS1_32segmented_reduce_config_selectorIfEEZNS1_21segmented_reduce_implIS3_PKfPfPKifN6hipcub16HIPCUB_304000_NS6detail27convert_result_type_wrapperIS8_S9_N2at6native12_GLOBAL__N_19CustomMaxEEEEE10hipError_tPvRmT0_T1_jT2_SQ_T4_T3_P12ihipStream_tbEUlT_E_NS1_11comp_targetILNS1_3genE9ELNS1_11target_archE1100ELNS1_3gpuE3ELNS1_3repE0EEENS1_30default_config_static_selectorELNS0_4arch9wavefront6targetE0EEEvSP_
	.p2align	8
	.type	_ZN7rocprim17ROCPRIM_400000_NS6detail17trampoline_kernelINS0_14default_configENS1_32segmented_reduce_config_selectorIfEEZNS1_21segmented_reduce_implIS3_PKfPfPKifN6hipcub16HIPCUB_304000_NS6detail27convert_result_type_wrapperIS8_S9_N2at6native12_GLOBAL__N_19CustomMaxEEEEE10hipError_tPvRmT0_T1_jT2_SQ_T4_T3_P12ihipStream_tbEUlT_E_NS1_11comp_targetILNS1_3genE9ELNS1_11target_archE1100ELNS1_3gpuE3ELNS1_3repE0EEENS1_30default_config_static_selectorELNS0_4arch9wavefront6targetE0EEEvSP_,@function
_ZN7rocprim17ROCPRIM_400000_NS6detail17trampoline_kernelINS0_14default_configENS1_32segmented_reduce_config_selectorIfEEZNS1_21segmented_reduce_implIS3_PKfPfPKifN6hipcub16HIPCUB_304000_NS6detail27convert_result_type_wrapperIS8_S9_N2at6native12_GLOBAL__N_19CustomMaxEEEEE10hipError_tPvRmT0_T1_jT2_SQ_T4_T3_P12ihipStream_tbEUlT_E_NS1_11comp_targetILNS1_3genE9ELNS1_11target_archE1100ELNS1_3gpuE3ELNS1_3repE0EEENS1_30default_config_static_selectorELNS0_4arch9wavefront6targetE0EEEvSP_: ; @_ZN7rocprim17ROCPRIM_400000_NS6detail17trampoline_kernelINS0_14default_configENS1_32segmented_reduce_config_selectorIfEEZNS1_21segmented_reduce_implIS3_PKfPfPKifN6hipcub16HIPCUB_304000_NS6detail27convert_result_type_wrapperIS8_S9_N2at6native12_GLOBAL__N_19CustomMaxEEEEE10hipError_tPvRmT0_T1_jT2_SQ_T4_T3_P12ihipStream_tbEUlT_E_NS1_11comp_targetILNS1_3genE9ELNS1_11target_archE1100ELNS1_3gpuE3ELNS1_3repE0EEENS1_30default_config_static_selectorELNS0_4arch9wavefront6targetE0EEEvSP_
; %bb.0:
	.section	.rodata,"a",@progbits
	.p2align	6, 0x0
	.amdhsa_kernel _ZN7rocprim17ROCPRIM_400000_NS6detail17trampoline_kernelINS0_14default_configENS1_32segmented_reduce_config_selectorIfEEZNS1_21segmented_reduce_implIS3_PKfPfPKifN6hipcub16HIPCUB_304000_NS6detail27convert_result_type_wrapperIS8_S9_N2at6native12_GLOBAL__N_19CustomMaxEEEEE10hipError_tPvRmT0_T1_jT2_SQ_T4_T3_P12ihipStream_tbEUlT_E_NS1_11comp_targetILNS1_3genE9ELNS1_11target_archE1100ELNS1_3gpuE3ELNS1_3repE0EEENS1_30default_config_static_selectorELNS0_4arch9wavefront6targetE0EEEvSP_
		.amdhsa_group_segment_fixed_size 0
		.amdhsa_private_segment_fixed_size 0
		.amdhsa_kernarg_size 48
		.amdhsa_user_sgpr_count 6
		.amdhsa_user_sgpr_private_segment_buffer 1
		.amdhsa_user_sgpr_dispatch_ptr 0
		.amdhsa_user_sgpr_queue_ptr 0
		.amdhsa_user_sgpr_kernarg_segment_ptr 1
		.amdhsa_user_sgpr_dispatch_id 0
		.amdhsa_user_sgpr_flat_scratch_init 0
		.amdhsa_user_sgpr_private_segment_size 0
		.amdhsa_wavefront_size32 1
		.amdhsa_uses_dynamic_stack 0
		.amdhsa_system_sgpr_private_segment_wavefront_offset 0
		.amdhsa_system_sgpr_workgroup_id_x 1
		.amdhsa_system_sgpr_workgroup_id_y 0
		.amdhsa_system_sgpr_workgroup_id_z 0
		.amdhsa_system_sgpr_workgroup_info 0
		.amdhsa_system_vgpr_workitem_id 0
		.amdhsa_next_free_vgpr 1
		.amdhsa_next_free_sgpr 1
		.amdhsa_reserve_vcc 0
		.amdhsa_reserve_flat_scratch 0
		.amdhsa_float_round_mode_32 0
		.amdhsa_float_round_mode_16_64 0
		.amdhsa_float_denorm_mode_32 3
		.amdhsa_float_denorm_mode_16_64 3
		.amdhsa_dx10_clamp 1
		.amdhsa_ieee_mode 1
		.amdhsa_fp16_overflow 0
		.amdhsa_workgroup_processor_mode 1
		.amdhsa_memory_ordered 1
		.amdhsa_forward_progress 1
		.amdhsa_shared_vgpr_count 0
		.amdhsa_exception_fp_ieee_invalid_op 0
		.amdhsa_exception_fp_denorm_src 0
		.amdhsa_exception_fp_ieee_div_zero 0
		.amdhsa_exception_fp_ieee_overflow 0
		.amdhsa_exception_fp_ieee_underflow 0
		.amdhsa_exception_fp_ieee_inexact 0
		.amdhsa_exception_int_div_zero 0
	.end_amdhsa_kernel
	.section	.text._ZN7rocprim17ROCPRIM_400000_NS6detail17trampoline_kernelINS0_14default_configENS1_32segmented_reduce_config_selectorIfEEZNS1_21segmented_reduce_implIS3_PKfPfPKifN6hipcub16HIPCUB_304000_NS6detail27convert_result_type_wrapperIS8_S9_N2at6native12_GLOBAL__N_19CustomMaxEEEEE10hipError_tPvRmT0_T1_jT2_SQ_T4_T3_P12ihipStream_tbEUlT_E_NS1_11comp_targetILNS1_3genE9ELNS1_11target_archE1100ELNS1_3gpuE3ELNS1_3repE0EEENS1_30default_config_static_selectorELNS0_4arch9wavefront6targetE0EEEvSP_,"axG",@progbits,_ZN7rocprim17ROCPRIM_400000_NS6detail17trampoline_kernelINS0_14default_configENS1_32segmented_reduce_config_selectorIfEEZNS1_21segmented_reduce_implIS3_PKfPfPKifN6hipcub16HIPCUB_304000_NS6detail27convert_result_type_wrapperIS8_S9_N2at6native12_GLOBAL__N_19CustomMaxEEEEE10hipError_tPvRmT0_T1_jT2_SQ_T4_T3_P12ihipStream_tbEUlT_E_NS1_11comp_targetILNS1_3genE9ELNS1_11target_archE1100ELNS1_3gpuE3ELNS1_3repE0EEENS1_30default_config_static_selectorELNS0_4arch9wavefront6targetE0EEEvSP_,comdat
.Lfunc_end49:
	.size	_ZN7rocprim17ROCPRIM_400000_NS6detail17trampoline_kernelINS0_14default_configENS1_32segmented_reduce_config_selectorIfEEZNS1_21segmented_reduce_implIS3_PKfPfPKifN6hipcub16HIPCUB_304000_NS6detail27convert_result_type_wrapperIS8_S9_N2at6native12_GLOBAL__N_19CustomMaxEEEEE10hipError_tPvRmT0_T1_jT2_SQ_T4_T3_P12ihipStream_tbEUlT_E_NS1_11comp_targetILNS1_3genE9ELNS1_11target_archE1100ELNS1_3gpuE3ELNS1_3repE0EEENS1_30default_config_static_selectorELNS0_4arch9wavefront6targetE0EEEvSP_, .Lfunc_end49-_ZN7rocprim17ROCPRIM_400000_NS6detail17trampoline_kernelINS0_14default_configENS1_32segmented_reduce_config_selectorIfEEZNS1_21segmented_reduce_implIS3_PKfPfPKifN6hipcub16HIPCUB_304000_NS6detail27convert_result_type_wrapperIS8_S9_N2at6native12_GLOBAL__N_19CustomMaxEEEEE10hipError_tPvRmT0_T1_jT2_SQ_T4_T3_P12ihipStream_tbEUlT_E_NS1_11comp_targetILNS1_3genE9ELNS1_11target_archE1100ELNS1_3gpuE3ELNS1_3repE0EEENS1_30default_config_static_selectorELNS0_4arch9wavefront6targetE0EEEvSP_
                                        ; -- End function
	.set _ZN7rocprim17ROCPRIM_400000_NS6detail17trampoline_kernelINS0_14default_configENS1_32segmented_reduce_config_selectorIfEEZNS1_21segmented_reduce_implIS3_PKfPfPKifN6hipcub16HIPCUB_304000_NS6detail27convert_result_type_wrapperIS8_S9_N2at6native12_GLOBAL__N_19CustomMaxEEEEE10hipError_tPvRmT0_T1_jT2_SQ_T4_T3_P12ihipStream_tbEUlT_E_NS1_11comp_targetILNS1_3genE9ELNS1_11target_archE1100ELNS1_3gpuE3ELNS1_3repE0EEENS1_30default_config_static_selectorELNS0_4arch9wavefront6targetE0EEEvSP_.num_vgpr, 0
	.set _ZN7rocprim17ROCPRIM_400000_NS6detail17trampoline_kernelINS0_14default_configENS1_32segmented_reduce_config_selectorIfEEZNS1_21segmented_reduce_implIS3_PKfPfPKifN6hipcub16HIPCUB_304000_NS6detail27convert_result_type_wrapperIS8_S9_N2at6native12_GLOBAL__N_19CustomMaxEEEEE10hipError_tPvRmT0_T1_jT2_SQ_T4_T3_P12ihipStream_tbEUlT_E_NS1_11comp_targetILNS1_3genE9ELNS1_11target_archE1100ELNS1_3gpuE3ELNS1_3repE0EEENS1_30default_config_static_selectorELNS0_4arch9wavefront6targetE0EEEvSP_.num_agpr, 0
	.set _ZN7rocprim17ROCPRIM_400000_NS6detail17trampoline_kernelINS0_14default_configENS1_32segmented_reduce_config_selectorIfEEZNS1_21segmented_reduce_implIS3_PKfPfPKifN6hipcub16HIPCUB_304000_NS6detail27convert_result_type_wrapperIS8_S9_N2at6native12_GLOBAL__N_19CustomMaxEEEEE10hipError_tPvRmT0_T1_jT2_SQ_T4_T3_P12ihipStream_tbEUlT_E_NS1_11comp_targetILNS1_3genE9ELNS1_11target_archE1100ELNS1_3gpuE3ELNS1_3repE0EEENS1_30default_config_static_selectorELNS0_4arch9wavefront6targetE0EEEvSP_.numbered_sgpr, 0
	.set _ZN7rocprim17ROCPRIM_400000_NS6detail17trampoline_kernelINS0_14default_configENS1_32segmented_reduce_config_selectorIfEEZNS1_21segmented_reduce_implIS3_PKfPfPKifN6hipcub16HIPCUB_304000_NS6detail27convert_result_type_wrapperIS8_S9_N2at6native12_GLOBAL__N_19CustomMaxEEEEE10hipError_tPvRmT0_T1_jT2_SQ_T4_T3_P12ihipStream_tbEUlT_E_NS1_11comp_targetILNS1_3genE9ELNS1_11target_archE1100ELNS1_3gpuE3ELNS1_3repE0EEENS1_30default_config_static_selectorELNS0_4arch9wavefront6targetE0EEEvSP_.num_named_barrier, 0
	.set _ZN7rocprim17ROCPRIM_400000_NS6detail17trampoline_kernelINS0_14default_configENS1_32segmented_reduce_config_selectorIfEEZNS1_21segmented_reduce_implIS3_PKfPfPKifN6hipcub16HIPCUB_304000_NS6detail27convert_result_type_wrapperIS8_S9_N2at6native12_GLOBAL__N_19CustomMaxEEEEE10hipError_tPvRmT0_T1_jT2_SQ_T4_T3_P12ihipStream_tbEUlT_E_NS1_11comp_targetILNS1_3genE9ELNS1_11target_archE1100ELNS1_3gpuE3ELNS1_3repE0EEENS1_30default_config_static_selectorELNS0_4arch9wavefront6targetE0EEEvSP_.private_seg_size, 0
	.set _ZN7rocprim17ROCPRIM_400000_NS6detail17trampoline_kernelINS0_14default_configENS1_32segmented_reduce_config_selectorIfEEZNS1_21segmented_reduce_implIS3_PKfPfPKifN6hipcub16HIPCUB_304000_NS6detail27convert_result_type_wrapperIS8_S9_N2at6native12_GLOBAL__N_19CustomMaxEEEEE10hipError_tPvRmT0_T1_jT2_SQ_T4_T3_P12ihipStream_tbEUlT_E_NS1_11comp_targetILNS1_3genE9ELNS1_11target_archE1100ELNS1_3gpuE3ELNS1_3repE0EEENS1_30default_config_static_selectorELNS0_4arch9wavefront6targetE0EEEvSP_.uses_vcc, 0
	.set _ZN7rocprim17ROCPRIM_400000_NS6detail17trampoline_kernelINS0_14default_configENS1_32segmented_reduce_config_selectorIfEEZNS1_21segmented_reduce_implIS3_PKfPfPKifN6hipcub16HIPCUB_304000_NS6detail27convert_result_type_wrapperIS8_S9_N2at6native12_GLOBAL__N_19CustomMaxEEEEE10hipError_tPvRmT0_T1_jT2_SQ_T4_T3_P12ihipStream_tbEUlT_E_NS1_11comp_targetILNS1_3genE9ELNS1_11target_archE1100ELNS1_3gpuE3ELNS1_3repE0EEENS1_30default_config_static_selectorELNS0_4arch9wavefront6targetE0EEEvSP_.uses_flat_scratch, 0
	.set _ZN7rocprim17ROCPRIM_400000_NS6detail17trampoline_kernelINS0_14default_configENS1_32segmented_reduce_config_selectorIfEEZNS1_21segmented_reduce_implIS3_PKfPfPKifN6hipcub16HIPCUB_304000_NS6detail27convert_result_type_wrapperIS8_S9_N2at6native12_GLOBAL__N_19CustomMaxEEEEE10hipError_tPvRmT0_T1_jT2_SQ_T4_T3_P12ihipStream_tbEUlT_E_NS1_11comp_targetILNS1_3genE9ELNS1_11target_archE1100ELNS1_3gpuE3ELNS1_3repE0EEENS1_30default_config_static_selectorELNS0_4arch9wavefront6targetE0EEEvSP_.has_dyn_sized_stack, 0
	.set _ZN7rocprim17ROCPRIM_400000_NS6detail17trampoline_kernelINS0_14default_configENS1_32segmented_reduce_config_selectorIfEEZNS1_21segmented_reduce_implIS3_PKfPfPKifN6hipcub16HIPCUB_304000_NS6detail27convert_result_type_wrapperIS8_S9_N2at6native12_GLOBAL__N_19CustomMaxEEEEE10hipError_tPvRmT0_T1_jT2_SQ_T4_T3_P12ihipStream_tbEUlT_E_NS1_11comp_targetILNS1_3genE9ELNS1_11target_archE1100ELNS1_3gpuE3ELNS1_3repE0EEENS1_30default_config_static_selectorELNS0_4arch9wavefront6targetE0EEEvSP_.has_recursion, 0
	.set _ZN7rocprim17ROCPRIM_400000_NS6detail17trampoline_kernelINS0_14default_configENS1_32segmented_reduce_config_selectorIfEEZNS1_21segmented_reduce_implIS3_PKfPfPKifN6hipcub16HIPCUB_304000_NS6detail27convert_result_type_wrapperIS8_S9_N2at6native12_GLOBAL__N_19CustomMaxEEEEE10hipError_tPvRmT0_T1_jT2_SQ_T4_T3_P12ihipStream_tbEUlT_E_NS1_11comp_targetILNS1_3genE9ELNS1_11target_archE1100ELNS1_3gpuE3ELNS1_3repE0EEENS1_30default_config_static_selectorELNS0_4arch9wavefront6targetE0EEEvSP_.has_indirect_call, 0
	.section	.AMDGPU.csdata,"",@progbits
; Kernel info:
; codeLenInByte = 0
; TotalNumSgprs: 0
; NumVgprs: 0
; ScratchSize: 0
; MemoryBound: 0
; FloatMode: 240
; IeeeMode: 1
; LDSByteSize: 0 bytes/workgroup (compile time only)
; SGPRBlocks: 0
; VGPRBlocks: 0
; NumSGPRsForWavesPerEU: 1
; NumVGPRsForWavesPerEU: 1
; Occupancy: 16
; WaveLimiterHint : 0
; COMPUTE_PGM_RSRC2:SCRATCH_EN: 0
; COMPUTE_PGM_RSRC2:USER_SGPR: 6
; COMPUTE_PGM_RSRC2:TRAP_HANDLER: 0
; COMPUTE_PGM_RSRC2:TGID_X_EN: 1
; COMPUTE_PGM_RSRC2:TGID_Y_EN: 0
; COMPUTE_PGM_RSRC2:TGID_Z_EN: 0
; COMPUTE_PGM_RSRC2:TIDIG_COMP_CNT: 0
	.section	.text._ZN7rocprim17ROCPRIM_400000_NS6detail17trampoline_kernelINS0_14default_configENS1_32segmented_reduce_config_selectorIfEEZNS1_21segmented_reduce_implIS3_PKfPfPKifN6hipcub16HIPCUB_304000_NS6detail27convert_result_type_wrapperIS8_S9_N2at6native12_GLOBAL__N_19CustomMaxEEEEE10hipError_tPvRmT0_T1_jT2_SQ_T4_T3_P12ihipStream_tbEUlT_E_NS1_11comp_targetILNS1_3genE8ELNS1_11target_archE1030ELNS1_3gpuE2ELNS1_3repE0EEENS1_30default_config_static_selectorELNS0_4arch9wavefront6targetE0EEEvSP_,"axG",@progbits,_ZN7rocprim17ROCPRIM_400000_NS6detail17trampoline_kernelINS0_14default_configENS1_32segmented_reduce_config_selectorIfEEZNS1_21segmented_reduce_implIS3_PKfPfPKifN6hipcub16HIPCUB_304000_NS6detail27convert_result_type_wrapperIS8_S9_N2at6native12_GLOBAL__N_19CustomMaxEEEEE10hipError_tPvRmT0_T1_jT2_SQ_T4_T3_P12ihipStream_tbEUlT_E_NS1_11comp_targetILNS1_3genE8ELNS1_11target_archE1030ELNS1_3gpuE2ELNS1_3repE0EEENS1_30default_config_static_selectorELNS0_4arch9wavefront6targetE0EEEvSP_,comdat
	.globl	_ZN7rocprim17ROCPRIM_400000_NS6detail17trampoline_kernelINS0_14default_configENS1_32segmented_reduce_config_selectorIfEEZNS1_21segmented_reduce_implIS3_PKfPfPKifN6hipcub16HIPCUB_304000_NS6detail27convert_result_type_wrapperIS8_S9_N2at6native12_GLOBAL__N_19CustomMaxEEEEE10hipError_tPvRmT0_T1_jT2_SQ_T4_T3_P12ihipStream_tbEUlT_E_NS1_11comp_targetILNS1_3genE8ELNS1_11target_archE1030ELNS1_3gpuE2ELNS1_3repE0EEENS1_30default_config_static_selectorELNS0_4arch9wavefront6targetE0EEEvSP_ ; -- Begin function _ZN7rocprim17ROCPRIM_400000_NS6detail17trampoline_kernelINS0_14default_configENS1_32segmented_reduce_config_selectorIfEEZNS1_21segmented_reduce_implIS3_PKfPfPKifN6hipcub16HIPCUB_304000_NS6detail27convert_result_type_wrapperIS8_S9_N2at6native12_GLOBAL__N_19CustomMaxEEEEE10hipError_tPvRmT0_T1_jT2_SQ_T4_T3_P12ihipStream_tbEUlT_E_NS1_11comp_targetILNS1_3genE8ELNS1_11target_archE1030ELNS1_3gpuE2ELNS1_3repE0EEENS1_30default_config_static_selectorELNS0_4arch9wavefront6targetE0EEEvSP_
	.p2align	8
	.type	_ZN7rocprim17ROCPRIM_400000_NS6detail17trampoline_kernelINS0_14default_configENS1_32segmented_reduce_config_selectorIfEEZNS1_21segmented_reduce_implIS3_PKfPfPKifN6hipcub16HIPCUB_304000_NS6detail27convert_result_type_wrapperIS8_S9_N2at6native12_GLOBAL__N_19CustomMaxEEEEE10hipError_tPvRmT0_T1_jT2_SQ_T4_T3_P12ihipStream_tbEUlT_E_NS1_11comp_targetILNS1_3genE8ELNS1_11target_archE1030ELNS1_3gpuE2ELNS1_3repE0EEENS1_30default_config_static_selectorELNS0_4arch9wavefront6targetE0EEEvSP_,@function
_ZN7rocprim17ROCPRIM_400000_NS6detail17trampoline_kernelINS0_14default_configENS1_32segmented_reduce_config_selectorIfEEZNS1_21segmented_reduce_implIS3_PKfPfPKifN6hipcub16HIPCUB_304000_NS6detail27convert_result_type_wrapperIS8_S9_N2at6native12_GLOBAL__N_19CustomMaxEEEEE10hipError_tPvRmT0_T1_jT2_SQ_T4_T3_P12ihipStream_tbEUlT_E_NS1_11comp_targetILNS1_3genE8ELNS1_11target_archE1030ELNS1_3gpuE2ELNS1_3repE0EEENS1_30default_config_static_selectorELNS0_4arch9wavefront6targetE0EEEvSP_: ; @_ZN7rocprim17ROCPRIM_400000_NS6detail17trampoline_kernelINS0_14default_configENS1_32segmented_reduce_config_selectorIfEEZNS1_21segmented_reduce_implIS3_PKfPfPKifN6hipcub16HIPCUB_304000_NS6detail27convert_result_type_wrapperIS8_S9_N2at6native12_GLOBAL__N_19CustomMaxEEEEE10hipError_tPvRmT0_T1_jT2_SQ_T4_T3_P12ihipStream_tbEUlT_E_NS1_11comp_targetILNS1_3genE8ELNS1_11target_archE1030ELNS1_3gpuE2ELNS1_3repE0EEENS1_30default_config_static_selectorELNS0_4arch9wavefront6targetE0EEEvSP_
; %bb.0:
	s_clause 0x1
	s_load_dwordx8 s[8:15], s[4:5], 0x0
	s_load_dwordx2 s[0:1], s[4:5], 0x20
	s_mov_b32 s7, 0
	s_load_dword s16, s[4:5], 0x2c
	v_cmp_eq_u32_e32 vcc_lo, 0, v0
	s_waitcnt lgkmcnt(0)
	s_lshl_b64 s[2:3], s[12:13], 2
	s_add_u32 s12, s14, s2
	s_addc_u32 s13, s15, s3
	s_add_u32 s14, s0, s2
	s_addc_u32 s15, s1, s3
	s_lshl_b64 s[4:5], s[6:7], 2
	s_add_u32 s0, s12, s4
	s_addc_u32 s1, s13, s5
	s_add_u32 s14, s14, s4
	s_addc_u32 s15, s15, s5
	s_load_dword s12, s[0:1], 0x0
	s_load_dword s6, s[14:15], 0x0
	s_mov_b32 s0, -1
	s_waitcnt lgkmcnt(0)
	s_cmp_gt_i32 s6, s12
	s_cbranch_scc1 .LBB50_2
; %bb.1:
	s_mov_b32 s0, 0
	s_and_b32 s7, vcc_lo, exec_lo
.LBB50_2:
	s_andn2_b32 vcc_lo, exec_lo, s0
	s_cbranch_vccnz .LBB50_131
; %bb.3:
	s_add_i32 s0, s12, 0x1000
	s_cmp_le_i32 s0, s6
	s_cbranch_scc0 .LBB50_132
; %bb.4:
	s_ashr_i32 s13, s12, 31
	v_lshlrev_b32_e32 v18, 2, v0
	s_lshl_b64 s[14:15], s[12:13], 2
	s_add_u32 s14, s8, s14
	s_addc_u32 s15, s9, s15
	v_add_co_u32 v11, s1, s14, v18
	v_add_co_ci_u32_e64 v13, null, s15, 0, s1
	s_mov_b32 s1, exec_lo
	v_add_co_u32 v1, vcc_lo, 0x800, v11
	v_add_co_ci_u32_e64 v2, null, 0, v13, vcc_lo
	v_add_co_u32 v6, vcc_lo, v11, 0x1000
	v_add_co_ci_u32_e64 v7, null, 0, v13, vcc_lo
	;; [unrolled: 2-line block ×9, first 2 shown]
	s_clause 0x7
	global_load_dword v17, v18, s[14:15]
	global_load_dword v16, v18, s[14:15] offset:1024
	global_load_dword v14, v[1:2], off offset:1024
	global_load_dword v12, v[3:4], off offset:1024
	;; [unrolled: 1-line block ×6, first 2 shown]
	v_add_co_u32 v21, vcc_lo, 0x3800, v11
	v_add_co_ci_u32_e64 v22, null, 0, v13, vcc_lo
	s_clause 0x7
	global_load_dword v15, v[6:7], off offset:-2048
	global_load_dword v13, v[6:7], off
	global_load_dword v11, v[19:20], off offset:-2048
	global_load_dword v9, v[19:20], off
	;; [unrolled: 2-line block ×3, first 2 shown]
	global_load_dword v2, v[21:22], off
	global_load_dword v1, v[21:22], off offset:1024
	s_waitcnt vmcnt(15)
	v_mov_b32_e32 v6, v17
	v_cmpx_o_f32_e32 v17, v17
	s_cbranch_execz .LBB50_8
; %bb.5:
	s_waitcnt vmcnt(14)
	v_mov_b32_e32 v6, v16
	s_mov_b32 s13, exec_lo
	v_cmpx_o_f32_e32 v16, v16
; %bb.6:
	v_cmp_lt_f32_e32 vcc_lo, v17, v16
	v_cndmask_b32_e32 v6, v17, v16, vcc_lo
; %bb.7:
	s_or_b32 exec_lo, exec_lo, s13
.LBB50_8:
	s_or_b32 exec_lo, exec_lo, s1
	s_mov_b32 s1, exec_lo
	v_cmpx_o_f32_e32 v6, v6
	s_cbranch_execz .LBB50_12
; %bb.9:
	s_waitcnt vmcnt(7)
	v_mov_b32_e32 v19, v15
	s_mov_b32 s13, exec_lo
	v_cmpx_o_f32_e32 v15, v15
; %bb.10:
	v_cmp_lt_f32_e32 vcc_lo, v6, v15
	v_cndmask_b32_e32 v19, v6, v15, vcc_lo
; %bb.11:
	s_or_b32 exec_lo, exec_lo, s13
	v_mov_b32_e32 v6, v19
.LBB50_12:
	s_or_b32 exec_lo, exec_lo, s1
	s_mov_b32 s1, exec_lo
	v_cmpx_o_f32_e32 v6, v6
	s_cbranch_execz .LBB50_16
; %bb.13:
	s_waitcnt vmcnt(13)
	v_mov_b32_e32 v19, v14
	s_mov_b32 s13, exec_lo
	v_cmpx_o_f32_e32 v14, v14
; %bb.14:
	v_cmp_lt_f32_e32 vcc_lo, v6, v14
	v_cndmask_b32_e32 v19, v6, v14, vcc_lo
; %bb.15:
	s_or_b32 exec_lo, exec_lo, s13
	v_mov_b32_e32 v6, v19
.LBB50_16:
	;; [unrolled: 16-line block ×14, first 2 shown]
	s_or_b32 exec_lo, exec_lo, s1
	s_add_i32 s1, s12, 0x2000
	s_cmp_ge_i32 s1, s6
	s_cbranch_scc1 .LBB50_133
; %bb.65:
	v_add_co_u32 v19, s1, s8, v18
	v_add_co_ci_u32_e64 v20, null, s9, 0, s1
	s_branch .LBB50_68
.LBB50_66:                              ;   in Loop: Header=BB50_68 Depth=1
	s_or_b32 exec_lo, exec_lo, s13
	v_mov_b32_e32 v6, v21
.LBB50_67:                              ;   in Loop: Header=BB50_68 Depth=1
	s_or_b32 exec_lo, exec_lo, s1
	s_add_i32 s1, s0, 0x2000
	s_addk_i32 s0, 0x1000
	s_cmp_lt_i32 s1, s6
	s_cbranch_scc0 .LBB50_133
.LBB50_68:                              ; =>This Inner Loop Header: Depth=1
	s_ashr_i32 s1, s0, 31
	s_lshl_b64 s[14:15], s[0:1], 2
	s_mov_b32 s1, exec_lo
	s_waitcnt vmcnt(0)
	v_add_co_u32 v1, vcc_lo, v19, s14
	v_add_co_ci_u32_e64 v2, null, s15, v20, vcc_lo
	v_add_co_u32 v3, vcc_lo, 0x800, v1
	v_add_co_ci_u32_e64 v4, null, 0, v2, vcc_lo
	;; [unrolled: 2-line block ×10, first 2 shown]
	s_clause 0x7
	global_load_dword v17, v[1:2], off
	global_load_dword v16, v[1:2], off offset:1024
	global_load_dword v14, v[3:4], off offset:1024
	;; [unrolled: 1-line block ×7, first 2 shown]
	v_add_co_u32 v25, vcc_lo, 0x3800, v1
	v_add_co_ci_u32_e64 v26, null, 0, v2, vcc_lo
	s_clause 0x7
	global_load_dword v15, v[21:22], off offset:-2048
	global_load_dword v13, v[21:22], off
	global_load_dword v11, v[23:24], off offset:-2048
	global_load_dword v9, v[23:24], off
	;; [unrolled: 2-line block ×3, first 2 shown]
	global_load_dword v2, v[25:26], off
	global_load_dword v1, v[25:26], off offset:1024
	v_cmpx_o_f32_e32 v6, v6
	s_cbranch_execz .LBB50_72
; %bb.69:                               ;   in Loop: Header=BB50_68 Depth=1
	s_waitcnt vmcnt(15)
	v_mov_b32_e32 v21, v17
	s_mov_b32 s13, exec_lo
	v_cmpx_o_f32_e32 v17, v17
; %bb.70:                               ;   in Loop: Header=BB50_68 Depth=1
	v_cmp_lt_f32_e32 vcc_lo, v6, v17
	v_cndmask_b32_e32 v21, v6, v17, vcc_lo
; %bb.71:                               ;   in Loop: Header=BB50_68 Depth=1
	s_or_b32 exec_lo, exec_lo, s13
	v_mov_b32_e32 v6, v21
.LBB50_72:                              ;   in Loop: Header=BB50_68 Depth=1
	s_or_b32 exec_lo, exec_lo, s1
	s_mov_b32 s1, exec_lo
	v_cmpx_o_f32_e32 v6, v6
	s_cbranch_execz .LBB50_76
; %bb.73:                               ;   in Loop: Header=BB50_68 Depth=1
	s_waitcnt vmcnt(14)
	v_mov_b32_e32 v21, v16
	s_mov_b32 s13, exec_lo
	v_cmpx_o_f32_e32 v16, v16
; %bb.74:                               ;   in Loop: Header=BB50_68 Depth=1
	v_cmp_lt_f32_e32 vcc_lo, v6, v16
	v_cndmask_b32_e32 v21, v6, v16, vcc_lo
; %bb.75:                               ;   in Loop: Header=BB50_68 Depth=1
	s_or_b32 exec_lo, exec_lo, s13
	v_mov_b32_e32 v6, v21
.LBB50_76:                              ;   in Loop: Header=BB50_68 Depth=1
	s_or_b32 exec_lo, exec_lo, s1
	s_mov_b32 s1, exec_lo
	;; [unrolled: 16-line block ×7, first 2 shown]
	v_cmpx_o_f32_e32 v6, v6
	s_cbranch_execz .LBB50_100
; %bb.97:                               ;   in Loop: Header=BB50_68 Depth=1
	s_waitcnt vmcnt(11)
	v_mov_b32_e32 v21, v10
	s_mov_b32 s13, exec_lo
	v_cmpx_o_f32_e32 v10, v10
; %bb.98:                               ;   in Loop: Header=BB50_68 Depth=1
	v_cmp_lt_f32_e32 vcc_lo, v6, v10
	v_cndmask_b32_e32 v21, v6, v10, vcc_lo
; %bb.99:                               ;   in Loop: Header=BB50_68 Depth=1
	s_or_b32 exec_lo, exec_lo, s13
	v_mov_b32_e32 v6, v21
.LBB50_100:                             ;   in Loop: Header=BB50_68 Depth=1
	s_or_b32 exec_lo, exec_lo, s1
	s_mov_b32 s1, exec_lo
	v_cmpx_o_f32_e32 v6, v6
	s_cbranch_execz .LBB50_104
; %bb.101:                              ;   in Loop: Header=BB50_68 Depth=1
	s_waitcnt vmcnt(4)
	v_mov_b32_e32 v21, v9
	s_mov_b32 s13, exec_lo
	v_cmpx_o_f32_e32 v9, v9
; %bb.102:                              ;   in Loop: Header=BB50_68 Depth=1
	v_cmp_lt_f32_e32 vcc_lo, v6, v9
	v_cndmask_b32_e32 v21, v6, v9, vcc_lo
; %bb.103:                              ;   in Loop: Header=BB50_68 Depth=1
	s_or_b32 exec_lo, exec_lo, s13
	v_mov_b32_e32 v6, v21
.LBB50_104:                             ;   in Loop: Header=BB50_68 Depth=1
	s_or_b32 exec_lo, exec_lo, s1
	s_mov_b32 s1, exec_lo
	v_cmpx_o_f32_e32 v6, v6
	s_cbranch_execz .LBB50_108
; %bb.105:                              ;   in Loop: Header=BB50_68 Depth=1
	s_waitcnt vmcnt(10)
	v_mov_b32_e32 v21, v8
	s_mov_b32 s13, exec_lo
	v_cmpx_o_f32_e32 v8, v8
; %bb.106:                              ;   in Loop: Header=BB50_68 Depth=1
	v_cmp_lt_f32_e32 vcc_lo, v6, v8
	v_cndmask_b32_e32 v21, v6, v8, vcc_lo
; %bb.107:                              ;   in Loop: Header=BB50_68 Depth=1
	s_or_b32 exec_lo, exec_lo, s13
	v_mov_b32_e32 v6, v21
.LBB50_108:                             ;   in Loop: Header=BB50_68 Depth=1
	;; [unrolled: 16-line block ×7, first 2 shown]
	s_or_b32 exec_lo, exec_lo, s1
	s_mov_b32 s1, exec_lo
	v_cmpx_o_f32_e32 v6, v6
	s_cbranch_execz .LBB50_67
; %bb.129:                              ;   in Loop: Header=BB50_68 Depth=1
	s_waitcnt vmcnt(0)
	v_mov_b32_e32 v21, v1
	s_mov_b32 s13, exec_lo
	v_cmpx_o_f32_e32 v1, v1
	s_cbranch_execz .LBB50_66
; %bb.130:                              ;   in Loop: Header=BB50_68 Depth=1
	v_cmp_lt_f32_e32 vcc_lo, v6, v1
	v_cndmask_b32_e32 v21, v6, v1, vcc_lo
	s_branch .LBB50_66
.LBB50_131:
	v_mov_b32_e32 v2, s16
	s_and_saveexec_b32 s0, s7
	s_cbranch_execnz .LBB50_371
	s_branch .LBB50_372
.LBB50_132:
                                        ; implicit-def: $vgpr1
	s_cbranch_execnz .LBB50_266
	s_branch .LBB50_364
.LBB50_133:
	s_ashr_i32 s1, s0, 31
	s_sub_i32 s13, s6, s0
	s_lshl_b64 s[0:1], s[0:1], 2
	s_mov_b32 s14, exec_lo
	s_add_u32 s0, s8, s0
	s_addc_u32 s1, s9, s1
	v_cmpx_gt_u32_e64 s13, v0
	s_cbranch_execz .LBB50_135
; %bb.134:
	global_load_dword v17, v18, s[0:1]
.LBB50_135:
	s_or_b32 exec_lo, exec_lo, s14
	v_or_b32_e32 v32, 0x100, v0
	s_mov_b32 s14, exec_lo
	v_cmpx_gt_u32_e64 s13, v32
	s_cbranch_execz .LBB50_137
; %bb.136:
	global_load_dword v16, v18, s[0:1] offset:1024
.LBB50_137:
	s_or_b32 exec_lo, exec_lo, s14
	v_or_b32_e32 v31, 0x200, v0
	s_mov_b32 s14, exec_lo
	v_cmpx_gt_u32_e64 s13, v31
	s_cbranch_execz .LBB50_139
; %bb.138:
	s_waitcnt vmcnt(7)
	v_lshlrev_b32_e32 v15, 2, v31
	global_load_dword v15, v15, s[0:1]
.LBB50_139:
	s_or_b32 exec_lo, exec_lo, s14
	v_or_b32_e32 v30, 0x300, v0
	s_mov_b32 s14, exec_lo
	v_cmpx_gt_u32_e64 s13, v30
	s_cbranch_execz .LBB50_141
; %bb.140:
	s_waitcnt vmcnt(13)
	v_lshlrev_b32_e32 v14, 2, v30
	global_load_dword v14, v14, s[0:1]
.LBB50_141:
	;; [unrolled: 10-line block ×14, first 2 shown]
	s_or_b32 exec_lo, exec_lo, s14
	v_cmp_gt_u32_e32 vcc_lo, s13, v0
	v_cmp_o_f32_e64 s0, v6, v6
	s_and_b32 s1, vcc_lo, s0
	s_and_saveexec_b32 s0, s1
	s_cbranch_execz .LBB50_169
; %bb.166:
	s_mov_b32 s1, exec_lo
	s_waitcnt vmcnt(0)
	v_cmpx_o_f32_e32 v17, v17
; %bb.167:
	v_cmp_lt_f32_e32 vcc_lo, v6, v17
	v_cndmask_b32_e32 v17, v6, v17, vcc_lo
; %bb.168:
	s_or_b32 exec_lo, exec_lo, s1
	v_mov_b32_e32 v6, v17
.LBB50_169:
	s_or_b32 exec_lo, exec_lo, s0
	v_cmp_gt_u32_e32 vcc_lo, s13, v32
	v_cmp_o_f32_e64 s0, v6, v6
	s_and_b32 s1, vcc_lo, s0
	s_and_saveexec_b32 s0, s1
	s_cbranch_execz .LBB50_173
; %bb.170:
	s_mov_b32 s1, exec_lo
	s_waitcnt vmcnt(0)
	v_cmpx_o_f32_e32 v16, v16
; %bb.171:
	v_cmp_lt_f32_e32 vcc_lo, v6, v16
	v_cndmask_b32_e32 v16, v6, v16, vcc_lo
; %bb.172:
	s_or_b32 exec_lo, exec_lo, s1
	v_mov_b32_e32 v6, v16
.LBB50_173:
	s_or_b32 exec_lo, exec_lo, s0
	v_cmp_gt_u32_e32 vcc_lo, s13, v31
	v_cmp_o_f32_e64 s0, v6, v6
	s_and_b32 s1, vcc_lo, s0
	s_and_saveexec_b32 s0, s1
	s_cbranch_execz .LBB50_177
; %bb.174:
	s_mov_b32 s1, exec_lo
	s_waitcnt vmcnt(0)
	v_cmpx_o_f32_e32 v15, v15
; %bb.175:
	v_cmp_lt_f32_e32 vcc_lo, v6, v15
	v_cndmask_b32_e32 v15, v6, v15, vcc_lo
; %bb.176:
	s_or_b32 exec_lo, exec_lo, s1
	v_mov_b32_e32 v6, v15
.LBB50_177:
	s_or_b32 exec_lo, exec_lo, s0
	v_cmp_gt_u32_e32 vcc_lo, s13, v30
	v_cmp_o_f32_e64 s0, v6, v6
	s_and_b32 s1, vcc_lo, s0
	s_and_saveexec_b32 s0, s1
	s_cbranch_execz .LBB50_181
; %bb.178:
	s_mov_b32 s1, exec_lo
	s_waitcnt vmcnt(0)
	v_cmpx_o_f32_e32 v14, v14
; %bb.179:
	v_cmp_lt_f32_e32 vcc_lo, v6, v14
	v_cndmask_b32_e32 v14, v6, v14, vcc_lo
; %bb.180:
	s_or_b32 exec_lo, exec_lo, s1
	v_mov_b32_e32 v6, v14
.LBB50_181:
	s_or_b32 exec_lo, exec_lo, s0
	v_cmp_gt_u32_e32 vcc_lo, s13, v29
	v_cmp_o_f32_e64 s0, v6, v6
	s_and_b32 s1, vcc_lo, s0
	s_and_saveexec_b32 s0, s1
	s_cbranch_execz .LBB50_185
; %bb.182:
	s_mov_b32 s1, exec_lo
	s_waitcnt vmcnt(0)
	v_cmpx_o_f32_e32 v13, v13
; %bb.183:
	v_cmp_lt_f32_e32 vcc_lo, v6, v13
	v_cndmask_b32_e32 v13, v6, v13, vcc_lo
; %bb.184:
	s_or_b32 exec_lo, exec_lo, s1
	v_mov_b32_e32 v6, v13
.LBB50_185:
	s_or_b32 exec_lo, exec_lo, s0
	v_cmp_gt_u32_e32 vcc_lo, s13, v28
	v_cmp_o_f32_e64 s0, v6, v6
	s_and_b32 s1, vcc_lo, s0
	s_and_saveexec_b32 s0, s1
	s_cbranch_execz .LBB50_189
; %bb.186:
	s_mov_b32 s1, exec_lo
	s_waitcnt vmcnt(0)
	v_cmpx_o_f32_e32 v12, v12
; %bb.187:
	v_cmp_lt_f32_e32 vcc_lo, v6, v12
	v_cndmask_b32_e32 v12, v6, v12, vcc_lo
; %bb.188:
	s_or_b32 exec_lo, exec_lo, s1
	v_mov_b32_e32 v6, v12
.LBB50_189:
	s_or_b32 exec_lo, exec_lo, s0
	v_cmp_gt_u32_e32 vcc_lo, s13, v27
	v_cmp_o_f32_e64 s0, v6, v6
	s_and_b32 s1, vcc_lo, s0
	s_and_saveexec_b32 s0, s1
	s_cbranch_execz .LBB50_193
; %bb.190:
	s_mov_b32 s1, exec_lo
	s_waitcnt vmcnt(0)
	v_cmpx_o_f32_e32 v11, v11
; %bb.191:
	v_cmp_lt_f32_e32 vcc_lo, v6, v11
	v_cndmask_b32_e32 v11, v6, v11, vcc_lo
; %bb.192:
	s_or_b32 exec_lo, exec_lo, s1
	v_mov_b32_e32 v6, v11
.LBB50_193:
	s_or_b32 exec_lo, exec_lo, s0
	v_cmp_gt_u32_e32 vcc_lo, s13, v26
	v_cmp_o_f32_e64 s0, v6, v6
	s_and_b32 s1, vcc_lo, s0
	s_and_saveexec_b32 s0, s1
	s_cbranch_execz .LBB50_197
; %bb.194:
	s_mov_b32 s1, exec_lo
	s_waitcnt vmcnt(0)
	v_cmpx_o_f32_e32 v10, v10
; %bb.195:
	v_cmp_lt_f32_e32 vcc_lo, v6, v10
	v_cndmask_b32_e32 v10, v6, v10, vcc_lo
; %bb.196:
	s_or_b32 exec_lo, exec_lo, s1
	v_mov_b32_e32 v6, v10
.LBB50_197:
	s_or_b32 exec_lo, exec_lo, s0
	v_cmp_gt_u32_e32 vcc_lo, s13, v25
	v_cmp_o_f32_e64 s0, v6, v6
	s_and_b32 s1, vcc_lo, s0
	s_and_saveexec_b32 s0, s1
	s_cbranch_execz .LBB50_201
; %bb.198:
	s_mov_b32 s1, exec_lo
	s_waitcnt vmcnt(0)
	v_cmpx_o_f32_e32 v9, v9
; %bb.199:
	v_cmp_lt_f32_e32 vcc_lo, v6, v9
	v_cndmask_b32_e32 v9, v6, v9, vcc_lo
; %bb.200:
	s_or_b32 exec_lo, exec_lo, s1
	v_mov_b32_e32 v6, v9
.LBB50_201:
	s_or_b32 exec_lo, exec_lo, s0
	v_cmp_gt_u32_e32 vcc_lo, s13, v24
	v_cmp_o_f32_e64 s0, v6, v6
	s_and_b32 s1, vcc_lo, s0
	s_and_saveexec_b32 s0, s1
	s_cbranch_execz .LBB50_205
; %bb.202:
	s_mov_b32 s1, exec_lo
	s_waitcnt vmcnt(0)
	v_cmpx_o_f32_e32 v8, v8
; %bb.203:
	v_cmp_lt_f32_e32 vcc_lo, v6, v8
	v_cndmask_b32_e32 v8, v6, v8, vcc_lo
; %bb.204:
	s_or_b32 exec_lo, exec_lo, s1
	v_mov_b32_e32 v6, v8
.LBB50_205:
	s_or_b32 exec_lo, exec_lo, s0
	v_cmp_gt_u32_e32 vcc_lo, s13, v23
	v_cmp_o_f32_e64 s0, v6, v6
	s_and_b32 s1, vcc_lo, s0
	s_and_saveexec_b32 s0, s1
	s_cbranch_execz .LBB50_209
; %bb.206:
	s_mov_b32 s1, exec_lo
	s_waitcnt vmcnt(0)
	v_cmpx_o_f32_e32 v7, v7
; %bb.207:
	v_cmp_lt_f32_e32 vcc_lo, v6, v7
	v_cndmask_b32_e32 v7, v6, v7, vcc_lo
; %bb.208:
	s_or_b32 exec_lo, exec_lo, s1
	v_mov_b32_e32 v6, v7
.LBB50_209:
	s_or_b32 exec_lo, exec_lo, s0
	v_cmp_gt_u32_e32 vcc_lo, s13, v22
	v_cmp_o_f32_e64 s0, v6, v6
	s_and_b32 s1, vcc_lo, s0
	s_and_saveexec_b32 s0, s1
	s_cbranch_execz .LBB50_213
; %bb.210:
	s_mov_b32 s1, exec_lo
	s_waitcnt vmcnt(0)
	v_cmpx_o_f32_e32 v5, v5
; %bb.211:
	v_cmp_lt_f32_e32 vcc_lo, v6, v5
	v_cndmask_b32_e32 v5, v6, v5, vcc_lo
; %bb.212:
	s_or_b32 exec_lo, exec_lo, s1
	v_mov_b32_e32 v6, v5
.LBB50_213:
	s_or_b32 exec_lo, exec_lo, s0
	v_cmp_gt_u32_e32 vcc_lo, s13, v21
	v_cmp_o_f32_e64 s0, v6, v6
	s_and_b32 s1, vcc_lo, s0
	s_and_saveexec_b32 s0, s1
	s_cbranch_execz .LBB50_217
; %bb.214:
	s_mov_b32 s1, exec_lo
	s_waitcnt vmcnt(0)
	v_cmpx_o_f32_e32 v4, v4
; %bb.215:
	v_cmp_lt_f32_e32 vcc_lo, v6, v4
	v_cndmask_b32_e32 v4, v6, v4, vcc_lo
; %bb.216:
	s_or_b32 exec_lo, exec_lo, s1
	v_mov_b32_e32 v6, v4
.LBB50_217:
	s_or_b32 exec_lo, exec_lo, s0
	v_cmp_gt_u32_e32 vcc_lo, s13, v20
	v_cmp_o_f32_e64 s0, v6, v6
	s_and_b32 s1, vcc_lo, s0
	s_and_saveexec_b32 s0, s1
	s_cbranch_execz .LBB50_221
; %bb.218:
	s_mov_b32 s1, exec_lo
	s_waitcnt vmcnt(0)
	v_cmpx_o_f32_e32 v3, v3
; %bb.219:
	v_cmp_lt_f32_e32 vcc_lo, v6, v3
	v_cndmask_b32_e32 v3, v6, v3, vcc_lo
; %bb.220:
	s_or_b32 exec_lo, exec_lo, s1
	v_mov_b32_e32 v6, v3
.LBB50_221:
	s_or_b32 exec_lo, exec_lo, s0
	v_cmp_gt_u32_e32 vcc_lo, s13, v19
	v_cmp_o_f32_e64 s0, v6, v6
	s_and_b32 s1, vcc_lo, s0
	s_and_saveexec_b32 s0, s1
	s_cbranch_execz .LBB50_225
; %bb.222:
	s_mov_b32 s1, exec_lo
	s_waitcnt vmcnt(0)
	v_cmpx_o_f32_e32 v2, v2
; %bb.223:
	v_cmp_lt_f32_e32 vcc_lo, v6, v2
	v_cndmask_b32_e32 v2, v6, v2, vcc_lo
; %bb.224:
	s_or_b32 exec_lo, exec_lo, s1
	v_mov_b32_e32 v6, v2
.LBB50_225:
	s_or_b32 exec_lo, exec_lo, s0
	v_cmp_gt_u32_e32 vcc_lo, s13, v18
	v_cmp_o_f32_e64 s0, v6, v6
	s_and_b32 s1, vcc_lo, s0
	s_and_saveexec_b32 s0, s1
	s_cbranch_execz .LBB50_229
; %bb.226:
	s_mov_b32 s1, exec_lo
	s_waitcnt vmcnt(0)
	v_cmpx_o_f32_e32 v1, v1
; %bb.227:
	v_cmp_lt_f32_e32 vcc_lo, v6, v1
	v_cndmask_b32_e32 v1, v6, v1, vcc_lo
; %bb.228:
	s_or_b32 exec_lo, exec_lo, s1
	v_mov_b32_e32 v6, v1
.LBB50_229:
	s_or_b32 exec_lo, exec_lo, s0
	s_waitcnt vmcnt(0)
	v_mov_b32_dpp v1, v6 quad_perm:[1,0,3,2] row_mask:0xf bank_mask:0xf
	s_mov_b32 s0, exec_lo
	v_cmpx_o_f32_e32 v1, v1
	s_xor_b32 s0, exec_lo, s0
	s_cbranch_execz .LBB50_233
; %bb.230:
	s_mov_b32 s1, exec_lo
	v_cmpx_o_f32_e32 v6, v6
; %bb.231:
	v_cmp_gt_f32_e32 vcc_lo, v6, v1
	v_cndmask_b32_e32 v6, v1, v6, vcc_lo
; %bb.232:
	s_or_b32 exec_lo, exec_lo, s1
	v_mov_b32_e32 v1, v6
.LBB50_233:
	s_or_b32 exec_lo, exec_lo, s0
	v_mov_b32_dpp v2, v1 quad_perm:[2,3,0,1] row_mask:0xf bank_mask:0xf
	s_mov_b32 s0, exec_lo
	v_cmpx_o_f32_e32 v2, v2
	s_cbranch_execz .LBB50_237
; %bb.234:
	s_mov_b32 s1, exec_lo
	v_cmpx_o_f32_e32 v1, v1
; %bb.235:
	v_cmp_gt_f32_e32 vcc_lo, v1, v2
	v_cndmask_b32_e32 v1, v2, v1, vcc_lo
; %bb.236:
	s_or_b32 exec_lo, exec_lo, s1
	v_mov_b32_e32 v2, v1
.LBB50_237:
	s_or_b32 exec_lo, exec_lo, s0
	v_mov_b32_dpp v1, v2 row_ror:4 row_mask:0xf bank_mask:0xf
	s_mov_b32 s0, exec_lo
	v_cmpx_o_f32_e32 v1, v1
	s_cbranch_execz .LBB50_241
; %bb.238:
	s_mov_b32 s1, exec_lo
	v_cmpx_o_f32_e32 v2, v2
; %bb.239:
	v_cmp_gt_f32_e32 vcc_lo, v2, v1
	v_cndmask_b32_e32 v2, v1, v2, vcc_lo
; %bb.240:
	s_or_b32 exec_lo, exec_lo, s1
	v_mov_b32_e32 v1, v2
.LBB50_241:
	s_or_b32 exec_lo, exec_lo, s0
	v_mov_b32_dpp v2, v1 row_ror:8 row_mask:0xf bank_mask:0xf
	s_mov_b32 s0, exec_lo
	v_cmpx_o_f32_e32 v2, v2
	s_cbranch_execz .LBB50_245
; %bb.242:
	s_mov_b32 s1, exec_lo
	v_cmpx_o_f32_e32 v1, v1
; %bb.243:
	v_cmp_gt_f32_e32 vcc_lo, v1, v2
	v_cndmask_b32_e32 v1, v2, v1, vcc_lo
; %bb.244:
	s_or_b32 exec_lo, exec_lo, s1
	v_mov_b32_e32 v2, v1
.LBB50_245:
	s_or_b32 exec_lo, exec_lo, s0
	ds_swizzle_b32 v1, v2 offset:swizzle(BROADCAST,32,15)
	s_mov_b32 s0, exec_lo
	s_waitcnt lgkmcnt(0)
	v_cmpx_o_f32_e32 v1, v1
	s_cbranch_execz .LBB50_249
; %bb.246:
	s_mov_b32 s1, exec_lo
	v_cmpx_o_f32_e32 v2, v2
; %bb.247:
	v_cmp_gt_f32_e32 vcc_lo, v2, v1
	v_cndmask_b32_e32 v2, v1, v2, vcc_lo
; %bb.248:
	s_or_b32 exec_lo, exec_lo, s1
	v_mov_b32_e32 v1, v2
.LBB50_249:
	s_or_b32 exec_lo, exec_lo, s0
	v_mov_b32_e32 v2, 0
	s_mov_b32 s0, exec_lo
	ds_bpermute_b32 v1, v2, v1 offset:124
	v_mbcnt_lo_u32_b32 v2, -1, 0
	v_cmpx_eq_u32_e32 0, v2
	s_cbranch_execz .LBB50_251
; %bb.250:
	v_lshrrev_b32_e32 v3, 3, v0
	v_and_b32_e32 v3, 28, v3
	s_waitcnt lgkmcnt(0)
	ds_write_b32 v3, v1
.LBB50_251:
	s_or_b32 exec_lo, exec_lo, s0
	s_mov_b32 s0, exec_lo
	s_waitcnt lgkmcnt(0)
	s_barrier
	buffer_gl0_inv
	v_cmpx_gt_u32_e32 32, v0
	s_cbranch_execz .LBB50_265
; %bb.252:
	v_and_b32_e32 v3, 7, v2
	s_mov_b32 s1, exec_lo
	v_lshlrev_b32_e32 v1, 2, v3
	v_cmp_ne_u32_e32 vcc_lo, 7, v3
	ds_read_b32 v1, v1
	v_add_co_ci_u32_e64 v4, null, 0, v2, vcc_lo
	v_lshlrev_b32_e32 v4, 2, v4
	s_waitcnt lgkmcnt(0)
	ds_bpermute_b32 v4, v4, v1
	v_cmpx_o_f32_e32 v1, v1
	s_cbranch_execz .LBB50_256
; %bb.253:
	s_mov_b32 s13, exec_lo
	s_waitcnt lgkmcnt(0)
	v_cmpx_o_f32_e32 v4, v4
; %bb.254:
	v_cmp_lt_f32_e32 vcc_lo, v1, v4
	v_cndmask_b32_e32 v4, v1, v4, vcc_lo
; %bb.255:
	s_or_b32 exec_lo, exec_lo, s13
	v_mov_b32_e32 v1, v4
.LBB50_256:
	s_or_b32 exec_lo, exec_lo, s1
	v_cmp_gt_u32_e32 vcc_lo, 6, v3
	s_mov_b32 s1, exec_lo
	v_cndmask_b32_e64 v3, 0, 2, vcc_lo
	v_add_lshl_u32 v3, v3, v2, 2
	v_lshlrev_b32_e32 v2, 2, v2
	ds_bpermute_b32 v3, v3, v1
	v_cmpx_o_f32_e32 v1, v1
	s_cbranch_execz .LBB50_260
; %bb.257:
	s_mov_b32 s13, exec_lo
	s_waitcnt lgkmcnt(0)
	v_cmpx_o_f32_e32 v3, v3
; %bb.258:
	v_cmp_lt_f32_e32 vcc_lo, v1, v3
	v_cndmask_b32_e32 v3, v1, v3, vcc_lo
; %bb.259:
	s_or_b32 exec_lo, exec_lo, s13
	v_mov_b32_e32 v1, v3
.LBB50_260:
	s_or_b32 exec_lo, exec_lo, s1
	v_or_b32_e32 v2, 16, v2
	s_mov_b32 s1, exec_lo
	ds_bpermute_b32 v2, v2, v1
	v_cmpx_o_f32_e32 v1, v1
	s_cbranch_execz .LBB50_264
; %bb.261:
	s_mov_b32 s13, exec_lo
	s_waitcnt lgkmcnt(0)
	v_cmpx_o_f32_e32 v2, v2
; %bb.262:
	v_cmp_lt_f32_e32 vcc_lo, v1, v2
	v_cndmask_b32_e32 v2, v1, v2, vcc_lo
; %bb.263:
	s_or_b32 exec_lo, exec_lo, s13
	v_mov_b32_e32 v1, v2
.LBB50_264:
	s_or_b32 exec_lo, exec_lo, s1
.LBB50_265:
	s_or_b32 exec_lo, exec_lo, s0
	s_branch .LBB50_364
.LBB50_266:
	s_sub_i32 s1, s6, s12
	s_mov_b32 s0, exec_lo
                                        ; implicit-def: $vgpr4
	v_cmpx_gt_u32_e64 s1, v0
	s_cbranch_execz .LBB50_276
; %bb.267:
	v_add_nc_u32_e32 v1, s12, v0
	s_mov_b32 s12, exec_lo
	s_waitcnt lgkmcnt(0)
	v_ashrrev_i32_e32 v2, 31, v1
	v_lshlrev_b64 v[2:3], 2, v[1:2]
	v_add_nc_u32_e32 v1, 0x100, v1
	v_add_co_u32 v2, vcc_lo, s8, v2
	v_add_co_ci_u32_e64 v3, null, s9, v3, vcc_lo
	global_load_dword v4, v[2:3], off
	v_cmpx_gt_i32_e64 s6, v1
	s_cbranch_execz .LBB50_275
; %bb.268:
	s_mov_b32 s13, 0
	s_inst_prefetch 0x1
	s_branch .LBB50_271
	.p2align	6
.LBB50_269:                             ;   in Loop: Header=BB50_271 Depth=1
	s_or_b32 exec_lo, exec_lo, s15
	v_mov_b32_e32 v4, v2
.LBB50_270:                             ;   in Loop: Header=BB50_271 Depth=1
	s_or_b32 exec_lo, exec_lo, s14
	v_add_nc_u32_e32 v1, 0x100, v1
	v_cmp_le_i32_e32 vcc_lo, s6, v1
	s_or_b32 s13, vcc_lo, s13
	s_andn2_b32 exec_lo, exec_lo, s13
	s_cbranch_execz .LBB50_274
.LBB50_271:                             ; =>This Inner Loop Header: Depth=1
	s_mov_b32 s14, exec_lo
	s_waitcnt vmcnt(0)
	v_cmpx_o_f32_e32 v4, v4
	s_cbranch_execz .LBB50_270
; %bb.272:                              ;   in Loop: Header=BB50_271 Depth=1
	v_ashrrev_i32_e32 v2, 31, v1
	s_mov_b32 s15, exec_lo
	v_lshlrev_b64 v[2:3], 2, v[1:2]
	v_add_co_u32 v2, vcc_lo, s8, v2
	v_add_co_ci_u32_e64 v3, null, s9, v3, vcc_lo
	global_load_dword v2, v[2:3], off
	s_waitcnt vmcnt(0)
	v_cmpx_o_f32_e32 v2, v2
	s_cbranch_execz .LBB50_269
; %bb.273:                              ;   in Loop: Header=BB50_271 Depth=1
	v_cmp_lt_f32_e32 vcc_lo, v4, v2
	v_cndmask_b32_e32 v2, v4, v2, vcc_lo
	s_branch .LBB50_269
.LBB50_274:
	s_inst_prefetch 0x2
	s_or_b32 exec_lo, exec_lo, s13
.LBB50_275:
	s_or_b32 exec_lo, exec_lo, s12
.LBB50_276:
	s_or_b32 exec_lo, exec_lo, s0
	s_waitcnt lgkmcnt(1)
	v_lshrrev_b32_e32 v3, 5, v0
	s_waitcnt lgkmcnt(0)
	v_mbcnt_lo_u32_b32 v2, -1, 0
	s_cmpk_lt_u32 s1, 0x100
	s_mov_b32 s0, -1
                                        ; implicit-def: $vgpr1
	s_cbranch_scc0 .LBB50_326
; %bb.277:
	v_cmp_ne_u32_e32 vcc_lo, 31, v2
	v_add_co_ci_u32_e64 v1, null, 0, v2, vcc_lo
	v_lshlrev_b32_e32 v1, 2, v1
	s_waitcnt vmcnt(0)
	ds_bpermute_b32 v6, v1, v4
	v_and_b32_e32 v1, 0xe0, v0
	v_sub_nc_u32_e64 v5, s1, v1 clamp
	v_add_nc_u32_e32 v1, 1, v2
	v_cmp_lt_u32_e32 vcc_lo, v1, v5
	v_mov_b32_e32 v1, v4
	s_and_saveexec_b32 s0, vcc_lo
	s_cbranch_execz .LBB50_283
; %bb.278:
	v_mov_b32_e32 v1, v4
	s_mov_b32 s6, exec_lo
	v_cmpx_o_f32_e32 v4, v4
	s_cbranch_execz .LBB50_282
; %bb.279:
	s_mov_b32 s8, exec_lo
	s_waitcnt lgkmcnt(0)
	v_cmpx_o_f32_e32 v6, v6
; %bb.280:
	v_cmp_lt_f32_e32 vcc_lo, v4, v6
	v_cndmask_b32_e32 v6, v4, v6, vcc_lo
; %bb.281:
	s_or_b32 exec_lo, exec_lo, s8
	v_mov_b32_e32 v1, v6
.LBB50_282:
	s_or_b32 exec_lo, exec_lo, s6
.LBB50_283:
	s_or_b32 exec_lo, exec_lo, s0
	v_cmp_gt_u32_e32 vcc_lo, 30, v2
	v_add_nc_u32_e32 v7, 2, v2
	s_mov_b32 s0, exec_lo
	s_waitcnt lgkmcnt(0)
	v_cndmask_b32_e64 v6, 0, 2, vcc_lo
	v_add_lshl_u32 v6, v6, v2, 2
	ds_bpermute_b32 v6, v6, v1
	v_cmpx_lt_u32_e64 v7, v5
	s_cbranch_execz .LBB50_289
; %bb.284:
	s_mov_b32 s6, exec_lo
	v_cmpx_o_f32_e32 v1, v1
	s_cbranch_execz .LBB50_288
; %bb.285:
	s_mov_b32 s8, exec_lo
	s_waitcnt lgkmcnt(0)
	v_cmpx_o_f32_e32 v6, v6
; %bb.286:
	v_cmp_lt_f32_e32 vcc_lo, v1, v6
	v_cndmask_b32_e32 v6, v1, v6, vcc_lo
; %bb.287:
	s_or_b32 exec_lo, exec_lo, s8
	v_mov_b32_e32 v1, v6
.LBB50_288:
	s_or_b32 exec_lo, exec_lo, s6
.LBB50_289:
	s_or_b32 exec_lo, exec_lo, s0
	v_cmp_gt_u32_e32 vcc_lo, 28, v2
	v_add_nc_u32_e32 v7, 4, v2
	s_mov_b32 s0, exec_lo
	s_waitcnt lgkmcnt(0)
	v_cndmask_b32_e64 v6, 0, 4, vcc_lo
	v_add_lshl_u32 v6, v6, v2, 2
	ds_bpermute_b32 v6, v6, v1
	v_cmpx_lt_u32_e64 v7, v5
	s_cbranch_execz .LBB50_295
; %bb.290:
	s_mov_b32 s6, exec_lo
	v_cmpx_o_f32_e32 v1, v1
	s_cbranch_execz .LBB50_294
; %bb.291:
	s_mov_b32 s8, exec_lo
	s_waitcnt lgkmcnt(0)
	v_cmpx_o_f32_e32 v6, v6
; %bb.292:
	v_cmp_lt_f32_e32 vcc_lo, v1, v6
	v_cndmask_b32_e32 v6, v1, v6, vcc_lo
; %bb.293:
	s_or_b32 exec_lo, exec_lo, s8
	v_mov_b32_e32 v1, v6
.LBB50_294:
	s_or_b32 exec_lo, exec_lo, s6
.LBB50_295:
	;; [unrolled: 27-line block ×3, first 2 shown]
	s_or_b32 exec_lo, exec_lo, s0
	s_waitcnt lgkmcnt(0)
	v_lshlrev_b32_e32 v6, 2, v2
	v_add_nc_u32_e32 v8, 16, v2
	v_cmp_o_f32_e64 s0, v1, v1
	v_or_b32_e32 v7, 64, v6
	v_cmp_lt_u32_e32 vcc_lo, v8, v5
	ds_bpermute_b32 v7, v7, v1
	s_and_b32 s6, vcc_lo, s0
	s_and_saveexec_b32 s0, s6
	s_cbranch_execz .LBB50_305
; %bb.302:
	s_mov_b32 s6, exec_lo
	s_waitcnt lgkmcnt(0)
	v_cmpx_o_f32_e32 v7, v7
; %bb.303:
	v_cmp_lt_f32_e32 vcc_lo, v1, v7
	v_cndmask_b32_e32 v7, v1, v7, vcc_lo
; %bb.304:
	s_or_b32 exec_lo, exec_lo, s6
	v_mov_b32_e32 v1, v7
.LBB50_305:
	s_or_b32 exec_lo, exec_lo, s0
	s_mov_b32 s0, exec_lo
	v_cmpx_eq_u32_e32 0, v2
; %bb.306:
	v_lshlrev_b32_e32 v5, 2, v3
	ds_write_b32 v5, v1
; %bb.307:
	s_or_b32 exec_lo, exec_lo, s0
	s_mov_b32 s6, exec_lo
	s_waitcnt lgkmcnt(0)
	s_barrier
	buffer_gl0_inv
	v_cmpx_gt_u32_e32 8, v0
	s_cbranch_execz .LBB50_325
; %bb.308:
	ds_read_b32 v1, v6
	v_and_b32_e32 v5, 7, v2
	s_add_i32 s1, s1, 31
	s_lshr_b32 s0, s1, 5
	s_mov_b32 s1, exec_lo
	v_cmp_ne_u32_e32 vcc_lo, 7, v5
	v_add_nc_u32_e32 v8, 1, v5
	v_add_co_ci_u32_e64 v7, null, 0, v2, vcc_lo
	v_lshlrev_b32_e32 v7, 2, v7
	s_waitcnt lgkmcnt(0)
	ds_bpermute_b32 v7, v7, v1
	v_cmpx_gt_u32_e64 s0, v8
	s_cbranch_execz .LBB50_314
; %bb.309:
	s_mov_b32 s8, exec_lo
	v_cmpx_o_f32_e32 v1, v1
	s_cbranch_execz .LBB50_313
; %bb.310:
	s_mov_b32 s9, exec_lo
	s_waitcnt lgkmcnt(0)
	v_cmpx_o_f32_e32 v7, v7
; %bb.311:
	v_cmp_lt_f32_e32 vcc_lo, v1, v7
	v_cndmask_b32_e32 v7, v1, v7, vcc_lo
; %bb.312:
	s_or_b32 exec_lo, exec_lo, s9
	v_mov_b32_e32 v1, v7
.LBB50_313:
	s_or_b32 exec_lo, exec_lo, s8
.LBB50_314:
	s_or_b32 exec_lo, exec_lo, s1
	v_cmp_gt_u32_e32 vcc_lo, 6, v5
	v_add_nc_u32_e32 v8, 2, v5
	s_mov_b32 s1, exec_lo
	s_waitcnt lgkmcnt(0)
	v_cndmask_b32_e64 v7, 0, 2, vcc_lo
	v_add_lshl_u32 v7, v7, v2, 2
	ds_bpermute_b32 v7, v7, v1
	v_cmpx_gt_u32_e64 s0, v8
	s_cbranch_execz .LBB50_320
; %bb.315:
	s_mov_b32 s8, exec_lo
	v_cmpx_o_f32_e32 v1, v1
	s_cbranch_execz .LBB50_319
; %bb.316:
	s_mov_b32 s9, exec_lo
	s_waitcnt lgkmcnt(0)
	v_cmpx_o_f32_e32 v7, v7
; %bb.317:
	v_cmp_lt_f32_e32 vcc_lo, v1, v7
	v_cndmask_b32_e32 v7, v1, v7, vcc_lo
; %bb.318:
	s_or_b32 exec_lo, exec_lo, s9
	v_mov_b32_e32 v1, v7
.LBB50_319:
	s_or_b32 exec_lo, exec_lo, s8
.LBB50_320:
	s_or_b32 exec_lo, exec_lo, s1
	v_or_b32_e32 v6, 16, v6
	v_add_nc_u32_e32 v5, 4, v5
	ds_bpermute_b32 v6, v6, v1
	v_cmp_gt_u32_e32 vcc_lo, s0, v5
	v_cmp_o_f32_e64 s0, v1, v1
	s_and_b32 s1, vcc_lo, s0
	s_and_saveexec_b32 s0, s1
	s_cbranch_execz .LBB50_324
; %bb.321:
	s_mov_b32 s1, exec_lo
	s_waitcnt lgkmcnt(0)
	v_cmpx_o_f32_e32 v6, v6
; %bb.322:
	v_cmp_lt_f32_e32 vcc_lo, v1, v6
	v_cndmask_b32_e32 v6, v1, v6, vcc_lo
; %bb.323:
	s_or_b32 exec_lo, exec_lo, s1
	v_mov_b32_e32 v1, v6
.LBB50_324:
	s_or_b32 exec_lo, exec_lo, s0
.LBB50_325:
	s_or_b32 exec_lo, exec_lo, s6
	s_mov_b32 s0, 0
.LBB50_326:
	s_and_b32 vcc_lo, exec_lo, s0
	s_cbranch_vccz .LBB50_364
; %bb.327:
	s_waitcnt vmcnt(0)
	v_mov_b32_dpp v1, v4 quad_perm:[1,0,3,2] row_mask:0xf bank_mask:0xf
	s_mov_b32 s0, exec_lo
	v_cmpx_o_f32_e32 v1, v1
	s_cbranch_execz .LBB50_331
; %bb.328:
	s_mov_b32 s1, exec_lo
	v_cmpx_o_f32_e32 v4, v4
; %bb.329:
	v_cmp_gt_f32_e32 vcc_lo, v4, v1
	v_cndmask_b32_e32 v4, v1, v4, vcc_lo
; %bb.330:
	s_or_b32 exec_lo, exec_lo, s1
	v_mov_b32_e32 v1, v4
.LBB50_331:
	s_or_b32 exec_lo, exec_lo, s0
	v_mov_b32_dpp v4, v1 quad_perm:[2,3,0,1] row_mask:0xf bank_mask:0xf
	s_mov_b32 s0, exec_lo
	v_cmpx_o_f32_e32 v4, v4
	s_cbranch_execz .LBB50_335
; %bb.332:
	s_mov_b32 s1, exec_lo
	v_cmpx_o_f32_e32 v1, v1
; %bb.333:
	v_cmp_gt_f32_e32 vcc_lo, v1, v4
	v_cndmask_b32_e32 v1, v4, v1, vcc_lo
; %bb.334:
	s_or_b32 exec_lo, exec_lo, s1
	v_mov_b32_e32 v4, v1
.LBB50_335:
	s_or_b32 exec_lo, exec_lo, s0
	v_mov_b32_dpp v1, v4 row_ror:4 row_mask:0xf bank_mask:0xf
	s_mov_b32 s0, exec_lo
	v_cmpx_o_f32_e32 v1, v1
	s_cbranch_execz .LBB50_339
; %bb.336:
	s_mov_b32 s1, exec_lo
	v_cmpx_o_f32_e32 v4, v4
; %bb.337:
	v_cmp_gt_f32_e32 vcc_lo, v4, v1
	v_cndmask_b32_e32 v4, v1, v4, vcc_lo
; %bb.338:
	s_or_b32 exec_lo, exec_lo, s1
	v_mov_b32_e32 v1, v4
.LBB50_339:
	s_or_b32 exec_lo, exec_lo, s0
	v_mov_b32_dpp v4, v1 row_ror:8 row_mask:0xf bank_mask:0xf
	s_mov_b32 s0, exec_lo
	v_cmpx_o_f32_e32 v4, v4
	s_cbranch_execz .LBB50_343
; %bb.340:
	s_mov_b32 s1, exec_lo
	v_cmpx_o_f32_e32 v1, v1
; %bb.341:
	v_cmp_gt_f32_e32 vcc_lo, v1, v4
	v_cndmask_b32_e32 v1, v4, v1, vcc_lo
; %bb.342:
	s_or_b32 exec_lo, exec_lo, s1
	v_mov_b32_e32 v4, v1
.LBB50_343:
	s_or_b32 exec_lo, exec_lo, s0
	ds_swizzle_b32 v1, v4 offset:swizzle(BROADCAST,32,15)
	s_mov_b32 s0, exec_lo
	s_waitcnt lgkmcnt(0)
	v_cmpx_o_f32_e32 v1, v1
	s_cbranch_execz .LBB50_347
; %bb.344:
	s_mov_b32 s1, exec_lo
	v_cmpx_o_f32_e32 v4, v4
; %bb.345:
	v_cmp_gt_f32_e32 vcc_lo, v4, v1
	v_cndmask_b32_e32 v4, v1, v4, vcc_lo
; %bb.346:
	s_or_b32 exec_lo, exec_lo, s1
	v_mov_b32_e32 v1, v4
.LBB50_347:
	s_or_b32 exec_lo, exec_lo, s0
	v_mov_b32_e32 v4, 0
	s_mov_b32 s0, exec_lo
	ds_bpermute_b32 v1, v4, v1 offset:124
	v_cmpx_eq_u32_e32 0, v2
	s_cbranch_execz .LBB50_349
; %bb.348:
	v_lshlrev_b32_e32 v3, 2, v3
	s_waitcnt lgkmcnt(0)
	ds_write_b32 v3, v1
.LBB50_349:
	s_or_b32 exec_lo, exec_lo, s0
	s_mov_b32 s0, exec_lo
	s_waitcnt lgkmcnt(0)
	s_barrier
	buffer_gl0_inv
	v_cmpx_gt_u32_e32 32, v0
	s_cbranch_execz .LBB50_363
; %bb.350:
	v_and_b32_e32 v3, 7, v2
	s_mov_b32 s1, exec_lo
	v_lshlrev_b32_e32 v1, 2, v3
	v_cmp_ne_u32_e32 vcc_lo, 7, v3
	ds_read_b32 v1, v1
	v_add_co_ci_u32_e64 v4, null, 0, v2, vcc_lo
	v_lshlrev_b32_e32 v4, 2, v4
	s_waitcnt lgkmcnt(0)
	ds_bpermute_b32 v4, v4, v1
	v_cmpx_o_f32_e32 v1, v1
	s_cbranch_execz .LBB50_354
; %bb.351:
	s_mov_b32 s6, exec_lo
	s_waitcnt lgkmcnt(0)
	v_cmpx_o_f32_e32 v4, v4
; %bb.352:
	v_cmp_lt_f32_e32 vcc_lo, v1, v4
	v_cndmask_b32_e32 v4, v1, v4, vcc_lo
; %bb.353:
	s_or_b32 exec_lo, exec_lo, s6
	v_mov_b32_e32 v1, v4
.LBB50_354:
	s_or_b32 exec_lo, exec_lo, s1
	v_cmp_gt_u32_e32 vcc_lo, 6, v3
	s_mov_b32 s1, exec_lo
	v_cndmask_b32_e64 v3, 0, 2, vcc_lo
	v_add_lshl_u32 v3, v3, v2, 2
	v_lshlrev_b32_e32 v2, 2, v2
	ds_bpermute_b32 v3, v3, v1
	v_cmpx_o_f32_e32 v1, v1
	s_cbranch_execz .LBB50_358
; %bb.355:
	s_mov_b32 s6, exec_lo
	s_waitcnt lgkmcnt(0)
	v_cmpx_o_f32_e32 v3, v3
; %bb.356:
	v_cmp_lt_f32_e32 vcc_lo, v1, v3
	v_cndmask_b32_e32 v3, v1, v3, vcc_lo
; %bb.357:
	s_or_b32 exec_lo, exec_lo, s6
	v_mov_b32_e32 v1, v3
.LBB50_358:
	s_or_b32 exec_lo, exec_lo, s1
	v_or_b32_e32 v2, 16, v2
	s_mov_b32 s1, exec_lo
	ds_bpermute_b32 v2, v2, v1
	v_cmpx_o_f32_e32 v1, v1
	s_cbranch_execz .LBB50_362
; %bb.359:
	s_mov_b32 s6, exec_lo
	s_waitcnt lgkmcnt(0)
	v_cmpx_o_f32_e32 v2, v2
; %bb.360:
	v_cmp_lt_f32_e32 vcc_lo, v1, v2
	v_cndmask_b32_e32 v2, v1, v2, vcc_lo
; %bb.361:
	s_or_b32 exec_lo, exec_lo, s6
	v_mov_b32_e32 v1, v2
.LBB50_362:
	s_or_b32 exec_lo, exec_lo, s1
.LBB50_363:
	s_or_b32 exec_lo, exec_lo, s0
.LBB50_364:
	s_mov_b32 s0, exec_lo
                                        ; implicit-def: $vgpr2
	v_cmpx_eq_u32_e32 0, v0
	s_cbranch_execz .LBB50_370
; %bb.365:
	v_cmp_u_f32_e64 s1, s16, s16
	s_waitcnt lgkmcnt(0)
	v_mov_b32_e32 v2, s16
	s_and_b32 vcc_lo, exec_lo, s1
	s_cbranch_vccnz .LBB50_369
; %bb.366:
	s_mov_b32 s1, exec_lo
	v_cmpx_o_f32_e32 v1, v1
; %bb.367:
	v_cmp_lt_f32_e32 vcc_lo, s16, v1
	v_cndmask_b32_e32 v1, s16, v1, vcc_lo
; %bb.368:
	s_or_b32 exec_lo, exec_lo, s1
	v_mov_b32_e32 v2, v1
.LBB50_369:
	s_or_b32 s7, s7, exec_lo
.LBB50_370:
	s_or_b32 exec_lo, exec_lo, s0
	s_and_saveexec_b32 s0, s7
	s_cbranch_execz .LBB50_372
.LBB50_371:
	s_add_u32 s0, s10, s2
	v_mov_b32_e32 v0, 0
	s_addc_u32 s1, s11, s3
	s_add_u32 s0, s0, s4
	s_addc_u32 s1, s1, s5
	s_waitcnt lgkmcnt(0)
	global_store_dword v0, v2, s[0:1]
.LBB50_372:
	s_endpgm
	.section	.rodata,"a",@progbits
	.p2align	6, 0x0
	.amdhsa_kernel _ZN7rocprim17ROCPRIM_400000_NS6detail17trampoline_kernelINS0_14default_configENS1_32segmented_reduce_config_selectorIfEEZNS1_21segmented_reduce_implIS3_PKfPfPKifN6hipcub16HIPCUB_304000_NS6detail27convert_result_type_wrapperIS8_S9_N2at6native12_GLOBAL__N_19CustomMaxEEEEE10hipError_tPvRmT0_T1_jT2_SQ_T4_T3_P12ihipStream_tbEUlT_E_NS1_11comp_targetILNS1_3genE8ELNS1_11target_archE1030ELNS1_3gpuE2ELNS1_3repE0EEENS1_30default_config_static_selectorELNS0_4arch9wavefront6targetE0EEEvSP_
		.amdhsa_group_segment_fixed_size 32
		.amdhsa_private_segment_fixed_size 0
		.amdhsa_kernarg_size 48
		.amdhsa_user_sgpr_count 6
		.amdhsa_user_sgpr_private_segment_buffer 1
		.amdhsa_user_sgpr_dispatch_ptr 0
		.amdhsa_user_sgpr_queue_ptr 0
		.amdhsa_user_sgpr_kernarg_segment_ptr 1
		.amdhsa_user_sgpr_dispatch_id 0
		.amdhsa_user_sgpr_flat_scratch_init 0
		.amdhsa_user_sgpr_private_segment_size 0
		.amdhsa_wavefront_size32 1
		.amdhsa_uses_dynamic_stack 0
		.amdhsa_system_sgpr_private_segment_wavefront_offset 0
		.amdhsa_system_sgpr_workgroup_id_x 1
		.amdhsa_system_sgpr_workgroup_id_y 0
		.amdhsa_system_sgpr_workgroup_id_z 0
		.amdhsa_system_sgpr_workgroup_info 0
		.amdhsa_system_vgpr_workitem_id 0
		.amdhsa_next_free_vgpr 33
		.amdhsa_next_free_sgpr 17
		.amdhsa_reserve_vcc 1
		.amdhsa_reserve_flat_scratch 0
		.amdhsa_float_round_mode_32 0
		.amdhsa_float_round_mode_16_64 0
		.amdhsa_float_denorm_mode_32 3
		.amdhsa_float_denorm_mode_16_64 3
		.amdhsa_dx10_clamp 1
		.amdhsa_ieee_mode 1
		.amdhsa_fp16_overflow 0
		.amdhsa_workgroup_processor_mode 1
		.amdhsa_memory_ordered 1
		.amdhsa_forward_progress 1
		.amdhsa_shared_vgpr_count 0
		.amdhsa_exception_fp_ieee_invalid_op 0
		.amdhsa_exception_fp_denorm_src 0
		.amdhsa_exception_fp_ieee_div_zero 0
		.amdhsa_exception_fp_ieee_overflow 0
		.amdhsa_exception_fp_ieee_underflow 0
		.amdhsa_exception_fp_ieee_inexact 0
		.amdhsa_exception_int_div_zero 0
	.end_amdhsa_kernel
	.section	.text._ZN7rocprim17ROCPRIM_400000_NS6detail17trampoline_kernelINS0_14default_configENS1_32segmented_reduce_config_selectorIfEEZNS1_21segmented_reduce_implIS3_PKfPfPKifN6hipcub16HIPCUB_304000_NS6detail27convert_result_type_wrapperIS8_S9_N2at6native12_GLOBAL__N_19CustomMaxEEEEE10hipError_tPvRmT0_T1_jT2_SQ_T4_T3_P12ihipStream_tbEUlT_E_NS1_11comp_targetILNS1_3genE8ELNS1_11target_archE1030ELNS1_3gpuE2ELNS1_3repE0EEENS1_30default_config_static_selectorELNS0_4arch9wavefront6targetE0EEEvSP_,"axG",@progbits,_ZN7rocprim17ROCPRIM_400000_NS6detail17trampoline_kernelINS0_14default_configENS1_32segmented_reduce_config_selectorIfEEZNS1_21segmented_reduce_implIS3_PKfPfPKifN6hipcub16HIPCUB_304000_NS6detail27convert_result_type_wrapperIS8_S9_N2at6native12_GLOBAL__N_19CustomMaxEEEEE10hipError_tPvRmT0_T1_jT2_SQ_T4_T3_P12ihipStream_tbEUlT_E_NS1_11comp_targetILNS1_3genE8ELNS1_11target_archE1030ELNS1_3gpuE2ELNS1_3repE0EEENS1_30default_config_static_selectorELNS0_4arch9wavefront6targetE0EEEvSP_,comdat
.Lfunc_end50:
	.size	_ZN7rocprim17ROCPRIM_400000_NS6detail17trampoline_kernelINS0_14default_configENS1_32segmented_reduce_config_selectorIfEEZNS1_21segmented_reduce_implIS3_PKfPfPKifN6hipcub16HIPCUB_304000_NS6detail27convert_result_type_wrapperIS8_S9_N2at6native12_GLOBAL__N_19CustomMaxEEEEE10hipError_tPvRmT0_T1_jT2_SQ_T4_T3_P12ihipStream_tbEUlT_E_NS1_11comp_targetILNS1_3genE8ELNS1_11target_archE1030ELNS1_3gpuE2ELNS1_3repE0EEENS1_30default_config_static_selectorELNS0_4arch9wavefront6targetE0EEEvSP_, .Lfunc_end50-_ZN7rocprim17ROCPRIM_400000_NS6detail17trampoline_kernelINS0_14default_configENS1_32segmented_reduce_config_selectorIfEEZNS1_21segmented_reduce_implIS3_PKfPfPKifN6hipcub16HIPCUB_304000_NS6detail27convert_result_type_wrapperIS8_S9_N2at6native12_GLOBAL__N_19CustomMaxEEEEE10hipError_tPvRmT0_T1_jT2_SQ_T4_T3_P12ihipStream_tbEUlT_E_NS1_11comp_targetILNS1_3genE8ELNS1_11target_archE1030ELNS1_3gpuE2ELNS1_3repE0EEENS1_30default_config_static_selectorELNS0_4arch9wavefront6targetE0EEEvSP_
                                        ; -- End function
	.set _ZN7rocprim17ROCPRIM_400000_NS6detail17trampoline_kernelINS0_14default_configENS1_32segmented_reduce_config_selectorIfEEZNS1_21segmented_reduce_implIS3_PKfPfPKifN6hipcub16HIPCUB_304000_NS6detail27convert_result_type_wrapperIS8_S9_N2at6native12_GLOBAL__N_19CustomMaxEEEEE10hipError_tPvRmT0_T1_jT2_SQ_T4_T3_P12ihipStream_tbEUlT_E_NS1_11comp_targetILNS1_3genE8ELNS1_11target_archE1030ELNS1_3gpuE2ELNS1_3repE0EEENS1_30default_config_static_selectorELNS0_4arch9wavefront6targetE0EEEvSP_.num_vgpr, 33
	.set _ZN7rocprim17ROCPRIM_400000_NS6detail17trampoline_kernelINS0_14default_configENS1_32segmented_reduce_config_selectorIfEEZNS1_21segmented_reduce_implIS3_PKfPfPKifN6hipcub16HIPCUB_304000_NS6detail27convert_result_type_wrapperIS8_S9_N2at6native12_GLOBAL__N_19CustomMaxEEEEE10hipError_tPvRmT0_T1_jT2_SQ_T4_T3_P12ihipStream_tbEUlT_E_NS1_11comp_targetILNS1_3genE8ELNS1_11target_archE1030ELNS1_3gpuE2ELNS1_3repE0EEENS1_30default_config_static_selectorELNS0_4arch9wavefront6targetE0EEEvSP_.num_agpr, 0
	.set _ZN7rocprim17ROCPRIM_400000_NS6detail17trampoline_kernelINS0_14default_configENS1_32segmented_reduce_config_selectorIfEEZNS1_21segmented_reduce_implIS3_PKfPfPKifN6hipcub16HIPCUB_304000_NS6detail27convert_result_type_wrapperIS8_S9_N2at6native12_GLOBAL__N_19CustomMaxEEEEE10hipError_tPvRmT0_T1_jT2_SQ_T4_T3_P12ihipStream_tbEUlT_E_NS1_11comp_targetILNS1_3genE8ELNS1_11target_archE1030ELNS1_3gpuE2ELNS1_3repE0EEENS1_30default_config_static_selectorELNS0_4arch9wavefront6targetE0EEEvSP_.numbered_sgpr, 17
	.set _ZN7rocprim17ROCPRIM_400000_NS6detail17trampoline_kernelINS0_14default_configENS1_32segmented_reduce_config_selectorIfEEZNS1_21segmented_reduce_implIS3_PKfPfPKifN6hipcub16HIPCUB_304000_NS6detail27convert_result_type_wrapperIS8_S9_N2at6native12_GLOBAL__N_19CustomMaxEEEEE10hipError_tPvRmT0_T1_jT2_SQ_T4_T3_P12ihipStream_tbEUlT_E_NS1_11comp_targetILNS1_3genE8ELNS1_11target_archE1030ELNS1_3gpuE2ELNS1_3repE0EEENS1_30default_config_static_selectorELNS0_4arch9wavefront6targetE0EEEvSP_.num_named_barrier, 0
	.set _ZN7rocprim17ROCPRIM_400000_NS6detail17trampoline_kernelINS0_14default_configENS1_32segmented_reduce_config_selectorIfEEZNS1_21segmented_reduce_implIS3_PKfPfPKifN6hipcub16HIPCUB_304000_NS6detail27convert_result_type_wrapperIS8_S9_N2at6native12_GLOBAL__N_19CustomMaxEEEEE10hipError_tPvRmT0_T1_jT2_SQ_T4_T3_P12ihipStream_tbEUlT_E_NS1_11comp_targetILNS1_3genE8ELNS1_11target_archE1030ELNS1_3gpuE2ELNS1_3repE0EEENS1_30default_config_static_selectorELNS0_4arch9wavefront6targetE0EEEvSP_.private_seg_size, 0
	.set _ZN7rocprim17ROCPRIM_400000_NS6detail17trampoline_kernelINS0_14default_configENS1_32segmented_reduce_config_selectorIfEEZNS1_21segmented_reduce_implIS3_PKfPfPKifN6hipcub16HIPCUB_304000_NS6detail27convert_result_type_wrapperIS8_S9_N2at6native12_GLOBAL__N_19CustomMaxEEEEE10hipError_tPvRmT0_T1_jT2_SQ_T4_T3_P12ihipStream_tbEUlT_E_NS1_11comp_targetILNS1_3genE8ELNS1_11target_archE1030ELNS1_3gpuE2ELNS1_3repE0EEENS1_30default_config_static_selectorELNS0_4arch9wavefront6targetE0EEEvSP_.uses_vcc, 1
	.set _ZN7rocprim17ROCPRIM_400000_NS6detail17trampoline_kernelINS0_14default_configENS1_32segmented_reduce_config_selectorIfEEZNS1_21segmented_reduce_implIS3_PKfPfPKifN6hipcub16HIPCUB_304000_NS6detail27convert_result_type_wrapperIS8_S9_N2at6native12_GLOBAL__N_19CustomMaxEEEEE10hipError_tPvRmT0_T1_jT2_SQ_T4_T3_P12ihipStream_tbEUlT_E_NS1_11comp_targetILNS1_3genE8ELNS1_11target_archE1030ELNS1_3gpuE2ELNS1_3repE0EEENS1_30default_config_static_selectorELNS0_4arch9wavefront6targetE0EEEvSP_.uses_flat_scratch, 0
	.set _ZN7rocprim17ROCPRIM_400000_NS6detail17trampoline_kernelINS0_14default_configENS1_32segmented_reduce_config_selectorIfEEZNS1_21segmented_reduce_implIS3_PKfPfPKifN6hipcub16HIPCUB_304000_NS6detail27convert_result_type_wrapperIS8_S9_N2at6native12_GLOBAL__N_19CustomMaxEEEEE10hipError_tPvRmT0_T1_jT2_SQ_T4_T3_P12ihipStream_tbEUlT_E_NS1_11comp_targetILNS1_3genE8ELNS1_11target_archE1030ELNS1_3gpuE2ELNS1_3repE0EEENS1_30default_config_static_selectorELNS0_4arch9wavefront6targetE0EEEvSP_.has_dyn_sized_stack, 0
	.set _ZN7rocprim17ROCPRIM_400000_NS6detail17trampoline_kernelINS0_14default_configENS1_32segmented_reduce_config_selectorIfEEZNS1_21segmented_reduce_implIS3_PKfPfPKifN6hipcub16HIPCUB_304000_NS6detail27convert_result_type_wrapperIS8_S9_N2at6native12_GLOBAL__N_19CustomMaxEEEEE10hipError_tPvRmT0_T1_jT2_SQ_T4_T3_P12ihipStream_tbEUlT_E_NS1_11comp_targetILNS1_3genE8ELNS1_11target_archE1030ELNS1_3gpuE2ELNS1_3repE0EEENS1_30default_config_static_selectorELNS0_4arch9wavefront6targetE0EEEvSP_.has_recursion, 0
	.set _ZN7rocprim17ROCPRIM_400000_NS6detail17trampoline_kernelINS0_14default_configENS1_32segmented_reduce_config_selectorIfEEZNS1_21segmented_reduce_implIS3_PKfPfPKifN6hipcub16HIPCUB_304000_NS6detail27convert_result_type_wrapperIS8_S9_N2at6native12_GLOBAL__N_19CustomMaxEEEEE10hipError_tPvRmT0_T1_jT2_SQ_T4_T3_P12ihipStream_tbEUlT_E_NS1_11comp_targetILNS1_3genE8ELNS1_11target_archE1030ELNS1_3gpuE2ELNS1_3repE0EEENS1_30default_config_static_selectorELNS0_4arch9wavefront6targetE0EEEvSP_.has_indirect_call, 0
	.section	.AMDGPU.csdata,"",@progbits
; Kernel info:
; codeLenInByte = 6408
; TotalNumSgprs: 19
; NumVgprs: 33
; ScratchSize: 0
; MemoryBound: 0
; FloatMode: 240
; IeeeMode: 1
; LDSByteSize: 32 bytes/workgroup (compile time only)
; SGPRBlocks: 0
; VGPRBlocks: 4
; NumSGPRsForWavesPerEU: 19
; NumVGPRsForWavesPerEU: 33
; Occupancy: 16
; WaveLimiterHint : 1
; COMPUTE_PGM_RSRC2:SCRATCH_EN: 0
; COMPUTE_PGM_RSRC2:USER_SGPR: 6
; COMPUTE_PGM_RSRC2:TRAP_HANDLER: 0
; COMPUTE_PGM_RSRC2:TGID_X_EN: 1
; COMPUTE_PGM_RSRC2:TGID_Y_EN: 0
; COMPUTE_PGM_RSRC2:TGID_Z_EN: 0
; COMPUTE_PGM_RSRC2:TIDIG_COMP_CNT: 0
	.section	.text._ZN7rocprim17ROCPRIM_400000_NS6detail17trampoline_kernelINS0_14default_configENS1_32segmented_reduce_config_selectorIfEEZNS1_21segmented_reduce_implIS3_PKfPfPKifN6hipcub16HIPCUB_304000_NS6detail27convert_result_type_wrapperIS8_S9_N2at6native12_GLOBAL__N_19CustomSumEEEEE10hipError_tPvRmT0_T1_jT2_SQ_T4_T3_P12ihipStream_tbEUlT_E_NS1_11comp_targetILNS1_3genE0ELNS1_11target_archE4294967295ELNS1_3gpuE0ELNS1_3repE0EEENS1_30default_config_static_selectorELNS0_4arch9wavefront6targetE0EEEvSP_,"axG",@progbits,_ZN7rocprim17ROCPRIM_400000_NS6detail17trampoline_kernelINS0_14default_configENS1_32segmented_reduce_config_selectorIfEEZNS1_21segmented_reduce_implIS3_PKfPfPKifN6hipcub16HIPCUB_304000_NS6detail27convert_result_type_wrapperIS8_S9_N2at6native12_GLOBAL__N_19CustomSumEEEEE10hipError_tPvRmT0_T1_jT2_SQ_T4_T3_P12ihipStream_tbEUlT_E_NS1_11comp_targetILNS1_3genE0ELNS1_11target_archE4294967295ELNS1_3gpuE0ELNS1_3repE0EEENS1_30default_config_static_selectorELNS0_4arch9wavefront6targetE0EEEvSP_,comdat
	.globl	_ZN7rocprim17ROCPRIM_400000_NS6detail17trampoline_kernelINS0_14default_configENS1_32segmented_reduce_config_selectorIfEEZNS1_21segmented_reduce_implIS3_PKfPfPKifN6hipcub16HIPCUB_304000_NS6detail27convert_result_type_wrapperIS8_S9_N2at6native12_GLOBAL__N_19CustomSumEEEEE10hipError_tPvRmT0_T1_jT2_SQ_T4_T3_P12ihipStream_tbEUlT_E_NS1_11comp_targetILNS1_3genE0ELNS1_11target_archE4294967295ELNS1_3gpuE0ELNS1_3repE0EEENS1_30default_config_static_selectorELNS0_4arch9wavefront6targetE0EEEvSP_ ; -- Begin function _ZN7rocprim17ROCPRIM_400000_NS6detail17trampoline_kernelINS0_14default_configENS1_32segmented_reduce_config_selectorIfEEZNS1_21segmented_reduce_implIS3_PKfPfPKifN6hipcub16HIPCUB_304000_NS6detail27convert_result_type_wrapperIS8_S9_N2at6native12_GLOBAL__N_19CustomSumEEEEE10hipError_tPvRmT0_T1_jT2_SQ_T4_T3_P12ihipStream_tbEUlT_E_NS1_11comp_targetILNS1_3genE0ELNS1_11target_archE4294967295ELNS1_3gpuE0ELNS1_3repE0EEENS1_30default_config_static_selectorELNS0_4arch9wavefront6targetE0EEEvSP_
	.p2align	8
	.type	_ZN7rocprim17ROCPRIM_400000_NS6detail17trampoline_kernelINS0_14default_configENS1_32segmented_reduce_config_selectorIfEEZNS1_21segmented_reduce_implIS3_PKfPfPKifN6hipcub16HIPCUB_304000_NS6detail27convert_result_type_wrapperIS8_S9_N2at6native12_GLOBAL__N_19CustomSumEEEEE10hipError_tPvRmT0_T1_jT2_SQ_T4_T3_P12ihipStream_tbEUlT_E_NS1_11comp_targetILNS1_3genE0ELNS1_11target_archE4294967295ELNS1_3gpuE0ELNS1_3repE0EEENS1_30default_config_static_selectorELNS0_4arch9wavefront6targetE0EEEvSP_,@function
_ZN7rocprim17ROCPRIM_400000_NS6detail17trampoline_kernelINS0_14default_configENS1_32segmented_reduce_config_selectorIfEEZNS1_21segmented_reduce_implIS3_PKfPfPKifN6hipcub16HIPCUB_304000_NS6detail27convert_result_type_wrapperIS8_S9_N2at6native12_GLOBAL__N_19CustomSumEEEEE10hipError_tPvRmT0_T1_jT2_SQ_T4_T3_P12ihipStream_tbEUlT_E_NS1_11comp_targetILNS1_3genE0ELNS1_11target_archE4294967295ELNS1_3gpuE0ELNS1_3repE0EEENS1_30default_config_static_selectorELNS0_4arch9wavefront6targetE0EEEvSP_: ; @_ZN7rocprim17ROCPRIM_400000_NS6detail17trampoline_kernelINS0_14default_configENS1_32segmented_reduce_config_selectorIfEEZNS1_21segmented_reduce_implIS3_PKfPfPKifN6hipcub16HIPCUB_304000_NS6detail27convert_result_type_wrapperIS8_S9_N2at6native12_GLOBAL__N_19CustomSumEEEEE10hipError_tPvRmT0_T1_jT2_SQ_T4_T3_P12ihipStream_tbEUlT_E_NS1_11comp_targetILNS1_3genE0ELNS1_11target_archE4294967295ELNS1_3gpuE0ELNS1_3repE0EEENS1_30default_config_static_selectorELNS0_4arch9wavefront6targetE0EEEvSP_
; %bb.0:
	.section	.rodata,"a",@progbits
	.p2align	6, 0x0
	.amdhsa_kernel _ZN7rocprim17ROCPRIM_400000_NS6detail17trampoline_kernelINS0_14default_configENS1_32segmented_reduce_config_selectorIfEEZNS1_21segmented_reduce_implIS3_PKfPfPKifN6hipcub16HIPCUB_304000_NS6detail27convert_result_type_wrapperIS8_S9_N2at6native12_GLOBAL__N_19CustomSumEEEEE10hipError_tPvRmT0_T1_jT2_SQ_T4_T3_P12ihipStream_tbEUlT_E_NS1_11comp_targetILNS1_3genE0ELNS1_11target_archE4294967295ELNS1_3gpuE0ELNS1_3repE0EEENS1_30default_config_static_selectorELNS0_4arch9wavefront6targetE0EEEvSP_
		.amdhsa_group_segment_fixed_size 0
		.amdhsa_private_segment_fixed_size 0
		.amdhsa_kernarg_size 48
		.amdhsa_user_sgpr_count 6
		.amdhsa_user_sgpr_private_segment_buffer 1
		.amdhsa_user_sgpr_dispatch_ptr 0
		.amdhsa_user_sgpr_queue_ptr 0
		.amdhsa_user_sgpr_kernarg_segment_ptr 1
		.amdhsa_user_sgpr_dispatch_id 0
		.amdhsa_user_sgpr_flat_scratch_init 0
		.amdhsa_user_sgpr_private_segment_size 0
		.amdhsa_wavefront_size32 1
		.amdhsa_uses_dynamic_stack 0
		.amdhsa_system_sgpr_private_segment_wavefront_offset 0
		.amdhsa_system_sgpr_workgroup_id_x 1
		.amdhsa_system_sgpr_workgroup_id_y 0
		.amdhsa_system_sgpr_workgroup_id_z 0
		.amdhsa_system_sgpr_workgroup_info 0
		.amdhsa_system_vgpr_workitem_id 0
		.amdhsa_next_free_vgpr 1
		.amdhsa_next_free_sgpr 1
		.amdhsa_reserve_vcc 0
		.amdhsa_reserve_flat_scratch 0
		.amdhsa_float_round_mode_32 0
		.amdhsa_float_round_mode_16_64 0
		.amdhsa_float_denorm_mode_32 3
		.amdhsa_float_denorm_mode_16_64 3
		.amdhsa_dx10_clamp 1
		.amdhsa_ieee_mode 1
		.amdhsa_fp16_overflow 0
		.amdhsa_workgroup_processor_mode 1
		.amdhsa_memory_ordered 1
		.amdhsa_forward_progress 1
		.amdhsa_shared_vgpr_count 0
		.amdhsa_exception_fp_ieee_invalid_op 0
		.amdhsa_exception_fp_denorm_src 0
		.amdhsa_exception_fp_ieee_div_zero 0
		.amdhsa_exception_fp_ieee_overflow 0
		.amdhsa_exception_fp_ieee_underflow 0
		.amdhsa_exception_fp_ieee_inexact 0
		.amdhsa_exception_int_div_zero 0
	.end_amdhsa_kernel
	.section	.text._ZN7rocprim17ROCPRIM_400000_NS6detail17trampoline_kernelINS0_14default_configENS1_32segmented_reduce_config_selectorIfEEZNS1_21segmented_reduce_implIS3_PKfPfPKifN6hipcub16HIPCUB_304000_NS6detail27convert_result_type_wrapperIS8_S9_N2at6native12_GLOBAL__N_19CustomSumEEEEE10hipError_tPvRmT0_T1_jT2_SQ_T4_T3_P12ihipStream_tbEUlT_E_NS1_11comp_targetILNS1_3genE0ELNS1_11target_archE4294967295ELNS1_3gpuE0ELNS1_3repE0EEENS1_30default_config_static_selectorELNS0_4arch9wavefront6targetE0EEEvSP_,"axG",@progbits,_ZN7rocprim17ROCPRIM_400000_NS6detail17trampoline_kernelINS0_14default_configENS1_32segmented_reduce_config_selectorIfEEZNS1_21segmented_reduce_implIS3_PKfPfPKifN6hipcub16HIPCUB_304000_NS6detail27convert_result_type_wrapperIS8_S9_N2at6native12_GLOBAL__N_19CustomSumEEEEE10hipError_tPvRmT0_T1_jT2_SQ_T4_T3_P12ihipStream_tbEUlT_E_NS1_11comp_targetILNS1_3genE0ELNS1_11target_archE4294967295ELNS1_3gpuE0ELNS1_3repE0EEENS1_30default_config_static_selectorELNS0_4arch9wavefront6targetE0EEEvSP_,comdat
.Lfunc_end51:
	.size	_ZN7rocprim17ROCPRIM_400000_NS6detail17trampoline_kernelINS0_14default_configENS1_32segmented_reduce_config_selectorIfEEZNS1_21segmented_reduce_implIS3_PKfPfPKifN6hipcub16HIPCUB_304000_NS6detail27convert_result_type_wrapperIS8_S9_N2at6native12_GLOBAL__N_19CustomSumEEEEE10hipError_tPvRmT0_T1_jT2_SQ_T4_T3_P12ihipStream_tbEUlT_E_NS1_11comp_targetILNS1_3genE0ELNS1_11target_archE4294967295ELNS1_3gpuE0ELNS1_3repE0EEENS1_30default_config_static_selectorELNS0_4arch9wavefront6targetE0EEEvSP_, .Lfunc_end51-_ZN7rocprim17ROCPRIM_400000_NS6detail17trampoline_kernelINS0_14default_configENS1_32segmented_reduce_config_selectorIfEEZNS1_21segmented_reduce_implIS3_PKfPfPKifN6hipcub16HIPCUB_304000_NS6detail27convert_result_type_wrapperIS8_S9_N2at6native12_GLOBAL__N_19CustomSumEEEEE10hipError_tPvRmT0_T1_jT2_SQ_T4_T3_P12ihipStream_tbEUlT_E_NS1_11comp_targetILNS1_3genE0ELNS1_11target_archE4294967295ELNS1_3gpuE0ELNS1_3repE0EEENS1_30default_config_static_selectorELNS0_4arch9wavefront6targetE0EEEvSP_
                                        ; -- End function
	.set _ZN7rocprim17ROCPRIM_400000_NS6detail17trampoline_kernelINS0_14default_configENS1_32segmented_reduce_config_selectorIfEEZNS1_21segmented_reduce_implIS3_PKfPfPKifN6hipcub16HIPCUB_304000_NS6detail27convert_result_type_wrapperIS8_S9_N2at6native12_GLOBAL__N_19CustomSumEEEEE10hipError_tPvRmT0_T1_jT2_SQ_T4_T3_P12ihipStream_tbEUlT_E_NS1_11comp_targetILNS1_3genE0ELNS1_11target_archE4294967295ELNS1_3gpuE0ELNS1_3repE0EEENS1_30default_config_static_selectorELNS0_4arch9wavefront6targetE0EEEvSP_.num_vgpr, 0
	.set _ZN7rocprim17ROCPRIM_400000_NS6detail17trampoline_kernelINS0_14default_configENS1_32segmented_reduce_config_selectorIfEEZNS1_21segmented_reduce_implIS3_PKfPfPKifN6hipcub16HIPCUB_304000_NS6detail27convert_result_type_wrapperIS8_S9_N2at6native12_GLOBAL__N_19CustomSumEEEEE10hipError_tPvRmT0_T1_jT2_SQ_T4_T3_P12ihipStream_tbEUlT_E_NS1_11comp_targetILNS1_3genE0ELNS1_11target_archE4294967295ELNS1_3gpuE0ELNS1_3repE0EEENS1_30default_config_static_selectorELNS0_4arch9wavefront6targetE0EEEvSP_.num_agpr, 0
	.set _ZN7rocprim17ROCPRIM_400000_NS6detail17trampoline_kernelINS0_14default_configENS1_32segmented_reduce_config_selectorIfEEZNS1_21segmented_reduce_implIS3_PKfPfPKifN6hipcub16HIPCUB_304000_NS6detail27convert_result_type_wrapperIS8_S9_N2at6native12_GLOBAL__N_19CustomSumEEEEE10hipError_tPvRmT0_T1_jT2_SQ_T4_T3_P12ihipStream_tbEUlT_E_NS1_11comp_targetILNS1_3genE0ELNS1_11target_archE4294967295ELNS1_3gpuE0ELNS1_3repE0EEENS1_30default_config_static_selectorELNS0_4arch9wavefront6targetE0EEEvSP_.numbered_sgpr, 0
	.set _ZN7rocprim17ROCPRIM_400000_NS6detail17trampoline_kernelINS0_14default_configENS1_32segmented_reduce_config_selectorIfEEZNS1_21segmented_reduce_implIS3_PKfPfPKifN6hipcub16HIPCUB_304000_NS6detail27convert_result_type_wrapperIS8_S9_N2at6native12_GLOBAL__N_19CustomSumEEEEE10hipError_tPvRmT0_T1_jT2_SQ_T4_T3_P12ihipStream_tbEUlT_E_NS1_11comp_targetILNS1_3genE0ELNS1_11target_archE4294967295ELNS1_3gpuE0ELNS1_3repE0EEENS1_30default_config_static_selectorELNS0_4arch9wavefront6targetE0EEEvSP_.num_named_barrier, 0
	.set _ZN7rocprim17ROCPRIM_400000_NS6detail17trampoline_kernelINS0_14default_configENS1_32segmented_reduce_config_selectorIfEEZNS1_21segmented_reduce_implIS3_PKfPfPKifN6hipcub16HIPCUB_304000_NS6detail27convert_result_type_wrapperIS8_S9_N2at6native12_GLOBAL__N_19CustomSumEEEEE10hipError_tPvRmT0_T1_jT2_SQ_T4_T3_P12ihipStream_tbEUlT_E_NS1_11comp_targetILNS1_3genE0ELNS1_11target_archE4294967295ELNS1_3gpuE0ELNS1_3repE0EEENS1_30default_config_static_selectorELNS0_4arch9wavefront6targetE0EEEvSP_.private_seg_size, 0
	.set _ZN7rocprim17ROCPRIM_400000_NS6detail17trampoline_kernelINS0_14default_configENS1_32segmented_reduce_config_selectorIfEEZNS1_21segmented_reduce_implIS3_PKfPfPKifN6hipcub16HIPCUB_304000_NS6detail27convert_result_type_wrapperIS8_S9_N2at6native12_GLOBAL__N_19CustomSumEEEEE10hipError_tPvRmT0_T1_jT2_SQ_T4_T3_P12ihipStream_tbEUlT_E_NS1_11comp_targetILNS1_3genE0ELNS1_11target_archE4294967295ELNS1_3gpuE0ELNS1_3repE0EEENS1_30default_config_static_selectorELNS0_4arch9wavefront6targetE0EEEvSP_.uses_vcc, 0
	.set _ZN7rocprim17ROCPRIM_400000_NS6detail17trampoline_kernelINS0_14default_configENS1_32segmented_reduce_config_selectorIfEEZNS1_21segmented_reduce_implIS3_PKfPfPKifN6hipcub16HIPCUB_304000_NS6detail27convert_result_type_wrapperIS8_S9_N2at6native12_GLOBAL__N_19CustomSumEEEEE10hipError_tPvRmT0_T1_jT2_SQ_T4_T3_P12ihipStream_tbEUlT_E_NS1_11comp_targetILNS1_3genE0ELNS1_11target_archE4294967295ELNS1_3gpuE0ELNS1_3repE0EEENS1_30default_config_static_selectorELNS0_4arch9wavefront6targetE0EEEvSP_.uses_flat_scratch, 0
	.set _ZN7rocprim17ROCPRIM_400000_NS6detail17trampoline_kernelINS0_14default_configENS1_32segmented_reduce_config_selectorIfEEZNS1_21segmented_reduce_implIS3_PKfPfPKifN6hipcub16HIPCUB_304000_NS6detail27convert_result_type_wrapperIS8_S9_N2at6native12_GLOBAL__N_19CustomSumEEEEE10hipError_tPvRmT0_T1_jT2_SQ_T4_T3_P12ihipStream_tbEUlT_E_NS1_11comp_targetILNS1_3genE0ELNS1_11target_archE4294967295ELNS1_3gpuE0ELNS1_3repE0EEENS1_30default_config_static_selectorELNS0_4arch9wavefront6targetE0EEEvSP_.has_dyn_sized_stack, 0
	.set _ZN7rocprim17ROCPRIM_400000_NS6detail17trampoline_kernelINS0_14default_configENS1_32segmented_reduce_config_selectorIfEEZNS1_21segmented_reduce_implIS3_PKfPfPKifN6hipcub16HIPCUB_304000_NS6detail27convert_result_type_wrapperIS8_S9_N2at6native12_GLOBAL__N_19CustomSumEEEEE10hipError_tPvRmT0_T1_jT2_SQ_T4_T3_P12ihipStream_tbEUlT_E_NS1_11comp_targetILNS1_3genE0ELNS1_11target_archE4294967295ELNS1_3gpuE0ELNS1_3repE0EEENS1_30default_config_static_selectorELNS0_4arch9wavefront6targetE0EEEvSP_.has_recursion, 0
	.set _ZN7rocprim17ROCPRIM_400000_NS6detail17trampoline_kernelINS0_14default_configENS1_32segmented_reduce_config_selectorIfEEZNS1_21segmented_reduce_implIS3_PKfPfPKifN6hipcub16HIPCUB_304000_NS6detail27convert_result_type_wrapperIS8_S9_N2at6native12_GLOBAL__N_19CustomSumEEEEE10hipError_tPvRmT0_T1_jT2_SQ_T4_T3_P12ihipStream_tbEUlT_E_NS1_11comp_targetILNS1_3genE0ELNS1_11target_archE4294967295ELNS1_3gpuE0ELNS1_3repE0EEENS1_30default_config_static_selectorELNS0_4arch9wavefront6targetE0EEEvSP_.has_indirect_call, 0
	.section	.AMDGPU.csdata,"",@progbits
; Kernel info:
; codeLenInByte = 0
; TotalNumSgprs: 0
; NumVgprs: 0
; ScratchSize: 0
; MemoryBound: 0
; FloatMode: 240
; IeeeMode: 1
; LDSByteSize: 0 bytes/workgroup (compile time only)
; SGPRBlocks: 0
; VGPRBlocks: 0
; NumSGPRsForWavesPerEU: 1
; NumVGPRsForWavesPerEU: 1
; Occupancy: 16
; WaveLimiterHint : 0
; COMPUTE_PGM_RSRC2:SCRATCH_EN: 0
; COMPUTE_PGM_RSRC2:USER_SGPR: 6
; COMPUTE_PGM_RSRC2:TRAP_HANDLER: 0
; COMPUTE_PGM_RSRC2:TGID_X_EN: 1
; COMPUTE_PGM_RSRC2:TGID_Y_EN: 0
; COMPUTE_PGM_RSRC2:TGID_Z_EN: 0
; COMPUTE_PGM_RSRC2:TIDIG_COMP_CNT: 0
	.section	.text._ZN7rocprim17ROCPRIM_400000_NS6detail17trampoline_kernelINS0_14default_configENS1_32segmented_reduce_config_selectorIfEEZNS1_21segmented_reduce_implIS3_PKfPfPKifN6hipcub16HIPCUB_304000_NS6detail27convert_result_type_wrapperIS8_S9_N2at6native12_GLOBAL__N_19CustomSumEEEEE10hipError_tPvRmT0_T1_jT2_SQ_T4_T3_P12ihipStream_tbEUlT_E_NS1_11comp_targetILNS1_3genE5ELNS1_11target_archE942ELNS1_3gpuE9ELNS1_3repE0EEENS1_30default_config_static_selectorELNS0_4arch9wavefront6targetE0EEEvSP_,"axG",@progbits,_ZN7rocprim17ROCPRIM_400000_NS6detail17trampoline_kernelINS0_14default_configENS1_32segmented_reduce_config_selectorIfEEZNS1_21segmented_reduce_implIS3_PKfPfPKifN6hipcub16HIPCUB_304000_NS6detail27convert_result_type_wrapperIS8_S9_N2at6native12_GLOBAL__N_19CustomSumEEEEE10hipError_tPvRmT0_T1_jT2_SQ_T4_T3_P12ihipStream_tbEUlT_E_NS1_11comp_targetILNS1_3genE5ELNS1_11target_archE942ELNS1_3gpuE9ELNS1_3repE0EEENS1_30default_config_static_selectorELNS0_4arch9wavefront6targetE0EEEvSP_,comdat
	.globl	_ZN7rocprim17ROCPRIM_400000_NS6detail17trampoline_kernelINS0_14default_configENS1_32segmented_reduce_config_selectorIfEEZNS1_21segmented_reduce_implIS3_PKfPfPKifN6hipcub16HIPCUB_304000_NS6detail27convert_result_type_wrapperIS8_S9_N2at6native12_GLOBAL__N_19CustomSumEEEEE10hipError_tPvRmT0_T1_jT2_SQ_T4_T3_P12ihipStream_tbEUlT_E_NS1_11comp_targetILNS1_3genE5ELNS1_11target_archE942ELNS1_3gpuE9ELNS1_3repE0EEENS1_30default_config_static_selectorELNS0_4arch9wavefront6targetE0EEEvSP_ ; -- Begin function _ZN7rocprim17ROCPRIM_400000_NS6detail17trampoline_kernelINS0_14default_configENS1_32segmented_reduce_config_selectorIfEEZNS1_21segmented_reduce_implIS3_PKfPfPKifN6hipcub16HIPCUB_304000_NS6detail27convert_result_type_wrapperIS8_S9_N2at6native12_GLOBAL__N_19CustomSumEEEEE10hipError_tPvRmT0_T1_jT2_SQ_T4_T3_P12ihipStream_tbEUlT_E_NS1_11comp_targetILNS1_3genE5ELNS1_11target_archE942ELNS1_3gpuE9ELNS1_3repE0EEENS1_30default_config_static_selectorELNS0_4arch9wavefront6targetE0EEEvSP_
	.p2align	8
	.type	_ZN7rocprim17ROCPRIM_400000_NS6detail17trampoline_kernelINS0_14default_configENS1_32segmented_reduce_config_selectorIfEEZNS1_21segmented_reduce_implIS3_PKfPfPKifN6hipcub16HIPCUB_304000_NS6detail27convert_result_type_wrapperIS8_S9_N2at6native12_GLOBAL__N_19CustomSumEEEEE10hipError_tPvRmT0_T1_jT2_SQ_T4_T3_P12ihipStream_tbEUlT_E_NS1_11comp_targetILNS1_3genE5ELNS1_11target_archE942ELNS1_3gpuE9ELNS1_3repE0EEENS1_30default_config_static_selectorELNS0_4arch9wavefront6targetE0EEEvSP_,@function
_ZN7rocprim17ROCPRIM_400000_NS6detail17trampoline_kernelINS0_14default_configENS1_32segmented_reduce_config_selectorIfEEZNS1_21segmented_reduce_implIS3_PKfPfPKifN6hipcub16HIPCUB_304000_NS6detail27convert_result_type_wrapperIS8_S9_N2at6native12_GLOBAL__N_19CustomSumEEEEE10hipError_tPvRmT0_T1_jT2_SQ_T4_T3_P12ihipStream_tbEUlT_E_NS1_11comp_targetILNS1_3genE5ELNS1_11target_archE942ELNS1_3gpuE9ELNS1_3repE0EEENS1_30default_config_static_selectorELNS0_4arch9wavefront6targetE0EEEvSP_: ; @_ZN7rocprim17ROCPRIM_400000_NS6detail17trampoline_kernelINS0_14default_configENS1_32segmented_reduce_config_selectorIfEEZNS1_21segmented_reduce_implIS3_PKfPfPKifN6hipcub16HIPCUB_304000_NS6detail27convert_result_type_wrapperIS8_S9_N2at6native12_GLOBAL__N_19CustomSumEEEEE10hipError_tPvRmT0_T1_jT2_SQ_T4_T3_P12ihipStream_tbEUlT_E_NS1_11comp_targetILNS1_3genE5ELNS1_11target_archE942ELNS1_3gpuE9ELNS1_3repE0EEENS1_30default_config_static_selectorELNS0_4arch9wavefront6targetE0EEEvSP_
; %bb.0:
	.section	.rodata,"a",@progbits
	.p2align	6, 0x0
	.amdhsa_kernel _ZN7rocprim17ROCPRIM_400000_NS6detail17trampoline_kernelINS0_14default_configENS1_32segmented_reduce_config_selectorIfEEZNS1_21segmented_reduce_implIS3_PKfPfPKifN6hipcub16HIPCUB_304000_NS6detail27convert_result_type_wrapperIS8_S9_N2at6native12_GLOBAL__N_19CustomSumEEEEE10hipError_tPvRmT0_T1_jT2_SQ_T4_T3_P12ihipStream_tbEUlT_E_NS1_11comp_targetILNS1_3genE5ELNS1_11target_archE942ELNS1_3gpuE9ELNS1_3repE0EEENS1_30default_config_static_selectorELNS0_4arch9wavefront6targetE0EEEvSP_
		.amdhsa_group_segment_fixed_size 0
		.amdhsa_private_segment_fixed_size 0
		.amdhsa_kernarg_size 48
		.amdhsa_user_sgpr_count 6
		.amdhsa_user_sgpr_private_segment_buffer 1
		.amdhsa_user_sgpr_dispatch_ptr 0
		.amdhsa_user_sgpr_queue_ptr 0
		.amdhsa_user_sgpr_kernarg_segment_ptr 1
		.amdhsa_user_sgpr_dispatch_id 0
		.amdhsa_user_sgpr_flat_scratch_init 0
		.amdhsa_user_sgpr_private_segment_size 0
		.amdhsa_wavefront_size32 1
		.amdhsa_uses_dynamic_stack 0
		.amdhsa_system_sgpr_private_segment_wavefront_offset 0
		.amdhsa_system_sgpr_workgroup_id_x 1
		.amdhsa_system_sgpr_workgroup_id_y 0
		.amdhsa_system_sgpr_workgroup_id_z 0
		.amdhsa_system_sgpr_workgroup_info 0
		.amdhsa_system_vgpr_workitem_id 0
		.amdhsa_next_free_vgpr 1
		.amdhsa_next_free_sgpr 1
		.amdhsa_reserve_vcc 0
		.amdhsa_reserve_flat_scratch 0
		.amdhsa_float_round_mode_32 0
		.amdhsa_float_round_mode_16_64 0
		.amdhsa_float_denorm_mode_32 3
		.amdhsa_float_denorm_mode_16_64 3
		.amdhsa_dx10_clamp 1
		.amdhsa_ieee_mode 1
		.amdhsa_fp16_overflow 0
		.amdhsa_workgroup_processor_mode 1
		.amdhsa_memory_ordered 1
		.amdhsa_forward_progress 1
		.amdhsa_shared_vgpr_count 0
		.amdhsa_exception_fp_ieee_invalid_op 0
		.amdhsa_exception_fp_denorm_src 0
		.amdhsa_exception_fp_ieee_div_zero 0
		.amdhsa_exception_fp_ieee_overflow 0
		.amdhsa_exception_fp_ieee_underflow 0
		.amdhsa_exception_fp_ieee_inexact 0
		.amdhsa_exception_int_div_zero 0
	.end_amdhsa_kernel
	.section	.text._ZN7rocprim17ROCPRIM_400000_NS6detail17trampoline_kernelINS0_14default_configENS1_32segmented_reduce_config_selectorIfEEZNS1_21segmented_reduce_implIS3_PKfPfPKifN6hipcub16HIPCUB_304000_NS6detail27convert_result_type_wrapperIS8_S9_N2at6native12_GLOBAL__N_19CustomSumEEEEE10hipError_tPvRmT0_T1_jT2_SQ_T4_T3_P12ihipStream_tbEUlT_E_NS1_11comp_targetILNS1_3genE5ELNS1_11target_archE942ELNS1_3gpuE9ELNS1_3repE0EEENS1_30default_config_static_selectorELNS0_4arch9wavefront6targetE0EEEvSP_,"axG",@progbits,_ZN7rocprim17ROCPRIM_400000_NS6detail17trampoline_kernelINS0_14default_configENS1_32segmented_reduce_config_selectorIfEEZNS1_21segmented_reduce_implIS3_PKfPfPKifN6hipcub16HIPCUB_304000_NS6detail27convert_result_type_wrapperIS8_S9_N2at6native12_GLOBAL__N_19CustomSumEEEEE10hipError_tPvRmT0_T1_jT2_SQ_T4_T3_P12ihipStream_tbEUlT_E_NS1_11comp_targetILNS1_3genE5ELNS1_11target_archE942ELNS1_3gpuE9ELNS1_3repE0EEENS1_30default_config_static_selectorELNS0_4arch9wavefront6targetE0EEEvSP_,comdat
.Lfunc_end52:
	.size	_ZN7rocprim17ROCPRIM_400000_NS6detail17trampoline_kernelINS0_14default_configENS1_32segmented_reduce_config_selectorIfEEZNS1_21segmented_reduce_implIS3_PKfPfPKifN6hipcub16HIPCUB_304000_NS6detail27convert_result_type_wrapperIS8_S9_N2at6native12_GLOBAL__N_19CustomSumEEEEE10hipError_tPvRmT0_T1_jT2_SQ_T4_T3_P12ihipStream_tbEUlT_E_NS1_11comp_targetILNS1_3genE5ELNS1_11target_archE942ELNS1_3gpuE9ELNS1_3repE0EEENS1_30default_config_static_selectorELNS0_4arch9wavefront6targetE0EEEvSP_, .Lfunc_end52-_ZN7rocprim17ROCPRIM_400000_NS6detail17trampoline_kernelINS0_14default_configENS1_32segmented_reduce_config_selectorIfEEZNS1_21segmented_reduce_implIS3_PKfPfPKifN6hipcub16HIPCUB_304000_NS6detail27convert_result_type_wrapperIS8_S9_N2at6native12_GLOBAL__N_19CustomSumEEEEE10hipError_tPvRmT0_T1_jT2_SQ_T4_T3_P12ihipStream_tbEUlT_E_NS1_11comp_targetILNS1_3genE5ELNS1_11target_archE942ELNS1_3gpuE9ELNS1_3repE0EEENS1_30default_config_static_selectorELNS0_4arch9wavefront6targetE0EEEvSP_
                                        ; -- End function
	.set _ZN7rocprim17ROCPRIM_400000_NS6detail17trampoline_kernelINS0_14default_configENS1_32segmented_reduce_config_selectorIfEEZNS1_21segmented_reduce_implIS3_PKfPfPKifN6hipcub16HIPCUB_304000_NS6detail27convert_result_type_wrapperIS8_S9_N2at6native12_GLOBAL__N_19CustomSumEEEEE10hipError_tPvRmT0_T1_jT2_SQ_T4_T3_P12ihipStream_tbEUlT_E_NS1_11comp_targetILNS1_3genE5ELNS1_11target_archE942ELNS1_3gpuE9ELNS1_3repE0EEENS1_30default_config_static_selectorELNS0_4arch9wavefront6targetE0EEEvSP_.num_vgpr, 0
	.set _ZN7rocprim17ROCPRIM_400000_NS6detail17trampoline_kernelINS0_14default_configENS1_32segmented_reduce_config_selectorIfEEZNS1_21segmented_reduce_implIS3_PKfPfPKifN6hipcub16HIPCUB_304000_NS6detail27convert_result_type_wrapperIS8_S9_N2at6native12_GLOBAL__N_19CustomSumEEEEE10hipError_tPvRmT0_T1_jT2_SQ_T4_T3_P12ihipStream_tbEUlT_E_NS1_11comp_targetILNS1_3genE5ELNS1_11target_archE942ELNS1_3gpuE9ELNS1_3repE0EEENS1_30default_config_static_selectorELNS0_4arch9wavefront6targetE0EEEvSP_.num_agpr, 0
	.set _ZN7rocprim17ROCPRIM_400000_NS6detail17trampoline_kernelINS0_14default_configENS1_32segmented_reduce_config_selectorIfEEZNS1_21segmented_reduce_implIS3_PKfPfPKifN6hipcub16HIPCUB_304000_NS6detail27convert_result_type_wrapperIS8_S9_N2at6native12_GLOBAL__N_19CustomSumEEEEE10hipError_tPvRmT0_T1_jT2_SQ_T4_T3_P12ihipStream_tbEUlT_E_NS1_11comp_targetILNS1_3genE5ELNS1_11target_archE942ELNS1_3gpuE9ELNS1_3repE0EEENS1_30default_config_static_selectorELNS0_4arch9wavefront6targetE0EEEvSP_.numbered_sgpr, 0
	.set _ZN7rocprim17ROCPRIM_400000_NS6detail17trampoline_kernelINS0_14default_configENS1_32segmented_reduce_config_selectorIfEEZNS1_21segmented_reduce_implIS3_PKfPfPKifN6hipcub16HIPCUB_304000_NS6detail27convert_result_type_wrapperIS8_S9_N2at6native12_GLOBAL__N_19CustomSumEEEEE10hipError_tPvRmT0_T1_jT2_SQ_T4_T3_P12ihipStream_tbEUlT_E_NS1_11comp_targetILNS1_3genE5ELNS1_11target_archE942ELNS1_3gpuE9ELNS1_3repE0EEENS1_30default_config_static_selectorELNS0_4arch9wavefront6targetE0EEEvSP_.num_named_barrier, 0
	.set _ZN7rocprim17ROCPRIM_400000_NS6detail17trampoline_kernelINS0_14default_configENS1_32segmented_reduce_config_selectorIfEEZNS1_21segmented_reduce_implIS3_PKfPfPKifN6hipcub16HIPCUB_304000_NS6detail27convert_result_type_wrapperIS8_S9_N2at6native12_GLOBAL__N_19CustomSumEEEEE10hipError_tPvRmT0_T1_jT2_SQ_T4_T3_P12ihipStream_tbEUlT_E_NS1_11comp_targetILNS1_3genE5ELNS1_11target_archE942ELNS1_3gpuE9ELNS1_3repE0EEENS1_30default_config_static_selectorELNS0_4arch9wavefront6targetE0EEEvSP_.private_seg_size, 0
	.set _ZN7rocprim17ROCPRIM_400000_NS6detail17trampoline_kernelINS0_14default_configENS1_32segmented_reduce_config_selectorIfEEZNS1_21segmented_reduce_implIS3_PKfPfPKifN6hipcub16HIPCUB_304000_NS6detail27convert_result_type_wrapperIS8_S9_N2at6native12_GLOBAL__N_19CustomSumEEEEE10hipError_tPvRmT0_T1_jT2_SQ_T4_T3_P12ihipStream_tbEUlT_E_NS1_11comp_targetILNS1_3genE5ELNS1_11target_archE942ELNS1_3gpuE9ELNS1_3repE0EEENS1_30default_config_static_selectorELNS0_4arch9wavefront6targetE0EEEvSP_.uses_vcc, 0
	.set _ZN7rocprim17ROCPRIM_400000_NS6detail17trampoline_kernelINS0_14default_configENS1_32segmented_reduce_config_selectorIfEEZNS1_21segmented_reduce_implIS3_PKfPfPKifN6hipcub16HIPCUB_304000_NS6detail27convert_result_type_wrapperIS8_S9_N2at6native12_GLOBAL__N_19CustomSumEEEEE10hipError_tPvRmT0_T1_jT2_SQ_T4_T3_P12ihipStream_tbEUlT_E_NS1_11comp_targetILNS1_3genE5ELNS1_11target_archE942ELNS1_3gpuE9ELNS1_3repE0EEENS1_30default_config_static_selectorELNS0_4arch9wavefront6targetE0EEEvSP_.uses_flat_scratch, 0
	.set _ZN7rocprim17ROCPRIM_400000_NS6detail17trampoline_kernelINS0_14default_configENS1_32segmented_reduce_config_selectorIfEEZNS1_21segmented_reduce_implIS3_PKfPfPKifN6hipcub16HIPCUB_304000_NS6detail27convert_result_type_wrapperIS8_S9_N2at6native12_GLOBAL__N_19CustomSumEEEEE10hipError_tPvRmT0_T1_jT2_SQ_T4_T3_P12ihipStream_tbEUlT_E_NS1_11comp_targetILNS1_3genE5ELNS1_11target_archE942ELNS1_3gpuE9ELNS1_3repE0EEENS1_30default_config_static_selectorELNS0_4arch9wavefront6targetE0EEEvSP_.has_dyn_sized_stack, 0
	.set _ZN7rocprim17ROCPRIM_400000_NS6detail17trampoline_kernelINS0_14default_configENS1_32segmented_reduce_config_selectorIfEEZNS1_21segmented_reduce_implIS3_PKfPfPKifN6hipcub16HIPCUB_304000_NS6detail27convert_result_type_wrapperIS8_S9_N2at6native12_GLOBAL__N_19CustomSumEEEEE10hipError_tPvRmT0_T1_jT2_SQ_T4_T3_P12ihipStream_tbEUlT_E_NS1_11comp_targetILNS1_3genE5ELNS1_11target_archE942ELNS1_3gpuE9ELNS1_3repE0EEENS1_30default_config_static_selectorELNS0_4arch9wavefront6targetE0EEEvSP_.has_recursion, 0
	.set _ZN7rocprim17ROCPRIM_400000_NS6detail17trampoline_kernelINS0_14default_configENS1_32segmented_reduce_config_selectorIfEEZNS1_21segmented_reduce_implIS3_PKfPfPKifN6hipcub16HIPCUB_304000_NS6detail27convert_result_type_wrapperIS8_S9_N2at6native12_GLOBAL__N_19CustomSumEEEEE10hipError_tPvRmT0_T1_jT2_SQ_T4_T3_P12ihipStream_tbEUlT_E_NS1_11comp_targetILNS1_3genE5ELNS1_11target_archE942ELNS1_3gpuE9ELNS1_3repE0EEENS1_30default_config_static_selectorELNS0_4arch9wavefront6targetE0EEEvSP_.has_indirect_call, 0
	.section	.AMDGPU.csdata,"",@progbits
; Kernel info:
; codeLenInByte = 0
; TotalNumSgprs: 0
; NumVgprs: 0
; ScratchSize: 0
; MemoryBound: 0
; FloatMode: 240
; IeeeMode: 1
; LDSByteSize: 0 bytes/workgroup (compile time only)
; SGPRBlocks: 0
; VGPRBlocks: 0
; NumSGPRsForWavesPerEU: 1
; NumVGPRsForWavesPerEU: 1
; Occupancy: 16
; WaveLimiterHint : 0
; COMPUTE_PGM_RSRC2:SCRATCH_EN: 0
; COMPUTE_PGM_RSRC2:USER_SGPR: 6
; COMPUTE_PGM_RSRC2:TRAP_HANDLER: 0
; COMPUTE_PGM_RSRC2:TGID_X_EN: 1
; COMPUTE_PGM_RSRC2:TGID_Y_EN: 0
; COMPUTE_PGM_RSRC2:TGID_Z_EN: 0
; COMPUTE_PGM_RSRC2:TIDIG_COMP_CNT: 0
	.section	.text._ZN7rocprim17ROCPRIM_400000_NS6detail17trampoline_kernelINS0_14default_configENS1_32segmented_reduce_config_selectorIfEEZNS1_21segmented_reduce_implIS3_PKfPfPKifN6hipcub16HIPCUB_304000_NS6detail27convert_result_type_wrapperIS8_S9_N2at6native12_GLOBAL__N_19CustomSumEEEEE10hipError_tPvRmT0_T1_jT2_SQ_T4_T3_P12ihipStream_tbEUlT_E_NS1_11comp_targetILNS1_3genE10ELNS1_11target_archE1201ELNS1_3gpuE5ELNS1_3repE0EEENS1_30default_config_static_selectorELNS0_4arch9wavefront6targetE0EEEvSP_,"axG",@progbits,_ZN7rocprim17ROCPRIM_400000_NS6detail17trampoline_kernelINS0_14default_configENS1_32segmented_reduce_config_selectorIfEEZNS1_21segmented_reduce_implIS3_PKfPfPKifN6hipcub16HIPCUB_304000_NS6detail27convert_result_type_wrapperIS8_S9_N2at6native12_GLOBAL__N_19CustomSumEEEEE10hipError_tPvRmT0_T1_jT2_SQ_T4_T3_P12ihipStream_tbEUlT_E_NS1_11comp_targetILNS1_3genE10ELNS1_11target_archE1201ELNS1_3gpuE5ELNS1_3repE0EEENS1_30default_config_static_selectorELNS0_4arch9wavefront6targetE0EEEvSP_,comdat
	.globl	_ZN7rocprim17ROCPRIM_400000_NS6detail17trampoline_kernelINS0_14default_configENS1_32segmented_reduce_config_selectorIfEEZNS1_21segmented_reduce_implIS3_PKfPfPKifN6hipcub16HIPCUB_304000_NS6detail27convert_result_type_wrapperIS8_S9_N2at6native12_GLOBAL__N_19CustomSumEEEEE10hipError_tPvRmT0_T1_jT2_SQ_T4_T3_P12ihipStream_tbEUlT_E_NS1_11comp_targetILNS1_3genE10ELNS1_11target_archE1201ELNS1_3gpuE5ELNS1_3repE0EEENS1_30default_config_static_selectorELNS0_4arch9wavefront6targetE0EEEvSP_ ; -- Begin function _ZN7rocprim17ROCPRIM_400000_NS6detail17trampoline_kernelINS0_14default_configENS1_32segmented_reduce_config_selectorIfEEZNS1_21segmented_reduce_implIS3_PKfPfPKifN6hipcub16HIPCUB_304000_NS6detail27convert_result_type_wrapperIS8_S9_N2at6native12_GLOBAL__N_19CustomSumEEEEE10hipError_tPvRmT0_T1_jT2_SQ_T4_T3_P12ihipStream_tbEUlT_E_NS1_11comp_targetILNS1_3genE10ELNS1_11target_archE1201ELNS1_3gpuE5ELNS1_3repE0EEENS1_30default_config_static_selectorELNS0_4arch9wavefront6targetE0EEEvSP_
	.p2align	8
	.type	_ZN7rocprim17ROCPRIM_400000_NS6detail17trampoline_kernelINS0_14default_configENS1_32segmented_reduce_config_selectorIfEEZNS1_21segmented_reduce_implIS3_PKfPfPKifN6hipcub16HIPCUB_304000_NS6detail27convert_result_type_wrapperIS8_S9_N2at6native12_GLOBAL__N_19CustomSumEEEEE10hipError_tPvRmT0_T1_jT2_SQ_T4_T3_P12ihipStream_tbEUlT_E_NS1_11comp_targetILNS1_3genE10ELNS1_11target_archE1201ELNS1_3gpuE5ELNS1_3repE0EEENS1_30default_config_static_selectorELNS0_4arch9wavefront6targetE0EEEvSP_,@function
_ZN7rocprim17ROCPRIM_400000_NS6detail17trampoline_kernelINS0_14default_configENS1_32segmented_reduce_config_selectorIfEEZNS1_21segmented_reduce_implIS3_PKfPfPKifN6hipcub16HIPCUB_304000_NS6detail27convert_result_type_wrapperIS8_S9_N2at6native12_GLOBAL__N_19CustomSumEEEEE10hipError_tPvRmT0_T1_jT2_SQ_T4_T3_P12ihipStream_tbEUlT_E_NS1_11comp_targetILNS1_3genE10ELNS1_11target_archE1201ELNS1_3gpuE5ELNS1_3repE0EEENS1_30default_config_static_selectorELNS0_4arch9wavefront6targetE0EEEvSP_: ; @_ZN7rocprim17ROCPRIM_400000_NS6detail17trampoline_kernelINS0_14default_configENS1_32segmented_reduce_config_selectorIfEEZNS1_21segmented_reduce_implIS3_PKfPfPKifN6hipcub16HIPCUB_304000_NS6detail27convert_result_type_wrapperIS8_S9_N2at6native12_GLOBAL__N_19CustomSumEEEEE10hipError_tPvRmT0_T1_jT2_SQ_T4_T3_P12ihipStream_tbEUlT_E_NS1_11comp_targetILNS1_3genE10ELNS1_11target_archE1201ELNS1_3gpuE5ELNS1_3repE0EEENS1_30default_config_static_selectorELNS0_4arch9wavefront6targetE0EEEvSP_
; %bb.0:
	.section	.rodata,"a",@progbits
	.p2align	6, 0x0
	.amdhsa_kernel _ZN7rocprim17ROCPRIM_400000_NS6detail17trampoline_kernelINS0_14default_configENS1_32segmented_reduce_config_selectorIfEEZNS1_21segmented_reduce_implIS3_PKfPfPKifN6hipcub16HIPCUB_304000_NS6detail27convert_result_type_wrapperIS8_S9_N2at6native12_GLOBAL__N_19CustomSumEEEEE10hipError_tPvRmT0_T1_jT2_SQ_T4_T3_P12ihipStream_tbEUlT_E_NS1_11comp_targetILNS1_3genE10ELNS1_11target_archE1201ELNS1_3gpuE5ELNS1_3repE0EEENS1_30default_config_static_selectorELNS0_4arch9wavefront6targetE0EEEvSP_
		.amdhsa_group_segment_fixed_size 0
		.amdhsa_private_segment_fixed_size 0
		.amdhsa_kernarg_size 48
		.amdhsa_user_sgpr_count 6
		.amdhsa_user_sgpr_private_segment_buffer 1
		.amdhsa_user_sgpr_dispatch_ptr 0
		.amdhsa_user_sgpr_queue_ptr 0
		.amdhsa_user_sgpr_kernarg_segment_ptr 1
		.amdhsa_user_sgpr_dispatch_id 0
		.amdhsa_user_sgpr_flat_scratch_init 0
		.amdhsa_user_sgpr_private_segment_size 0
		.amdhsa_wavefront_size32 1
		.amdhsa_uses_dynamic_stack 0
		.amdhsa_system_sgpr_private_segment_wavefront_offset 0
		.amdhsa_system_sgpr_workgroup_id_x 1
		.amdhsa_system_sgpr_workgroup_id_y 0
		.amdhsa_system_sgpr_workgroup_id_z 0
		.amdhsa_system_sgpr_workgroup_info 0
		.amdhsa_system_vgpr_workitem_id 0
		.amdhsa_next_free_vgpr 1
		.amdhsa_next_free_sgpr 1
		.amdhsa_reserve_vcc 0
		.amdhsa_reserve_flat_scratch 0
		.amdhsa_float_round_mode_32 0
		.amdhsa_float_round_mode_16_64 0
		.amdhsa_float_denorm_mode_32 3
		.amdhsa_float_denorm_mode_16_64 3
		.amdhsa_dx10_clamp 1
		.amdhsa_ieee_mode 1
		.amdhsa_fp16_overflow 0
		.amdhsa_workgroup_processor_mode 1
		.amdhsa_memory_ordered 1
		.amdhsa_forward_progress 1
		.amdhsa_shared_vgpr_count 0
		.amdhsa_exception_fp_ieee_invalid_op 0
		.amdhsa_exception_fp_denorm_src 0
		.amdhsa_exception_fp_ieee_div_zero 0
		.amdhsa_exception_fp_ieee_overflow 0
		.amdhsa_exception_fp_ieee_underflow 0
		.amdhsa_exception_fp_ieee_inexact 0
		.amdhsa_exception_int_div_zero 0
	.end_amdhsa_kernel
	.section	.text._ZN7rocprim17ROCPRIM_400000_NS6detail17trampoline_kernelINS0_14default_configENS1_32segmented_reduce_config_selectorIfEEZNS1_21segmented_reduce_implIS3_PKfPfPKifN6hipcub16HIPCUB_304000_NS6detail27convert_result_type_wrapperIS8_S9_N2at6native12_GLOBAL__N_19CustomSumEEEEE10hipError_tPvRmT0_T1_jT2_SQ_T4_T3_P12ihipStream_tbEUlT_E_NS1_11comp_targetILNS1_3genE10ELNS1_11target_archE1201ELNS1_3gpuE5ELNS1_3repE0EEENS1_30default_config_static_selectorELNS0_4arch9wavefront6targetE0EEEvSP_,"axG",@progbits,_ZN7rocprim17ROCPRIM_400000_NS6detail17trampoline_kernelINS0_14default_configENS1_32segmented_reduce_config_selectorIfEEZNS1_21segmented_reduce_implIS3_PKfPfPKifN6hipcub16HIPCUB_304000_NS6detail27convert_result_type_wrapperIS8_S9_N2at6native12_GLOBAL__N_19CustomSumEEEEE10hipError_tPvRmT0_T1_jT2_SQ_T4_T3_P12ihipStream_tbEUlT_E_NS1_11comp_targetILNS1_3genE10ELNS1_11target_archE1201ELNS1_3gpuE5ELNS1_3repE0EEENS1_30default_config_static_selectorELNS0_4arch9wavefront6targetE0EEEvSP_,comdat
.Lfunc_end53:
	.size	_ZN7rocprim17ROCPRIM_400000_NS6detail17trampoline_kernelINS0_14default_configENS1_32segmented_reduce_config_selectorIfEEZNS1_21segmented_reduce_implIS3_PKfPfPKifN6hipcub16HIPCUB_304000_NS6detail27convert_result_type_wrapperIS8_S9_N2at6native12_GLOBAL__N_19CustomSumEEEEE10hipError_tPvRmT0_T1_jT2_SQ_T4_T3_P12ihipStream_tbEUlT_E_NS1_11comp_targetILNS1_3genE10ELNS1_11target_archE1201ELNS1_3gpuE5ELNS1_3repE0EEENS1_30default_config_static_selectorELNS0_4arch9wavefront6targetE0EEEvSP_, .Lfunc_end53-_ZN7rocprim17ROCPRIM_400000_NS6detail17trampoline_kernelINS0_14default_configENS1_32segmented_reduce_config_selectorIfEEZNS1_21segmented_reduce_implIS3_PKfPfPKifN6hipcub16HIPCUB_304000_NS6detail27convert_result_type_wrapperIS8_S9_N2at6native12_GLOBAL__N_19CustomSumEEEEE10hipError_tPvRmT0_T1_jT2_SQ_T4_T3_P12ihipStream_tbEUlT_E_NS1_11comp_targetILNS1_3genE10ELNS1_11target_archE1201ELNS1_3gpuE5ELNS1_3repE0EEENS1_30default_config_static_selectorELNS0_4arch9wavefront6targetE0EEEvSP_
                                        ; -- End function
	.set _ZN7rocprim17ROCPRIM_400000_NS6detail17trampoline_kernelINS0_14default_configENS1_32segmented_reduce_config_selectorIfEEZNS1_21segmented_reduce_implIS3_PKfPfPKifN6hipcub16HIPCUB_304000_NS6detail27convert_result_type_wrapperIS8_S9_N2at6native12_GLOBAL__N_19CustomSumEEEEE10hipError_tPvRmT0_T1_jT2_SQ_T4_T3_P12ihipStream_tbEUlT_E_NS1_11comp_targetILNS1_3genE10ELNS1_11target_archE1201ELNS1_3gpuE5ELNS1_3repE0EEENS1_30default_config_static_selectorELNS0_4arch9wavefront6targetE0EEEvSP_.num_vgpr, 0
	.set _ZN7rocprim17ROCPRIM_400000_NS6detail17trampoline_kernelINS0_14default_configENS1_32segmented_reduce_config_selectorIfEEZNS1_21segmented_reduce_implIS3_PKfPfPKifN6hipcub16HIPCUB_304000_NS6detail27convert_result_type_wrapperIS8_S9_N2at6native12_GLOBAL__N_19CustomSumEEEEE10hipError_tPvRmT0_T1_jT2_SQ_T4_T3_P12ihipStream_tbEUlT_E_NS1_11comp_targetILNS1_3genE10ELNS1_11target_archE1201ELNS1_3gpuE5ELNS1_3repE0EEENS1_30default_config_static_selectorELNS0_4arch9wavefront6targetE0EEEvSP_.num_agpr, 0
	.set _ZN7rocprim17ROCPRIM_400000_NS6detail17trampoline_kernelINS0_14default_configENS1_32segmented_reduce_config_selectorIfEEZNS1_21segmented_reduce_implIS3_PKfPfPKifN6hipcub16HIPCUB_304000_NS6detail27convert_result_type_wrapperIS8_S9_N2at6native12_GLOBAL__N_19CustomSumEEEEE10hipError_tPvRmT0_T1_jT2_SQ_T4_T3_P12ihipStream_tbEUlT_E_NS1_11comp_targetILNS1_3genE10ELNS1_11target_archE1201ELNS1_3gpuE5ELNS1_3repE0EEENS1_30default_config_static_selectorELNS0_4arch9wavefront6targetE0EEEvSP_.numbered_sgpr, 0
	.set _ZN7rocprim17ROCPRIM_400000_NS6detail17trampoline_kernelINS0_14default_configENS1_32segmented_reduce_config_selectorIfEEZNS1_21segmented_reduce_implIS3_PKfPfPKifN6hipcub16HIPCUB_304000_NS6detail27convert_result_type_wrapperIS8_S9_N2at6native12_GLOBAL__N_19CustomSumEEEEE10hipError_tPvRmT0_T1_jT2_SQ_T4_T3_P12ihipStream_tbEUlT_E_NS1_11comp_targetILNS1_3genE10ELNS1_11target_archE1201ELNS1_3gpuE5ELNS1_3repE0EEENS1_30default_config_static_selectorELNS0_4arch9wavefront6targetE0EEEvSP_.num_named_barrier, 0
	.set _ZN7rocprim17ROCPRIM_400000_NS6detail17trampoline_kernelINS0_14default_configENS1_32segmented_reduce_config_selectorIfEEZNS1_21segmented_reduce_implIS3_PKfPfPKifN6hipcub16HIPCUB_304000_NS6detail27convert_result_type_wrapperIS8_S9_N2at6native12_GLOBAL__N_19CustomSumEEEEE10hipError_tPvRmT0_T1_jT2_SQ_T4_T3_P12ihipStream_tbEUlT_E_NS1_11comp_targetILNS1_3genE10ELNS1_11target_archE1201ELNS1_3gpuE5ELNS1_3repE0EEENS1_30default_config_static_selectorELNS0_4arch9wavefront6targetE0EEEvSP_.private_seg_size, 0
	.set _ZN7rocprim17ROCPRIM_400000_NS6detail17trampoline_kernelINS0_14default_configENS1_32segmented_reduce_config_selectorIfEEZNS1_21segmented_reduce_implIS3_PKfPfPKifN6hipcub16HIPCUB_304000_NS6detail27convert_result_type_wrapperIS8_S9_N2at6native12_GLOBAL__N_19CustomSumEEEEE10hipError_tPvRmT0_T1_jT2_SQ_T4_T3_P12ihipStream_tbEUlT_E_NS1_11comp_targetILNS1_3genE10ELNS1_11target_archE1201ELNS1_3gpuE5ELNS1_3repE0EEENS1_30default_config_static_selectorELNS0_4arch9wavefront6targetE0EEEvSP_.uses_vcc, 0
	.set _ZN7rocprim17ROCPRIM_400000_NS6detail17trampoline_kernelINS0_14default_configENS1_32segmented_reduce_config_selectorIfEEZNS1_21segmented_reduce_implIS3_PKfPfPKifN6hipcub16HIPCUB_304000_NS6detail27convert_result_type_wrapperIS8_S9_N2at6native12_GLOBAL__N_19CustomSumEEEEE10hipError_tPvRmT0_T1_jT2_SQ_T4_T3_P12ihipStream_tbEUlT_E_NS1_11comp_targetILNS1_3genE10ELNS1_11target_archE1201ELNS1_3gpuE5ELNS1_3repE0EEENS1_30default_config_static_selectorELNS0_4arch9wavefront6targetE0EEEvSP_.uses_flat_scratch, 0
	.set _ZN7rocprim17ROCPRIM_400000_NS6detail17trampoline_kernelINS0_14default_configENS1_32segmented_reduce_config_selectorIfEEZNS1_21segmented_reduce_implIS3_PKfPfPKifN6hipcub16HIPCUB_304000_NS6detail27convert_result_type_wrapperIS8_S9_N2at6native12_GLOBAL__N_19CustomSumEEEEE10hipError_tPvRmT0_T1_jT2_SQ_T4_T3_P12ihipStream_tbEUlT_E_NS1_11comp_targetILNS1_3genE10ELNS1_11target_archE1201ELNS1_3gpuE5ELNS1_3repE0EEENS1_30default_config_static_selectorELNS0_4arch9wavefront6targetE0EEEvSP_.has_dyn_sized_stack, 0
	.set _ZN7rocprim17ROCPRIM_400000_NS6detail17trampoline_kernelINS0_14default_configENS1_32segmented_reduce_config_selectorIfEEZNS1_21segmented_reduce_implIS3_PKfPfPKifN6hipcub16HIPCUB_304000_NS6detail27convert_result_type_wrapperIS8_S9_N2at6native12_GLOBAL__N_19CustomSumEEEEE10hipError_tPvRmT0_T1_jT2_SQ_T4_T3_P12ihipStream_tbEUlT_E_NS1_11comp_targetILNS1_3genE10ELNS1_11target_archE1201ELNS1_3gpuE5ELNS1_3repE0EEENS1_30default_config_static_selectorELNS0_4arch9wavefront6targetE0EEEvSP_.has_recursion, 0
	.set _ZN7rocprim17ROCPRIM_400000_NS6detail17trampoline_kernelINS0_14default_configENS1_32segmented_reduce_config_selectorIfEEZNS1_21segmented_reduce_implIS3_PKfPfPKifN6hipcub16HIPCUB_304000_NS6detail27convert_result_type_wrapperIS8_S9_N2at6native12_GLOBAL__N_19CustomSumEEEEE10hipError_tPvRmT0_T1_jT2_SQ_T4_T3_P12ihipStream_tbEUlT_E_NS1_11comp_targetILNS1_3genE10ELNS1_11target_archE1201ELNS1_3gpuE5ELNS1_3repE0EEENS1_30default_config_static_selectorELNS0_4arch9wavefront6targetE0EEEvSP_.has_indirect_call, 0
	.section	.AMDGPU.csdata,"",@progbits
; Kernel info:
; codeLenInByte = 0
; TotalNumSgprs: 0
; NumVgprs: 0
; ScratchSize: 0
; MemoryBound: 0
; FloatMode: 240
; IeeeMode: 1
; LDSByteSize: 0 bytes/workgroup (compile time only)
; SGPRBlocks: 0
; VGPRBlocks: 0
; NumSGPRsForWavesPerEU: 1
; NumVGPRsForWavesPerEU: 1
; Occupancy: 16
; WaveLimiterHint : 0
; COMPUTE_PGM_RSRC2:SCRATCH_EN: 0
; COMPUTE_PGM_RSRC2:USER_SGPR: 6
; COMPUTE_PGM_RSRC2:TRAP_HANDLER: 0
; COMPUTE_PGM_RSRC2:TGID_X_EN: 1
; COMPUTE_PGM_RSRC2:TGID_Y_EN: 0
; COMPUTE_PGM_RSRC2:TGID_Z_EN: 0
; COMPUTE_PGM_RSRC2:TIDIG_COMP_CNT: 0
	.section	.text._ZN7rocprim17ROCPRIM_400000_NS6detail17trampoline_kernelINS0_14default_configENS1_32segmented_reduce_config_selectorIfEEZNS1_21segmented_reduce_implIS3_PKfPfPKifN6hipcub16HIPCUB_304000_NS6detail27convert_result_type_wrapperIS8_S9_N2at6native12_GLOBAL__N_19CustomSumEEEEE10hipError_tPvRmT0_T1_jT2_SQ_T4_T3_P12ihipStream_tbEUlT_E_NS1_11comp_targetILNS1_3genE4ELNS1_11target_archE910ELNS1_3gpuE8ELNS1_3repE0EEENS1_30default_config_static_selectorELNS0_4arch9wavefront6targetE0EEEvSP_,"axG",@progbits,_ZN7rocprim17ROCPRIM_400000_NS6detail17trampoline_kernelINS0_14default_configENS1_32segmented_reduce_config_selectorIfEEZNS1_21segmented_reduce_implIS3_PKfPfPKifN6hipcub16HIPCUB_304000_NS6detail27convert_result_type_wrapperIS8_S9_N2at6native12_GLOBAL__N_19CustomSumEEEEE10hipError_tPvRmT0_T1_jT2_SQ_T4_T3_P12ihipStream_tbEUlT_E_NS1_11comp_targetILNS1_3genE4ELNS1_11target_archE910ELNS1_3gpuE8ELNS1_3repE0EEENS1_30default_config_static_selectorELNS0_4arch9wavefront6targetE0EEEvSP_,comdat
	.globl	_ZN7rocprim17ROCPRIM_400000_NS6detail17trampoline_kernelINS0_14default_configENS1_32segmented_reduce_config_selectorIfEEZNS1_21segmented_reduce_implIS3_PKfPfPKifN6hipcub16HIPCUB_304000_NS6detail27convert_result_type_wrapperIS8_S9_N2at6native12_GLOBAL__N_19CustomSumEEEEE10hipError_tPvRmT0_T1_jT2_SQ_T4_T3_P12ihipStream_tbEUlT_E_NS1_11comp_targetILNS1_3genE4ELNS1_11target_archE910ELNS1_3gpuE8ELNS1_3repE0EEENS1_30default_config_static_selectorELNS0_4arch9wavefront6targetE0EEEvSP_ ; -- Begin function _ZN7rocprim17ROCPRIM_400000_NS6detail17trampoline_kernelINS0_14default_configENS1_32segmented_reduce_config_selectorIfEEZNS1_21segmented_reduce_implIS3_PKfPfPKifN6hipcub16HIPCUB_304000_NS6detail27convert_result_type_wrapperIS8_S9_N2at6native12_GLOBAL__N_19CustomSumEEEEE10hipError_tPvRmT0_T1_jT2_SQ_T4_T3_P12ihipStream_tbEUlT_E_NS1_11comp_targetILNS1_3genE4ELNS1_11target_archE910ELNS1_3gpuE8ELNS1_3repE0EEENS1_30default_config_static_selectorELNS0_4arch9wavefront6targetE0EEEvSP_
	.p2align	8
	.type	_ZN7rocprim17ROCPRIM_400000_NS6detail17trampoline_kernelINS0_14default_configENS1_32segmented_reduce_config_selectorIfEEZNS1_21segmented_reduce_implIS3_PKfPfPKifN6hipcub16HIPCUB_304000_NS6detail27convert_result_type_wrapperIS8_S9_N2at6native12_GLOBAL__N_19CustomSumEEEEE10hipError_tPvRmT0_T1_jT2_SQ_T4_T3_P12ihipStream_tbEUlT_E_NS1_11comp_targetILNS1_3genE4ELNS1_11target_archE910ELNS1_3gpuE8ELNS1_3repE0EEENS1_30default_config_static_selectorELNS0_4arch9wavefront6targetE0EEEvSP_,@function
_ZN7rocprim17ROCPRIM_400000_NS6detail17trampoline_kernelINS0_14default_configENS1_32segmented_reduce_config_selectorIfEEZNS1_21segmented_reduce_implIS3_PKfPfPKifN6hipcub16HIPCUB_304000_NS6detail27convert_result_type_wrapperIS8_S9_N2at6native12_GLOBAL__N_19CustomSumEEEEE10hipError_tPvRmT0_T1_jT2_SQ_T4_T3_P12ihipStream_tbEUlT_E_NS1_11comp_targetILNS1_3genE4ELNS1_11target_archE910ELNS1_3gpuE8ELNS1_3repE0EEENS1_30default_config_static_selectorELNS0_4arch9wavefront6targetE0EEEvSP_: ; @_ZN7rocprim17ROCPRIM_400000_NS6detail17trampoline_kernelINS0_14default_configENS1_32segmented_reduce_config_selectorIfEEZNS1_21segmented_reduce_implIS3_PKfPfPKifN6hipcub16HIPCUB_304000_NS6detail27convert_result_type_wrapperIS8_S9_N2at6native12_GLOBAL__N_19CustomSumEEEEE10hipError_tPvRmT0_T1_jT2_SQ_T4_T3_P12ihipStream_tbEUlT_E_NS1_11comp_targetILNS1_3genE4ELNS1_11target_archE910ELNS1_3gpuE8ELNS1_3repE0EEENS1_30default_config_static_selectorELNS0_4arch9wavefront6targetE0EEEvSP_
; %bb.0:
	.section	.rodata,"a",@progbits
	.p2align	6, 0x0
	.amdhsa_kernel _ZN7rocprim17ROCPRIM_400000_NS6detail17trampoline_kernelINS0_14default_configENS1_32segmented_reduce_config_selectorIfEEZNS1_21segmented_reduce_implIS3_PKfPfPKifN6hipcub16HIPCUB_304000_NS6detail27convert_result_type_wrapperIS8_S9_N2at6native12_GLOBAL__N_19CustomSumEEEEE10hipError_tPvRmT0_T1_jT2_SQ_T4_T3_P12ihipStream_tbEUlT_E_NS1_11comp_targetILNS1_3genE4ELNS1_11target_archE910ELNS1_3gpuE8ELNS1_3repE0EEENS1_30default_config_static_selectorELNS0_4arch9wavefront6targetE0EEEvSP_
		.amdhsa_group_segment_fixed_size 0
		.amdhsa_private_segment_fixed_size 0
		.amdhsa_kernarg_size 48
		.amdhsa_user_sgpr_count 6
		.amdhsa_user_sgpr_private_segment_buffer 1
		.amdhsa_user_sgpr_dispatch_ptr 0
		.amdhsa_user_sgpr_queue_ptr 0
		.amdhsa_user_sgpr_kernarg_segment_ptr 1
		.amdhsa_user_sgpr_dispatch_id 0
		.amdhsa_user_sgpr_flat_scratch_init 0
		.amdhsa_user_sgpr_private_segment_size 0
		.amdhsa_wavefront_size32 1
		.amdhsa_uses_dynamic_stack 0
		.amdhsa_system_sgpr_private_segment_wavefront_offset 0
		.amdhsa_system_sgpr_workgroup_id_x 1
		.amdhsa_system_sgpr_workgroup_id_y 0
		.amdhsa_system_sgpr_workgroup_id_z 0
		.amdhsa_system_sgpr_workgroup_info 0
		.amdhsa_system_vgpr_workitem_id 0
		.amdhsa_next_free_vgpr 1
		.amdhsa_next_free_sgpr 1
		.amdhsa_reserve_vcc 0
		.amdhsa_reserve_flat_scratch 0
		.amdhsa_float_round_mode_32 0
		.amdhsa_float_round_mode_16_64 0
		.amdhsa_float_denorm_mode_32 3
		.amdhsa_float_denorm_mode_16_64 3
		.amdhsa_dx10_clamp 1
		.amdhsa_ieee_mode 1
		.amdhsa_fp16_overflow 0
		.amdhsa_workgroup_processor_mode 1
		.amdhsa_memory_ordered 1
		.amdhsa_forward_progress 1
		.amdhsa_shared_vgpr_count 0
		.amdhsa_exception_fp_ieee_invalid_op 0
		.amdhsa_exception_fp_denorm_src 0
		.amdhsa_exception_fp_ieee_div_zero 0
		.amdhsa_exception_fp_ieee_overflow 0
		.amdhsa_exception_fp_ieee_underflow 0
		.amdhsa_exception_fp_ieee_inexact 0
		.amdhsa_exception_int_div_zero 0
	.end_amdhsa_kernel
	.section	.text._ZN7rocprim17ROCPRIM_400000_NS6detail17trampoline_kernelINS0_14default_configENS1_32segmented_reduce_config_selectorIfEEZNS1_21segmented_reduce_implIS3_PKfPfPKifN6hipcub16HIPCUB_304000_NS6detail27convert_result_type_wrapperIS8_S9_N2at6native12_GLOBAL__N_19CustomSumEEEEE10hipError_tPvRmT0_T1_jT2_SQ_T4_T3_P12ihipStream_tbEUlT_E_NS1_11comp_targetILNS1_3genE4ELNS1_11target_archE910ELNS1_3gpuE8ELNS1_3repE0EEENS1_30default_config_static_selectorELNS0_4arch9wavefront6targetE0EEEvSP_,"axG",@progbits,_ZN7rocprim17ROCPRIM_400000_NS6detail17trampoline_kernelINS0_14default_configENS1_32segmented_reduce_config_selectorIfEEZNS1_21segmented_reduce_implIS3_PKfPfPKifN6hipcub16HIPCUB_304000_NS6detail27convert_result_type_wrapperIS8_S9_N2at6native12_GLOBAL__N_19CustomSumEEEEE10hipError_tPvRmT0_T1_jT2_SQ_T4_T3_P12ihipStream_tbEUlT_E_NS1_11comp_targetILNS1_3genE4ELNS1_11target_archE910ELNS1_3gpuE8ELNS1_3repE0EEENS1_30default_config_static_selectorELNS0_4arch9wavefront6targetE0EEEvSP_,comdat
.Lfunc_end54:
	.size	_ZN7rocprim17ROCPRIM_400000_NS6detail17trampoline_kernelINS0_14default_configENS1_32segmented_reduce_config_selectorIfEEZNS1_21segmented_reduce_implIS3_PKfPfPKifN6hipcub16HIPCUB_304000_NS6detail27convert_result_type_wrapperIS8_S9_N2at6native12_GLOBAL__N_19CustomSumEEEEE10hipError_tPvRmT0_T1_jT2_SQ_T4_T3_P12ihipStream_tbEUlT_E_NS1_11comp_targetILNS1_3genE4ELNS1_11target_archE910ELNS1_3gpuE8ELNS1_3repE0EEENS1_30default_config_static_selectorELNS0_4arch9wavefront6targetE0EEEvSP_, .Lfunc_end54-_ZN7rocprim17ROCPRIM_400000_NS6detail17trampoline_kernelINS0_14default_configENS1_32segmented_reduce_config_selectorIfEEZNS1_21segmented_reduce_implIS3_PKfPfPKifN6hipcub16HIPCUB_304000_NS6detail27convert_result_type_wrapperIS8_S9_N2at6native12_GLOBAL__N_19CustomSumEEEEE10hipError_tPvRmT0_T1_jT2_SQ_T4_T3_P12ihipStream_tbEUlT_E_NS1_11comp_targetILNS1_3genE4ELNS1_11target_archE910ELNS1_3gpuE8ELNS1_3repE0EEENS1_30default_config_static_selectorELNS0_4arch9wavefront6targetE0EEEvSP_
                                        ; -- End function
	.set _ZN7rocprim17ROCPRIM_400000_NS6detail17trampoline_kernelINS0_14default_configENS1_32segmented_reduce_config_selectorIfEEZNS1_21segmented_reduce_implIS3_PKfPfPKifN6hipcub16HIPCUB_304000_NS6detail27convert_result_type_wrapperIS8_S9_N2at6native12_GLOBAL__N_19CustomSumEEEEE10hipError_tPvRmT0_T1_jT2_SQ_T4_T3_P12ihipStream_tbEUlT_E_NS1_11comp_targetILNS1_3genE4ELNS1_11target_archE910ELNS1_3gpuE8ELNS1_3repE0EEENS1_30default_config_static_selectorELNS0_4arch9wavefront6targetE0EEEvSP_.num_vgpr, 0
	.set _ZN7rocprim17ROCPRIM_400000_NS6detail17trampoline_kernelINS0_14default_configENS1_32segmented_reduce_config_selectorIfEEZNS1_21segmented_reduce_implIS3_PKfPfPKifN6hipcub16HIPCUB_304000_NS6detail27convert_result_type_wrapperIS8_S9_N2at6native12_GLOBAL__N_19CustomSumEEEEE10hipError_tPvRmT0_T1_jT2_SQ_T4_T3_P12ihipStream_tbEUlT_E_NS1_11comp_targetILNS1_3genE4ELNS1_11target_archE910ELNS1_3gpuE8ELNS1_3repE0EEENS1_30default_config_static_selectorELNS0_4arch9wavefront6targetE0EEEvSP_.num_agpr, 0
	.set _ZN7rocprim17ROCPRIM_400000_NS6detail17trampoline_kernelINS0_14default_configENS1_32segmented_reduce_config_selectorIfEEZNS1_21segmented_reduce_implIS3_PKfPfPKifN6hipcub16HIPCUB_304000_NS6detail27convert_result_type_wrapperIS8_S9_N2at6native12_GLOBAL__N_19CustomSumEEEEE10hipError_tPvRmT0_T1_jT2_SQ_T4_T3_P12ihipStream_tbEUlT_E_NS1_11comp_targetILNS1_3genE4ELNS1_11target_archE910ELNS1_3gpuE8ELNS1_3repE0EEENS1_30default_config_static_selectorELNS0_4arch9wavefront6targetE0EEEvSP_.numbered_sgpr, 0
	.set _ZN7rocprim17ROCPRIM_400000_NS6detail17trampoline_kernelINS0_14default_configENS1_32segmented_reduce_config_selectorIfEEZNS1_21segmented_reduce_implIS3_PKfPfPKifN6hipcub16HIPCUB_304000_NS6detail27convert_result_type_wrapperIS8_S9_N2at6native12_GLOBAL__N_19CustomSumEEEEE10hipError_tPvRmT0_T1_jT2_SQ_T4_T3_P12ihipStream_tbEUlT_E_NS1_11comp_targetILNS1_3genE4ELNS1_11target_archE910ELNS1_3gpuE8ELNS1_3repE0EEENS1_30default_config_static_selectorELNS0_4arch9wavefront6targetE0EEEvSP_.num_named_barrier, 0
	.set _ZN7rocprim17ROCPRIM_400000_NS6detail17trampoline_kernelINS0_14default_configENS1_32segmented_reduce_config_selectorIfEEZNS1_21segmented_reduce_implIS3_PKfPfPKifN6hipcub16HIPCUB_304000_NS6detail27convert_result_type_wrapperIS8_S9_N2at6native12_GLOBAL__N_19CustomSumEEEEE10hipError_tPvRmT0_T1_jT2_SQ_T4_T3_P12ihipStream_tbEUlT_E_NS1_11comp_targetILNS1_3genE4ELNS1_11target_archE910ELNS1_3gpuE8ELNS1_3repE0EEENS1_30default_config_static_selectorELNS0_4arch9wavefront6targetE0EEEvSP_.private_seg_size, 0
	.set _ZN7rocprim17ROCPRIM_400000_NS6detail17trampoline_kernelINS0_14default_configENS1_32segmented_reduce_config_selectorIfEEZNS1_21segmented_reduce_implIS3_PKfPfPKifN6hipcub16HIPCUB_304000_NS6detail27convert_result_type_wrapperIS8_S9_N2at6native12_GLOBAL__N_19CustomSumEEEEE10hipError_tPvRmT0_T1_jT2_SQ_T4_T3_P12ihipStream_tbEUlT_E_NS1_11comp_targetILNS1_3genE4ELNS1_11target_archE910ELNS1_3gpuE8ELNS1_3repE0EEENS1_30default_config_static_selectorELNS0_4arch9wavefront6targetE0EEEvSP_.uses_vcc, 0
	.set _ZN7rocprim17ROCPRIM_400000_NS6detail17trampoline_kernelINS0_14default_configENS1_32segmented_reduce_config_selectorIfEEZNS1_21segmented_reduce_implIS3_PKfPfPKifN6hipcub16HIPCUB_304000_NS6detail27convert_result_type_wrapperIS8_S9_N2at6native12_GLOBAL__N_19CustomSumEEEEE10hipError_tPvRmT0_T1_jT2_SQ_T4_T3_P12ihipStream_tbEUlT_E_NS1_11comp_targetILNS1_3genE4ELNS1_11target_archE910ELNS1_3gpuE8ELNS1_3repE0EEENS1_30default_config_static_selectorELNS0_4arch9wavefront6targetE0EEEvSP_.uses_flat_scratch, 0
	.set _ZN7rocprim17ROCPRIM_400000_NS6detail17trampoline_kernelINS0_14default_configENS1_32segmented_reduce_config_selectorIfEEZNS1_21segmented_reduce_implIS3_PKfPfPKifN6hipcub16HIPCUB_304000_NS6detail27convert_result_type_wrapperIS8_S9_N2at6native12_GLOBAL__N_19CustomSumEEEEE10hipError_tPvRmT0_T1_jT2_SQ_T4_T3_P12ihipStream_tbEUlT_E_NS1_11comp_targetILNS1_3genE4ELNS1_11target_archE910ELNS1_3gpuE8ELNS1_3repE0EEENS1_30default_config_static_selectorELNS0_4arch9wavefront6targetE0EEEvSP_.has_dyn_sized_stack, 0
	.set _ZN7rocprim17ROCPRIM_400000_NS6detail17trampoline_kernelINS0_14default_configENS1_32segmented_reduce_config_selectorIfEEZNS1_21segmented_reduce_implIS3_PKfPfPKifN6hipcub16HIPCUB_304000_NS6detail27convert_result_type_wrapperIS8_S9_N2at6native12_GLOBAL__N_19CustomSumEEEEE10hipError_tPvRmT0_T1_jT2_SQ_T4_T3_P12ihipStream_tbEUlT_E_NS1_11comp_targetILNS1_3genE4ELNS1_11target_archE910ELNS1_3gpuE8ELNS1_3repE0EEENS1_30default_config_static_selectorELNS0_4arch9wavefront6targetE0EEEvSP_.has_recursion, 0
	.set _ZN7rocprim17ROCPRIM_400000_NS6detail17trampoline_kernelINS0_14default_configENS1_32segmented_reduce_config_selectorIfEEZNS1_21segmented_reduce_implIS3_PKfPfPKifN6hipcub16HIPCUB_304000_NS6detail27convert_result_type_wrapperIS8_S9_N2at6native12_GLOBAL__N_19CustomSumEEEEE10hipError_tPvRmT0_T1_jT2_SQ_T4_T3_P12ihipStream_tbEUlT_E_NS1_11comp_targetILNS1_3genE4ELNS1_11target_archE910ELNS1_3gpuE8ELNS1_3repE0EEENS1_30default_config_static_selectorELNS0_4arch9wavefront6targetE0EEEvSP_.has_indirect_call, 0
	.section	.AMDGPU.csdata,"",@progbits
; Kernel info:
; codeLenInByte = 0
; TotalNumSgprs: 0
; NumVgprs: 0
; ScratchSize: 0
; MemoryBound: 0
; FloatMode: 240
; IeeeMode: 1
; LDSByteSize: 0 bytes/workgroup (compile time only)
; SGPRBlocks: 0
; VGPRBlocks: 0
; NumSGPRsForWavesPerEU: 1
; NumVGPRsForWavesPerEU: 1
; Occupancy: 16
; WaveLimiterHint : 0
; COMPUTE_PGM_RSRC2:SCRATCH_EN: 0
; COMPUTE_PGM_RSRC2:USER_SGPR: 6
; COMPUTE_PGM_RSRC2:TRAP_HANDLER: 0
; COMPUTE_PGM_RSRC2:TGID_X_EN: 1
; COMPUTE_PGM_RSRC2:TGID_Y_EN: 0
; COMPUTE_PGM_RSRC2:TGID_Z_EN: 0
; COMPUTE_PGM_RSRC2:TIDIG_COMP_CNT: 0
	.section	.text._ZN7rocprim17ROCPRIM_400000_NS6detail17trampoline_kernelINS0_14default_configENS1_32segmented_reduce_config_selectorIfEEZNS1_21segmented_reduce_implIS3_PKfPfPKifN6hipcub16HIPCUB_304000_NS6detail27convert_result_type_wrapperIS8_S9_N2at6native12_GLOBAL__N_19CustomSumEEEEE10hipError_tPvRmT0_T1_jT2_SQ_T4_T3_P12ihipStream_tbEUlT_E_NS1_11comp_targetILNS1_3genE3ELNS1_11target_archE908ELNS1_3gpuE7ELNS1_3repE0EEENS1_30default_config_static_selectorELNS0_4arch9wavefront6targetE0EEEvSP_,"axG",@progbits,_ZN7rocprim17ROCPRIM_400000_NS6detail17trampoline_kernelINS0_14default_configENS1_32segmented_reduce_config_selectorIfEEZNS1_21segmented_reduce_implIS3_PKfPfPKifN6hipcub16HIPCUB_304000_NS6detail27convert_result_type_wrapperIS8_S9_N2at6native12_GLOBAL__N_19CustomSumEEEEE10hipError_tPvRmT0_T1_jT2_SQ_T4_T3_P12ihipStream_tbEUlT_E_NS1_11comp_targetILNS1_3genE3ELNS1_11target_archE908ELNS1_3gpuE7ELNS1_3repE0EEENS1_30default_config_static_selectorELNS0_4arch9wavefront6targetE0EEEvSP_,comdat
	.globl	_ZN7rocprim17ROCPRIM_400000_NS6detail17trampoline_kernelINS0_14default_configENS1_32segmented_reduce_config_selectorIfEEZNS1_21segmented_reduce_implIS3_PKfPfPKifN6hipcub16HIPCUB_304000_NS6detail27convert_result_type_wrapperIS8_S9_N2at6native12_GLOBAL__N_19CustomSumEEEEE10hipError_tPvRmT0_T1_jT2_SQ_T4_T3_P12ihipStream_tbEUlT_E_NS1_11comp_targetILNS1_3genE3ELNS1_11target_archE908ELNS1_3gpuE7ELNS1_3repE0EEENS1_30default_config_static_selectorELNS0_4arch9wavefront6targetE0EEEvSP_ ; -- Begin function _ZN7rocprim17ROCPRIM_400000_NS6detail17trampoline_kernelINS0_14default_configENS1_32segmented_reduce_config_selectorIfEEZNS1_21segmented_reduce_implIS3_PKfPfPKifN6hipcub16HIPCUB_304000_NS6detail27convert_result_type_wrapperIS8_S9_N2at6native12_GLOBAL__N_19CustomSumEEEEE10hipError_tPvRmT0_T1_jT2_SQ_T4_T3_P12ihipStream_tbEUlT_E_NS1_11comp_targetILNS1_3genE3ELNS1_11target_archE908ELNS1_3gpuE7ELNS1_3repE0EEENS1_30default_config_static_selectorELNS0_4arch9wavefront6targetE0EEEvSP_
	.p2align	8
	.type	_ZN7rocprim17ROCPRIM_400000_NS6detail17trampoline_kernelINS0_14default_configENS1_32segmented_reduce_config_selectorIfEEZNS1_21segmented_reduce_implIS3_PKfPfPKifN6hipcub16HIPCUB_304000_NS6detail27convert_result_type_wrapperIS8_S9_N2at6native12_GLOBAL__N_19CustomSumEEEEE10hipError_tPvRmT0_T1_jT2_SQ_T4_T3_P12ihipStream_tbEUlT_E_NS1_11comp_targetILNS1_3genE3ELNS1_11target_archE908ELNS1_3gpuE7ELNS1_3repE0EEENS1_30default_config_static_selectorELNS0_4arch9wavefront6targetE0EEEvSP_,@function
_ZN7rocprim17ROCPRIM_400000_NS6detail17trampoline_kernelINS0_14default_configENS1_32segmented_reduce_config_selectorIfEEZNS1_21segmented_reduce_implIS3_PKfPfPKifN6hipcub16HIPCUB_304000_NS6detail27convert_result_type_wrapperIS8_S9_N2at6native12_GLOBAL__N_19CustomSumEEEEE10hipError_tPvRmT0_T1_jT2_SQ_T4_T3_P12ihipStream_tbEUlT_E_NS1_11comp_targetILNS1_3genE3ELNS1_11target_archE908ELNS1_3gpuE7ELNS1_3repE0EEENS1_30default_config_static_selectorELNS0_4arch9wavefront6targetE0EEEvSP_: ; @_ZN7rocprim17ROCPRIM_400000_NS6detail17trampoline_kernelINS0_14default_configENS1_32segmented_reduce_config_selectorIfEEZNS1_21segmented_reduce_implIS3_PKfPfPKifN6hipcub16HIPCUB_304000_NS6detail27convert_result_type_wrapperIS8_S9_N2at6native12_GLOBAL__N_19CustomSumEEEEE10hipError_tPvRmT0_T1_jT2_SQ_T4_T3_P12ihipStream_tbEUlT_E_NS1_11comp_targetILNS1_3genE3ELNS1_11target_archE908ELNS1_3gpuE7ELNS1_3repE0EEENS1_30default_config_static_selectorELNS0_4arch9wavefront6targetE0EEEvSP_
; %bb.0:
	.section	.rodata,"a",@progbits
	.p2align	6, 0x0
	.amdhsa_kernel _ZN7rocprim17ROCPRIM_400000_NS6detail17trampoline_kernelINS0_14default_configENS1_32segmented_reduce_config_selectorIfEEZNS1_21segmented_reduce_implIS3_PKfPfPKifN6hipcub16HIPCUB_304000_NS6detail27convert_result_type_wrapperIS8_S9_N2at6native12_GLOBAL__N_19CustomSumEEEEE10hipError_tPvRmT0_T1_jT2_SQ_T4_T3_P12ihipStream_tbEUlT_E_NS1_11comp_targetILNS1_3genE3ELNS1_11target_archE908ELNS1_3gpuE7ELNS1_3repE0EEENS1_30default_config_static_selectorELNS0_4arch9wavefront6targetE0EEEvSP_
		.amdhsa_group_segment_fixed_size 0
		.amdhsa_private_segment_fixed_size 0
		.amdhsa_kernarg_size 48
		.amdhsa_user_sgpr_count 6
		.amdhsa_user_sgpr_private_segment_buffer 1
		.amdhsa_user_sgpr_dispatch_ptr 0
		.amdhsa_user_sgpr_queue_ptr 0
		.amdhsa_user_sgpr_kernarg_segment_ptr 1
		.amdhsa_user_sgpr_dispatch_id 0
		.amdhsa_user_sgpr_flat_scratch_init 0
		.amdhsa_user_sgpr_private_segment_size 0
		.amdhsa_wavefront_size32 1
		.amdhsa_uses_dynamic_stack 0
		.amdhsa_system_sgpr_private_segment_wavefront_offset 0
		.amdhsa_system_sgpr_workgroup_id_x 1
		.amdhsa_system_sgpr_workgroup_id_y 0
		.amdhsa_system_sgpr_workgroup_id_z 0
		.amdhsa_system_sgpr_workgroup_info 0
		.amdhsa_system_vgpr_workitem_id 0
		.amdhsa_next_free_vgpr 1
		.amdhsa_next_free_sgpr 1
		.amdhsa_reserve_vcc 0
		.amdhsa_reserve_flat_scratch 0
		.amdhsa_float_round_mode_32 0
		.amdhsa_float_round_mode_16_64 0
		.amdhsa_float_denorm_mode_32 3
		.amdhsa_float_denorm_mode_16_64 3
		.amdhsa_dx10_clamp 1
		.amdhsa_ieee_mode 1
		.amdhsa_fp16_overflow 0
		.amdhsa_workgroup_processor_mode 1
		.amdhsa_memory_ordered 1
		.amdhsa_forward_progress 1
		.amdhsa_shared_vgpr_count 0
		.amdhsa_exception_fp_ieee_invalid_op 0
		.amdhsa_exception_fp_denorm_src 0
		.amdhsa_exception_fp_ieee_div_zero 0
		.amdhsa_exception_fp_ieee_overflow 0
		.amdhsa_exception_fp_ieee_underflow 0
		.amdhsa_exception_fp_ieee_inexact 0
		.amdhsa_exception_int_div_zero 0
	.end_amdhsa_kernel
	.section	.text._ZN7rocprim17ROCPRIM_400000_NS6detail17trampoline_kernelINS0_14default_configENS1_32segmented_reduce_config_selectorIfEEZNS1_21segmented_reduce_implIS3_PKfPfPKifN6hipcub16HIPCUB_304000_NS6detail27convert_result_type_wrapperIS8_S9_N2at6native12_GLOBAL__N_19CustomSumEEEEE10hipError_tPvRmT0_T1_jT2_SQ_T4_T3_P12ihipStream_tbEUlT_E_NS1_11comp_targetILNS1_3genE3ELNS1_11target_archE908ELNS1_3gpuE7ELNS1_3repE0EEENS1_30default_config_static_selectorELNS0_4arch9wavefront6targetE0EEEvSP_,"axG",@progbits,_ZN7rocprim17ROCPRIM_400000_NS6detail17trampoline_kernelINS0_14default_configENS1_32segmented_reduce_config_selectorIfEEZNS1_21segmented_reduce_implIS3_PKfPfPKifN6hipcub16HIPCUB_304000_NS6detail27convert_result_type_wrapperIS8_S9_N2at6native12_GLOBAL__N_19CustomSumEEEEE10hipError_tPvRmT0_T1_jT2_SQ_T4_T3_P12ihipStream_tbEUlT_E_NS1_11comp_targetILNS1_3genE3ELNS1_11target_archE908ELNS1_3gpuE7ELNS1_3repE0EEENS1_30default_config_static_selectorELNS0_4arch9wavefront6targetE0EEEvSP_,comdat
.Lfunc_end55:
	.size	_ZN7rocprim17ROCPRIM_400000_NS6detail17trampoline_kernelINS0_14default_configENS1_32segmented_reduce_config_selectorIfEEZNS1_21segmented_reduce_implIS3_PKfPfPKifN6hipcub16HIPCUB_304000_NS6detail27convert_result_type_wrapperIS8_S9_N2at6native12_GLOBAL__N_19CustomSumEEEEE10hipError_tPvRmT0_T1_jT2_SQ_T4_T3_P12ihipStream_tbEUlT_E_NS1_11comp_targetILNS1_3genE3ELNS1_11target_archE908ELNS1_3gpuE7ELNS1_3repE0EEENS1_30default_config_static_selectorELNS0_4arch9wavefront6targetE0EEEvSP_, .Lfunc_end55-_ZN7rocprim17ROCPRIM_400000_NS6detail17trampoline_kernelINS0_14default_configENS1_32segmented_reduce_config_selectorIfEEZNS1_21segmented_reduce_implIS3_PKfPfPKifN6hipcub16HIPCUB_304000_NS6detail27convert_result_type_wrapperIS8_S9_N2at6native12_GLOBAL__N_19CustomSumEEEEE10hipError_tPvRmT0_T1_jT2_SQ_T4_T3_P12ihipStream_tbEUlT_E_NS1_11comp_targetILNS1_3genE3ELNS1_11target_archE908ELNS1_3gpuE7ELNS1_3repE0EEENS1_30default_config_static_selectorELNS0_4arch9wavefront6targetE0EEEvSP_
                                        ; -- End function
	.set _ZN7rocprim17ROCPRIM_400000_NS6detail17trampoline_kernelINS0_14default_configENS1_32segmented_reduce_config_selectorIfEEZNS1_21segmented_reduce_implIS3_PKfPfPKifN6hipcub16HIPCUB_304000_NS6detail27convert_result_type_wrapperIS8_S9_N2at6native12_GLOBAL__N_19CustomSumEEEEE10hipError_tPvRmT0_T1_jT2_SQ_T4_T3_P12ihipStream_tbEUlT_E_NS1_11comp_targetILNS1_3genE3ELNS1_11target_archE908ELNS1_3gpuE7ELNS1_3repE0EEENS1_30default_config_static_selectorELNS0_4arch9wavefront6targetE0EEEvSP_.num_vgpr, 0
	.set _ZN7rocprim17ROCPRIM_400000_NS6detail17trampoline_kernelINS0_14default_configENS1_32segmented_reduce_config_selectorIfEEZNS1_21segmented_reduce_implIS3_PKfPfPKifN6hipcub16HIPCUB_304000_NS6detail27convert_result_type_wrapperIS8_S9_N2at6native12_GLOBAL__N_19CustomSumEEEEE10hipError_tPvRmT0_T1_jT2_SQ_T4_T3_P12ihipStream_tbEUlT_E_NS1_11comp_targetILNS1_3genE3ELNS1_11target_archE908ELNS1_3gpuE7ELNS1_3repE0EEENS1_30default_config_static_selectorELNS0_4arch9wavefront6targetE0EEEvSP_.num_agpr, 0
	.set _ZN7rocprim17ROCPRIM_400000_NS6detail17trampoline_kernelINS0_14default_configENS1_32segmented_reduce_config_selectorIfEEZNS1_21segmented_reduce_implIS3_PKfPfPKifN6hipcub16HIPCUB_304000_NS6detail27convert_result_type_wrapperIS8_S9_N2at6native12_GLOBAL__N_19CustomSumEEEEE10hipError_tPvRmT0_T1_jT2_SQ_T4_T3_P12ihipStream_tbEUlT_E_NS1_11comp_targetILNS1_3genE3ELNS1_11target_archE908ELNS1_3gpuE7ELNS1_3repE0EEENS1_30default_config_static_selectorELNS0_4arch9wavefront6targetE0EEEvSP_.numbered_sgpr, 0
	.set _ZN7rocprim17ROCPRIM_400000_NS6detail17trampoline_kernelINS0_14default_configENS1_32segmented_reduce_config_selectorIfEEZNS1_21segmented_reduce_implIS3_PKfPfPKifN6hipcub16HIPCUB_304000_NS6detail27convert_result_type_wrapperIS8_S9_N2at6native12_GLOBAL__N_19CustomSumEEEEE10hipError_tPvRmT0_T1_jT2_SQ_T4_T3_P12ihipStream_tbEUlT_E_NS1_11comp_targetILNS1_3genE3ELNS1_11target_archE908ELNS1_3gpuE7ELNS1_3repE0EEENS1_30default_config_static_selectorELNS0_4arch9wavefront6targetE0EEEvSP_.num_named_barrier, 0
	.set _ZN7rocprim17ROCPRIM_400000_NS6detail17trampoline_kernelINS0_14default_configENS1_32segmented_reduce_config_selectorIfEEZNS1_21segmented_reduce_implIS3_PKfPfPKifN6hipcub16HIPCUB_304000_NS6detail27convert_result_type_wrapperIS8_S9_N2at6native12_GLOBAL__N_19CustomSumEEEEE10hipError_tPvRmT0_T1_jT2_SQ_T4_T3_P12ihipStream_tbEUlT_E_NS1_11comp_targetILNS1_3genE3ELNS1_11target_archE908ELNS1_3gpuE7ELNS1_3repE0EEENS1_30default_config_static_selectorELNS0_4arch9wavefront6targetE0EEEvSP_.private_seg_size, 0
	.set _ZN7rocprim17ROCPRIM_400000_NS6detail17trampoline_kernelINS0_14default_configENS1_32segmented_reduce_config_selectorIfEEZNS1_21segmented_reduce_implIS3_PKfPfPKifN6hipcub16HIPCUB_304000_NS6detail27convert_result_type_wrapperIS8_S9_N2at6native12_GLOBAL__N_19CustomSumEEEEE10hipError_tPvRmT0_T1_jT2_SQ_T4_T3_P12ihipStream_tbEUlT_E_NS1_11comp_targetILNS1_3genE3ELNS1_11target_archE908ELNS1_3gpuE7ELNS1_3repE0EEENS1_30default_config_static_selectorELNS0_4arch9wavefront6targetE0EEEvSP_.uses_vcc, 0
	.set _ZN7rocprim17ROCPRIM_400000_NS6detail17trampoline_kernelINS0_14default_configENS1_32segmented_reduce_config_selectorIfEEZNS1_21segmented_reduce_implIS3_PKfPfPKifN6hipcub16HIPCUB_304000_NS6detail27convert_result_type_wrapperIS8_S9_N2at6native12_GLOBAL__N_19CustomSumEEEEE10hipError_tPvRmT0_T1_jT2_SQ_T4_T3_P12ihipStream_tbEUlT_E_NS1_11comp_targetILNS1_3genE3ELNS1_11target_archE908ELNS1_3gpuE7ELNS1_3repE0EEENS1_30default_config_static_selectorELNS0_4arch9wavefront6targetE0EEEvSP_.uses_flat_scratch, 0
	.set _ZN7rocprim17ROCPRIM_400000_NS6detail17trampoline_kernelINS0_14default_configENS1_32segmented_reduce_config_selectorIfEEZNS1_21segmented_reduce_implIS3_PKfPfPKifN6hipcub16HIPCUB_304000_NS6detail27convert_result_type_wrapperIS8_S9_N2at6native12_GLOBAL__N_19CustomSumEEEEE10hipError_tPvRmT0_T1_jT2_SQ_T4_T3_P12ihipStream_tbEUlT_E_NS1_11comp_targetILNS1_3genE3ELNS1_11target_archE908ELNS1_3gpuE7ELNS1_3repE0EEENS1_30default_config_static_selectorELNS0_4arch9wavefront6targetE0EEEvSP_.has_dyn_sized_stack, 0
	.set _ZN7rocprim17ROCPRIM_400000_NS6detail17trampoline_kernelINS0_14default_configENS1_32segmented_reduce_config_selectorIfEEZNS1_21segmented_reduce_implIS3_PKfPfPKifN6hipcub16HIPCUB_304000_NS6detail27convert_result_type_wrapperIS8_S9_N2at6native12_GLOBAL__N_19CustomSumEEEEE10hipError_tPvRmT0_T1_jT2_SQ_T4_T3_P12ihipStream_tbEUlT_E_NS1_11comp_targetILNS1_3genE3ELNS1_11target_archE908ELNS1_3gpuE7ELNS1_3repE0EEENS1_30default_config_static_selectorELNS0_4arch9wavefront6targetE0EEEvSP_.has_recursion, 0
	.set _ZN7rocprim17ROCPRIM_400000_NS6detail17trampoline_kernelINS0_14default_configENS1_32segmented_reduce_config_selectorIfEEZNS1_21segmented_reduce_implIS3_PKfPfPKifN6hipcub16HIPCUB_304000_NS6detail27convert_result_type_wrapperIS8_S9_N2at6native12_GLOBAL__N_19CustomSumEEEEE10hipError_tPvRmT0_T1_jT2_SQ_T4_T3_P12ihipStream_tbEUlT_E_NS1_11comp_targetILNS1_3genE3ELNS1_11target_archE908ELNS1_3gpuE7ELNS1_3repE0EEENS1_30default_config_static_selectorELNS0_4arch9wavefront6targetE0EEEvSP_.has_indirect_call, 0
	.section	.AMDGPU.csdata,"",@progbits
; Kernel info:
; codeLenInByte = 0
; TotalNumSgprs: 0
; NumVgprs: 0
; ScratchSize: 0
; MemoryBound: 0
; FloatMode: 240
; IeeeMode: 1
; LDSByteSize: 0 bytes/workgroup (compile time only)
; SGPRBlocks: 0
; VGPRBlocks: 0
; NumSGPRsForWavesPerEU: 1
; NumVGPRsForWavesPerEU: 1
; Occupancy: 16
; WaveLimiterHint : 0
; COMPUTE_PGM_RSRC2:SCRATCH_EN: 0
; COMPUTE_PGM_RSRC2:USER_SGPR: 6
; COMPUTE_PGM_RSRC2:TRAP_HANDLER: 0
; COMPUTE_PGM_RSRC2:TGID_X_EN: 1
; COMPUTE_PGM_RSRC2:TGID_Y_EN: 0
; COMPUTE_PGM_RSRC2:TGID_Z_EN: 0
; COMPUTE_PGM_RSRC2:TIDIG_COMP_CNT: 0
	.section	.text._ZN7rocprim17ROCPRIM_400000_NS6detail17trampoline_kernelINS0_14default_configENS1_32segmented_reduce_config_selectorIfEEZNS1_21segmented_reduce_implIS3_PKfPfPKifN6hipcub16HIPCUB_304000_NS6detail27convert_result_type_wrapperIS8_S9_N2at6native12_GLOBAL__N_19CustomSumEEEEE10hipError_tPvRmT0_T1_jT2_SQ_T4_T3_P12ihipStream_tbEUlT_E_NS1_11comp_targetILNS1_3genE2ELNS1_11target_archE906ELNS1_3gpuE6ELNS1_3repE0EEENS1_30default_config_static_selectorELNS0_4arch9wavefront6targetE0EEEvSP_,"axG",@progbits,_ZN7rocprim17ROCPRIM_400000_NS6detail17trampoline_kernelINS0_14default_configENS1_32segmented_reduce_config_selectorIfEEZNS1_21segmented_reduce_implIS3_PKfPfPKifN6hipcub16HIPCUB_304000_NS6detail27convert_result_type_wrapperIS8_S9_N2at6native12_GLOBAL__N_19CustomSumEEEEE10hipError_tPvRmT0_T1_jT2_SQ_T4_T3_P12ihipStream_tbEUlT_E_NS1_11comp_targetILNS1_3genE2ELNS1_11target_archE906ELNS1_3gpuE6ELNS1_3repE0EEENS1_30default_config_static_selectorELNS0_4arch9wavefront6targetE0EEEvSP_,comdat
	.globl	_ZN7rocprim17ROCPRIM_400000_NS6detail17trampoline_kernelINS0_14default_configENS1_32segmented_reduce_config_selectorIfEEZNS1_21segmented_reduce_implIS3_PKfPfPKifN6hipcub16HIPCUB_304000_NS6detail27convert_result_type_wrapperIS8_S9_N2at6native12_GLOBAL__N_19CustomSumEEEEE10hipError_tPvRmT0_T1_jT2_SQ_T4_T3_P12ihipStream_tbEUlT_E_NS1_11comp_targetILNS1_3genE2ELNS1_11target_archE906ELNS1_3gpuE6ELNS1_3repE0EEENS1_30default_config_static_selectorELNS0_4arch9wavefront6targetE0EEEvSP_ ; -- Begin function _ZN7rocprim17ROCPRIM_400000_NS6detail17trampoline_kernelINS0_14default_configENS1_32segmented_reduce_config_selectorIfEEZNS1_21segmented_reduce_implIS3_PKfPfPKifN6hipcub16HIPCUB_304000_NS6detail27convert_result_type_wrapperIS8_S9_N2at6native12_GLOBAL__N_19CustomSumEEEEE10hipError_tPvRmT0_T1_jT2_SQ_T4_T3_P12ihipStream_tbEUlT_E_NS1_11comp_targetILNS1_3genE2ELNS1_11target_archE906ELNS1_3gpuE6ELNS1_3repE0EEENS1_30default_config_static_selectorELNS0_4arch9wavefront6targetE0EEEvSP_
	.p2align	8
	.type	_ZN7rocprim17ROCPRIM_400000_NS6detail17trampoline_kernelINS0_14default_configENS1_32segmented_reduce_config_selectorIfEEZNS1_21segmented_reduce_implIS3_PKfPfPKifN6hipcub16HIPCUB_304000_NS6detail27convert_result_type_wrapperIS8_S9_N2at6native12_GLOBAL__N_19CustomSumEEEEE10hipError_tPvRmT0_T1_jT2_SQ_T4_T3_P12ihipStream_tbEUlT_E_NS1_11comp_targetILNS1_3genE2ELNS1_11target_archE906ELNS1_3gpuE6ELNS1_3repE0EEENS1_30default_config_static_selectorELNS0_4arch9wavefront6targetE0EEEvSP_,@function
_ZN7rocprim17ROCPRIM_400000_NS6detail17trampoline_kernelINS0_14default_configENS1_32segmented_reduce_config_selectorIfEEZNS1_21segmented_reduce_implIS3_PKfPfPKifN6hipcub16HIPCUB_304000_NS6detail27convert_result_type_wrapperIS8_S9_N2at6native12_GLOBAL__N_19CustomSumEEEEE10hipError_tPvRmT0_T1_jT2_SQ_T4_T3_P12ihipStream_tbEUlT_E_NS1_11comp_targetILNS1_3genE2ELNS1_11target_archE906ELNS1_3gpuE6ELNS1_3repE0EEENS1_30default_config_static_selectorELNS0_4arch9wavefront6targetE0EEEvSP_: ; @_ZN7rocprim17ROCPRIM_400000_NS6detail17trampoline_kernelINS0_14default_configENS1_32segmented_reduce_config_selectorIfEEZNS1_21segmented_reduce_implIS3_PKfPfPKifN6hipcub16HIPCUB_304000_NS6detail27convert_result_type_wrapperIS8_S9_N2at6native12_GLOBAL__N_19CustomSumEEEEE10hipError_tPvRmT0_T1_jT2_SQ_T4_T3_P12ihipStream_tbEUlT_E_NS1_11comp_targetILNS1_3genE2ELNS1_11target_archE906ELNS1_3gpuE6ELNS1_3repE0EEENS1_30default_config_static_selectorELNS0_4arch9wavefront6targetE0EEEvSP_
; %bb.0:
	.section	.rodata,"a",@progbits
	.p2align	6, 0x0
	.amdhsa_kernel _ZN7rocprim17ROCPRIM_400000_NS6detail17trampoline_kernelINS0_14default_configENS1_32segmented_reduce_config_selectorIfEEZNS1_21segmented_reduce_implIS3_PKfPfPKifN6hipcub16HIPCUB_304000_NS6detail27convert_result_type_wrapperIS8_S9_N2at6native12_GLOBAL__N_19CustomSumEEEEE10hipError_tPvRmT0_T1_jT2_SQ_T4_T3_P12ihipStream_tbEUlT_E_NS1_11comp_targetILNS1_3genE2ELNS1_11target_archE906ELNS1_3gpuE6ELNS1_3repE0EEENS1_30default_config_static_selectorELNS0_4arch9wavefront6targetE0EEEvSP_
		.amdhsa_group_segment_fixed_size 0
		.amdhsa_private_segment_fixed_size 0
		.amdhsa_kernarg_size 48
		.amdhsa_user_sgpr_count 6
		.amdhsa_user_sgpr_private_segment_buffer 1
		.amdhsa_user_sgpr_dispatch_ptr 0
		.amdhsa_user_sgpr_queue_ptr 0
		.amdhsa_user_sgpr_kernarg_segment_ptr 1
		.amdhsa_user_sgpr_dispatch_id 0
		.amdhsa_user_sgpr_flat_scratch_init 0
		.amdhsa_user_sgpr_private_segment_size 0
		.amdhsa_wavefront_size32 1
		.amdhsa_uses_dynamic_stack 0
		.amdhsa_system_sgpr_private_segment_wavefront_offset 0
		.amdhsa_system_sgpr_workgroup_id_x 1
		.amdhsa_system_sgpr_workgroup_id_y 0
		.amdhsa_system_sgpr_workgroup_id_z 0
		.amdhsa_system_sgpr_workgroup_info 0
		.amdhsa_system_vgpr_workitem_id 0
		.amdhsa_next_free_vgpr 1
		.amdhsa_next_free_sgpr 1
		.amdhsa_reserve_vcc 0
		.amdhsa_reserve_flat_scratch 0
		.amdhsa_float_round_mode_32 0
		.amdhsa_float_round_mode_16_64 0
		.amdhsa_float_denorm_mode_32 3
		.amdhsa_float_denorm_mode_16_64 3
		.amdhsa_dx10_clamp 1
		.amdhsa_ieee_mode 1
		.amdhsa_fp16_overflow 0
		.amdhsa_workgroup_processor_mode 1
		.amdhsa_memory_ordered 1
		.amdhsa_forward_progress 1
		.amdhsa_shared_vgpr_count 0
		.amdhsa_exception_fp_ieee_invalid_op 0
		.amdhsa_exception_fp_denorm_src 0
		.amdhsa_exception_fp_ieee_div_zero 0
		.amdhsa_exception_fp_ieee_overflow 0
		.amdhsa_exception_fp_ieee_underflow 0
		.amdhsa_exception_fp_ieee_inexact 0
		.amdhsa_exception_int_div_zero 0
	.end_amdhsa_kernel
	.section	.text._ZN7rocprim17ROCPRIM_400000_NS6detail17trampoline_kernelINS0_14default_configENS1_32segmented_reduce_config_selectorIfEEZNS1_21segmented_reduce_implIS3_PKfPfPKifN6hipcub16HIPCUB_304000_NS6detail27convert_result_type_wrapperIS8_S9_N2at6native12_GLOBAL__N_19CustomSumEEEEE10hipError_tPvRmT0_T1_jT2_SQ_T4_T3_P12ihipStream_tbEUlT_E_NS1_11comp_targetILNS1_3genE2ELNS1_11target_archE906ELNS1_3gpuE6ELNS1_3repE0EEENS1_30default_config_static_selectorELNS0_4arch9wavefront6targetE0EEEvSP_,"axG",@progbits,_ZN7rocprim17ROCPRIM_400000_NS6detail17trampoline_kernelINS0_14default_configENS1_32segmented_reduce_config_selectorIfEEZNS1_21segmented_reduce_implIS3_PKfPfPKifN6hipcub16HIPCUB_304000_NS6detail27convert_result_type_wrapperIS8_S9_N2at6native12_GLOBAL__N_19CustomSumEEEEE10hipError_tPvRmT0_T1_jT2_SQ_T4_T3_P12ihipStream_tbEUlT_E_NS1_11comp_targetILNS1_3genE2ELNS1_11target_archE906ELNS1_3gpuE6ELNS1_3repE0EEENS1_30default_config_static_selectorELNS0_4arch9wavefront6targetE0EEEvSP_,comdat
.Lfunc_end56:
	.size	_ZN7rocprim17ROCPRIM_400000_NS6detail17trampoline_kernelINS0_14default_configENS1_32segmented_reduce_config_selectorIfEEZNS1_21segmented_reduce_implIS3_PKfPfPKifN6hipcub16HIPCUB_304000_NS6detail27convert_result_type_wrapperIS8_S9_N2at6native12_GLOBAL__N_19CustomSumEEEEE10hipError_tPvRmT0_T1_jT2_SQ_T4_T3_P12ihipStream_tbEUlT_E_NS1_11comp_targetILNS1_3genE2ELNS1_11target_archE906ELNS1_3gpuE6ELNS1_3repE0EEENS1_30default_config_static_selectorELNS0_4arch9wavefront6targetE0EEEvSP_, .Lfunc_end56-_ZN7rocprim17ROCPRIM_400000_NS6detail17trampoline_kernelINS0_14default_configENS1_32segmented_reduce_config_selectorIfEEZNS1_21segmented_reduce_implIS3_PKfPfPKifN6hipcub16HIPCUB_304000_NS6detail27convert_result_type_wrapperIS8_S9_N2at6native12_GLOBAL__N_19CustomSumEEEEE10hipError_tPvRmT0_T1_jT2_SQ_T4_T3_P12ihipStream_tbEUlT_E_NS1_11comp_targetILNS1_3genE2ELNS1_11target_archE906ELNS1_3gpuE6ELNS1_3repE0EEENS1_30default_config_static_selectorELNS0_4arch9wavefront6targetE0EEEvSP_
                                        ; -- End function
	.set _ZN7rocprim17ROCPRIM_400000_NS6detail17trampoline_kernelINS0_14default_configENS1_32segmented_reduce_config_selectorIfEEZNS1_21segmented_reduce_implIS3_PKfPfPKifN6hipcub16HIPCUB_304000_NS6detail27convert_result_type_wrapperIS8_S9_N2at6native12_GLOBAL__N_19CustomSumEEEEE10hipError_tPvRmT0_T1_jT2_SQ_T4_T3_P12ihipStream_tbEUlT_E_NS1_11comp_targetILNS1_3genE2ELNS1_11target_archE906ELNS1_3gpuE6ELNS1_3repE0EEENS1_30default_config_static_selectorELNS0_4arch9wavefront6targetE0EEEvSP_.num_vgpr, 0
	.set _ZN7rocprim17ROCPRIM_400000_NS6detail17trampoline_kernelINS0_14default_configENS1_32segmented_reduce_config_selectorIfEEZNS1_21segmented_reduce_implIS3_PKfPfPKifN6hipcub16HIPCUB_304000_NS6detail27convert_result_type_wrapperIS8_S9_N2at6native12_GLOBAL__N_19CustomSumEEEEE10hipError_tPvRmT0_T1_jT2_SQ_T4_T3_P12ihipStream_tbEUlT_E_NS1_11comp_targetILNS1_3genE2ELNS1_11target_archE906ELNS1_3gpuE6ELNS1_3repE0EEENS1_30default_config_static_selectorELNS0_4arch9wavefront6targetE0EEEvSP_.num_agpr, 0
	.set _ZN7rocprim17ROCPRIM_400000_NS6detail17trampoline_kernelINS0_14default_configENS1_32segmented_reduce_config_selectorIfEEZNS1_21segmented_reduce_implIS3_PKfPfPKifN6hipcub16HIPCUB_304000_NS6detail27convert_result_type_wrapperIS8_S9_N2at6native12_GLOBAL__N_19CustomSumEEEEE10hipError_tPvRmT0_T1_jT2_SQ_T4_T3_P12ihipStream_tbEUlT_E_NS1_11comp_targetILNS1_3genE2ELNS1_11target_archE906ELNS1_3gpuE6ELNS1_3repE0EEENS1_30default_config_static_selectorELNS0_4arch9wavefront6targetE0EEEvSP_.numbered_sgpr, 0
	.set _ZN7rocprim17ROCPRIM_400000_NS6detail17trampoline_kernelINS0_14default_configENS1_32segmented_reduce_config_selectorIfEEZNS1_21segmented_reduce_implIS3_PKfPfPKifN6hipcub16HIPCUB_304000_NS6detail27convert_result_type_wrapperIS8_S9_N2at6native12_GLOBAL__N_19CustomSumEEEEE10hipError_tPvRmT0_T1_jT2_SQ_T4_T3_P12ihipStream_tbEUlT_E_NS1_11comp_targetILNS1_3genE2ELNS1_11target_archE906ELNS1_3gpuE6ELNS1_3repE0EEENS1_30default_config_static_selectorELNS0_4arch9wavefront6targetE0EEEvSP_.num_named_barrier, 0
	.set _ZN7rocprim17ROCPRIM_400000_NS6detail17trampoline_kernelINS0_14default_configENS1_32segmented_reduce_config_selectorIfEEZNS1_21segmented_reduce_implIS3_PKfPfPKifN6hipcub16HIPCUB_304000_NS6detail27convert_result_type_wrapperIS8_S9_N2at6native12_GLOBAL__N_19CustomSumEEEEE10hipError_tPvRmT0_T1_jT2_SQ_T4_T3_P12ihipStream_tbEUlT_E_NS1_11comp_targetILNS1_3genE2ELNS1_11target_archE906ELNS1_3gpuE6ELNS1_3repE0EEENS1_30default_config_static_selectorELNS0_4arch9wavefront6targetE0EEEvSP_.private_seg_size, 0
	.set _ZN7rocprim17ROCPRIM_400000_NS6detail17trampoline_kernelINS0_14default_configENS1_32segmented_reduce_config_selectorIfEEZNS1_21segmented_reduce_implIS3_PKfPfPKifN6hipcub16HIPCUB_304000_NS6detail27convert_result_type_wrapperIS8_S9_N2at6native12_GLOBAL__N_19CustomSumEEEEE10hipError_tPvRmT0_T1_jT2_SQ_T4_T3_P12ihipStream_tbEUlT_E_NS1_11comp_targetILNS1_3genE2ELNS1_11target_archE906ELNS1_3gpuE6ELNS1_3repE0EEENS1_30default_config_static_selectorELNS0_4arch9wavefront6targetE0EEEvSP_.uses_vcc, 0
	.set _ZN7rocprim17ROCPRIM_400000_NS6detail17trampoline_kernelINS0_14default_configENS1_32segmented_reduce_config_selectorIfEEZNS1_21segmented_reduce_implIS3_PKfPfPKifN6hipcub16HIPCUB_304000_NS6detail27convert_result_type_wrapperIS8_S9_N2at6native12_GLOBAL__N_19CustomSumEEEEE10hipError_tPvRmT0_T1_jT2_SQ_T4_T3_P12ihipStream_tbEUlT_E_NS1_11comp_targetILNS1_3genE2ELNS1_11target_archE906ELNS1_3gpuE6ELNS1_3repE0EEENS1_30default_config_static_selectorELNS0_4arch9wavefront6targetE0EEEvSP_.uses_flat_scratch, 0
	.set _ZN7rocprim17ROCPRIM_400000_NS6detail17trampoline_kernelINS0_14default_configENS1_32segmented_reduce_config_selectorIfEEZNS1_21segmented_reduce_implIS3_PKfPfPKifN6hipcub16HIPCUB_304000_NS6detail27convert_result_type_wrapperIS8_S9_N2at6native12_GLOBAL__N_19CustomSumEEEEE10hipError_tPvRmT0_T1_jT2_SQ_T4_T3_P12ihipStream_tbEUlT_E_NS1_11comp_targetILNS1_3genE2ELNS1_11target_archE906ELNS1_3gpuE6ELNS1_3repE0EEENS1_30default_config_static_selectorELNS0_4arch9wavefront6targetE0EEEvSP_.has_dyn_sized_stack, 0
	.set _ZN7rocprim17ROCPRIM_400000_NS6detail17trampoline_kernelINS0_14default_configENS1_32segmented_reduce_config_selectorIfEEZNS1_21segmented_reduce_implIS3_PKfPfPKifN6hipcub16HIPCUB_304000_NS6detail27convert_result_type_wrapperIS8_S9_N2at6native12_GLOBAL__N_19CustomSumEEEEE10hipError_tPvRmT0_T1_jT2_SQ_T4_T3_P12ihipStream_tbEUlT_E_NS1_11comp_targetILNS1_3genE2ELNS1_11target_archE906ELNS1_3gpuE6ELNS1_3repE0EEENS1_30default_config_static_selectorELNS0_4arch9wavefront6targetE0EEEvSP_.has_recursion, 0
	.set _ZN7rocprim17ROCPRIM_400000_NS6detail17trampoline_kernelINS0_14default_configENS1_32segmented_reduce_config_selectorIfEEZNS1_21segmented_reduce_implIS3_PKfPfPKifN6hipcub16HIPCUB_304000_NS6detail27convert_result_type_wrapperIS8_S9_N2at6native12_GLOBAL__N_19CustomSumEEEEE10hipError_tPvRmT0_T1_jT2_SQ_T4_T3_P12ihipStream_tbEUlT_E_NS1_11comp_targetILNS1_3genE2ELNS1_11target_archE906ELNS1_3gpuE6ELNS1_3repE0EEENS1_30default_config_static_selectorELNS0_4arch9wavefront6targetE0EEEvSP_.has_indirect_call, 0
	.section	.AMDGPU.csdata,"",@progbits
; Kernel info:
; codeLenInByte = 0
; TotalNumSgprs: 0
; NumVgprs: 0
; ScratchSize: 0
; MemoryBound: 0
; FloatMode: 240
; IeeeMode: 1
; LDSByteSize: 0 bytes/workgroup (compile time only)
; SGPRBlocks: 0
; VGPRBlocks: 0
; NumSGPRsForWavesPerEU: 1
; NumVGPRsForWavesPerEU: 1
; Occupancy: 16
; WaveLimiterHint : 0
; COMPUTE_PGM_RSRC2:SCRATCH_EN: 0
; COMPUTE_PGM_RSRC2:USER_SGPR: 6
; COMPUTE_PGM_RSRC2:TRAP_HANDLER: 0
; COMPUTE_PGM_RSRC2:TGID_X_EN: 1
; COMPUTE_PGM_RSRC2:TGID_Y_EN: 0
; COMPUTE_PGM_RSRC2:TGID_Z_EN: 0
; COMPUTE_PGM_RSRC2:TIDIG_COMP_CNT: 0
	.section	.text._ZN7rocprim17ROCPRIM_400000_NS6detail17trampoline_kernelINS0_14default_configENS1_32segmented_reduce_config_selectorIfEEZNS1_21segmented_reduce_implIS3_PKfPfPKifN6hipcub16HIPCUB_304000_NS6detail27convert_result_type_wrapperIS8_S9_N2at6native12_GLOBAL__N_19CustomSumEEEEE10hipError_tPvRmT0_T1_jT2_SQ_T4_T3_P12ihipStream_tbEUlT_E_NS1_11comp_targetILNS1_3genE9ELNS1_11target_archE1100ELNS1_3gpuE3ELNS1_3repE0EEENS1_30default_config_static_selectorELNS0_4arch9wavefront6targetE0EEEvSP_,"axG",@progbits,_ZN7rocprim17ROCPRIM_400000_NS6detail17trampoline_kernelINS0_14default_configENS1_32segmented_reduce_config_selectorIfEEZNS1_21segmented_reduce_implIS3_PKfPfPKifN6hipcub16HIPCUB_304000_NS6detail27convert_result_type_wrapperIS8_S9_N2at6native12_GLOBAL__N_19CustomSumEEEEE10hipError_tPvRmT0_T1_jT2_SQ_T4_T3_P12ihipStream_tbEUlT_E_NS1_11comp_targetILNS1_3genE9ELNS1_11target_archE1100ELNS1_3gpuE3ELNS1_3repE0EEENS1_30default_config_static_selectorELNS0_4arch9wavefront6targetE0EEEvSP_,comdat
	.globl	_ZN7rocprim17ROCPRIM_400000_NS6detail17trampoline_kernelINS0_14default_configENS1_32segmented_reduce_config_selectorIfEEZNS1_21segmented_reduce_implIS3_PKfPfPKifN6hipcub16HIPCUB_304000_NS6detail27convert_result_type_wrapperIS8_S9_N2at6native12_GLOBAL__N_19CustomSumEEEEE10hipError_tPvRmT0_T1_jT2_SQ_T4_T3_P12ihipStream_tbEUlT_E_NS1_11comp_targetILNS1_3genE9ELNS1_11target_archE1100ELNS1_3gpuE3ELNS1_3repE0EEENS1_30default_config_static_selectorELNS0_4arch9wavefront6targetE0EEEvSP_ ; -- Begin function _ZN7rocprim17ROCPRIM_400000_NS6detail17trampoline_kernelINS0_14default_configENS1_32segmented_reduce_config_selectorIfEEZNS1_21segmented_reduce_implIS3_PKfPfPKifN6hipcub16HIPCUB_304000_NS6detail27convert_result_type_wrapperIS8_S9_N2at6native12_GLOBAL__N_19CustomSumEEEEE10hipError_tPvRmT0_T1_jT2_SQ_T4_T3_P12ihipStream_tbEUlT_E_NS1_11comp_targetILNS1_3genE9ELNS1_11target_archE1100ELNS1_3gpuE3ELNS1_3repE0EEENS1_30default_config_static_selectorELNS0_4arch9wavefront6targetE0EEEvSP_
	.p2align	8
	.type	_ZN7rocprim17ROCPRIM_400000_NS6detail17trampoline_kernelINS0_14default_configENS1_32segmented_reduce_config_selectorIfEEZNS1_21segmented_reduce_implIS3_PKfPfPKifN6hipcub16HIPCUB_304000_NS6detail27convert_result_type_wrapperIS8_S9_N2at6native12_GLOBAL__N_19CustomSumEEEEE10hipError_tPvRmT0_T1_jT2_SQ_T4_T3_P12ihipStream_tbEUlT_E_NS1_11comp_targetILNS1_3genE9ELNS1_11target_archE1100ELNS1_3gpuE3ELNS1_3repE0EEENS1_30default_config_static_selectorELNS0_4arch9wavefront6targetE0EEEvSP_,@function
_ZN7rocprim17ROCPRIM_400000_NS6detail17trampoline_kernelINS0_14default_configENS1_32segmented_reduce_config_selectorIfEEZNS1_21segmented_reduce_implIS3_PKfPfPKifN6hipcub16HIPCUB_304000_NS6detail27convert_result_type_wrapperIS8_S9_N2at6native12_GLOBAL__N_19CustomSumEEEEE10hipError_tPvRmT0_T1_jT2_SQ_T4_T3_P12ihipStream_tbEUlT_E_NS1_11comp_targetILNS1_3genE9ELNS1_11target_archE1100ELNS1_3gpuE3ELNS1_3repE0EEENS1_30default_config_static_selectorELNS0_4arch9wavefront6targetE0EEEvSP_: ; @_ZN7rocprim17ROCPRIM_400000_NS6detail17trampoline_kernelINS0_14default_configENS1_32segmented_reduce_config_selectorIfEEZNS1_21segmented_reduce_implIS3_PKfPfPKifN6hipcub16HIPCUB_304000_NS6detail27convert_result_type_wrapperIS8_S9_N2at6native12_GLOBAL__N_19CustomSumEEEEE10hipError_tPvRmT0_T1_jT2_SQ_T4_T3_P12ihipStream_tbEUlT_E_NS1_11comp_targetILNS1_3genE9ELNS1_11target_archE1100ELNS1_3gpuE3ELNS1_3repE0EEENS1_30default_config_static_selectorELNS0_4arch9wavefront6targetE0EEEvSP_
; %bb.0:
	.section	.rodata,"a",@progbits
	.p2align	6, 0x0
	.amdhsa_kernel _ZN7rocprim17ROCPRIM_400000_NS6detail17trampoline_kernelINS0_14default_configENS1_32segmented_reduce_config_selectorIfEEZNS1_21segmented_reduce_implIS3_PKfPfPKifN6hipcub16HIPCUB_304000_NS6detail27convert_result_type_wrapperIS8_S9_N2at6native12_GLOBAL__N_19CustomSumEEEEE10hipError_tPvRmT0_T1_jT2_SQ_T4_T3_P12ihipStream_tbEUlT_E_NS1_11comp_targetILNS1_3genE9ELNS1_11target_archE1100ELNS1_3gpuE3ELNS1_3repE0EEENS1_30default_config_static_selectorELNS0_4arch9wavefront6targetE0EEEvSP_
		.amdhsa_group_segment_fixed_size 0
		.amdhsa_private_segment_fixed_size 0
		.amdhsa_kernarg_size 48
		.amdhsa_user_sgpr_count 6
		.amdhsa_user_sgpr_private_segment_buffer 1
		.amdhsa_user_sgpr_dispatch_ptr 0
		.amdhsa_user_sgpr_queue_ptr 0
		.amdhsa_user_sgpr_kernarg_segment_ptr 1
		.amdhsa_user_sgpr_dispatch_id 0
		.amdhsa_user_sgpr_flat_scratch_init 0
		.amdhsa_user_sgpr_private_segment_size 0
		.amdhsa_wavefront_size32 1
		.amdhsa_uses_dynamic_stack 0
		.amdhsa_system_sgpr_private_segment_wavefront_offset 0
		.amdhsa_system_sgpr_workgroup_id_x 1
		.amdhsa_system_sgpr_workgroup_id_y 0
		.amdhsa_system_sgpr_workgroup_id_z 0
		.amdhsa_system_sgpr_workgroup_info 0
		.amdhsa_system_vgpr_workitem_id 0
		.amdhsa_next_free_vgpr 1
		.amdhsa_next_free_sgpr 1
		.amdhsa_reserve_vcc 0
		.amdhsa_reserve_flat_scratch 0
		.amdhsa_float_round_mode_32 0
		.amdhsa_float_round_mode_16_64 0
		.amdhsa_float_denorm_mode_32 3
		.amdhsa_float_denorm_mode_16_64 3
		.amdhsa_dx10_clamp 1
		.amdhsa_ieee_mode 1
		.amdhsa_fp16_overflow 0
		.amdhsa_workgroup_processor_mode 1
		.amdhsa_memory_ordered 1
		.amdhsa_forward_progress 1
		.amdhsa_shared_vgpr_count 0
		.amdhsa_exception_fp_ieee_invalid_op 0
		.amdhsa_exception_fp_denorm_src 0
		.amdhsa_exception_fp_ieee_div_zero 0
		.amdhsa_exception_fp_ieee_overflow 0
		.amdhsa_exception_fp_ieee_underflow 0
		.amdhsa_exception_fp_ieee_inexact 0
		.amdhsa_exception_int_div_zero 0
	.end_amdhsa_kernel
	.section	.text._ZN7rocprim17ROCPRIM_400000_NS6detail17trampoline_kernelINS0_14default_configENS1_32segmented_reduce_config_selectorIfEEZNS1_21segmented_reduce_implIS3_PKfPfPKifN6hipcub16HIPCUB_304000_NS6detail27convert_result_type_wrapperIS8_S9_N2at6native12_GLOBAL__N_19CustomSumEEEEE10hipError_tPvRmT0_T1_jT2_SQ_T4_T3_P12ihipStream_tbEUlT_E_NS1_11comp_targetILNS1_3genE9ELNS1_11target_archE1100ELNS1_3gpuE3ELNS1_3repE0EEENS1_30default_config_static_selectorELNS0_4arch9wavefront6targetE0EEEvSP_,"axG",@progbits,_ZN7rocprim17ROCPRIM_400000_NS6detail17trampoline_kernelINS0_14default_configENS1_32segmented_reduce_config_selectorIfEEZNS1_21segmented_reduce_implIS3_PKfPfPKifN6hipcub16HIPCUB_304000_NS6detail27convert_result_type_wrapperIS8_S9_N2at6native12_GLOBAL__N_19CustomSumEEEEE10hipError_tPvRmT0_T1_jT2_SQ_T4_T3_P12ihipStream_tbEUlT_E_NS1_11comp_targetILNS1_3genE9ELNS1_11target_archE1100ELNS1_3gpuE3ELNS1_3repE0EEENS1_30default_config_static_selectorELNS0_4arch9wavefront6targetE0EEEvSP_,comdat
.Lfunc_end57:
	.size	_ZN7rocprim17ROCPRIM_400000_NS6detail17trampoline_kernelINS0_14default_configENS1_32segmented_reduce_config_selectorIfEEZNS1_21segmented_reduce_implIS3_PKfPfPKifN6hipcub16HIPCUB_304000_NS6detail27convert_result_type_wrapperIS8_S9_N2at6native12_GLOBAL__N_19CustomSumEEEEE10hipError_tPvRmT0_T1_jT2_SQ_T4_T3_P12ihipStream_tbEUlT_E_NS1_11comp_targetILNS1_3genE9ELNS1_11target_archE1100ELNS1_3gpuE3ELNS1_3repE0EEENS1_30default_config_static_selectorELNS0_4arch9wavefront6targetE0EEEvSP_, .Lfunc_end57-_ZN7rocprim17ROCPRIM_400000_NS6detail17trampoline_kernelINS0_14default_configENS1_32segmented_reduce_config_selectorIfEEZNS1_21segmented_reduce_implIS3_PKfPfPKifN6hipcub16HIPCUB_304000_NS6detail27convert_result_type_wrapperIS8_S9_N2at6native12_GLOBAL__N_19CustomSumEEEEE10hipError_tPvRmT0_T1_jT2_SQ_T4_T3_P12ihipStream_tbEUlT_E_NS1_11comp_targetILNS1_3genE9ELNS1_11target_archE1100ELNS1_3gpuE3ELNS1_3repE0EEENS1_30default_config_static_selectorELNS0_4arch9wavefront6targetE0EEEvSP_
                                        ; -- End function
	.set _ZN7rocprim17ROCPRIM_400000_NS6detail17trampoline_kernelINS0_14default_configENS1_32segmented_reduce_config_selectorIfEEZNS1_21segmented_reduce_implIS3_PKfPfPKifN6hipcub16HIPCUB_304000_NS6detail27convert_result_type_wrapperIS8_S9_N2at6native12_GLOBAL__N_19CustomSumEEEEE10hipError_tPvRmT0_T1_jT2_SQ_T4_T3_P12ihipStream_tbEUlT_E_NS1_11comp_targetILNS1_3genE9ELNS1_11target_archE1100ELNS1_3gpuE3ELNS1_3repE0EEENS1_30default_config_static_selectorELNS0_4arch9wavefront6targetE0EEEvSP_.num_vgpr, 0
	.set _ZN7rocprim17ROCPRIM_400000_NS6detail17trampoline_kernelINS0_14default_configENS1_32segmented_reduce_config_selectorIfEEZNS1_21segmented_reduce_implIS3_PKfPfPKifN6hipcub16HIPCUB_304000_NS6detail27convert_result_type_wrapperIS8_S9_N2at6native12_GLOBAL__N_19CustomSumEEEEE10hipError_tPvRmT0_T1_jT2_SQ_T4_T3_P12ihipStream_tbEUlT_E_NS1_11comp_targetILNS1_3genE9ELNS1_11target_archE1100ELNS1_3gpuE3ELNS1_3repE0EEENS1_30default_config_static_selectorELNS0_4arch9wavefront6targetE0EEEvSP_.num_agpr, 0
	.set _ZN7rocprim17ROCPRIM_400000_NS6detail17trampoline_kernelINS0_14default_configENS1_32segmented_reduce_config_selectorIfEEZNS1_21segmented_reduce_implIS3_PKfPfPKifN6hipcub16HIPCUB_304000_NS6detail27convert_result_type_wrapperIS8_S9_N2at6native12_GLOBAL__N_19CustomSumEEEEE10hipError_tPvRmT0_T1_jT2_SQ_T4_T3_P12ihipStream_tbEUlT_E_NS1_11comp_targetILNS1_3genE9ELNS1_11target_archE1100ELNS1_3gpuE3ELNS1_3repE0EEENS1_30default_config_static_selectorELNS0_4arch9wavefront6targetE0EEEvSP_.numbered_sgpr, 0
	.set _ZN7rocprim17ROCPRIM_400000_NS6detail17trampoline_kernelINS0_14default_configENS1_32segmented_reduce_config_selectorIfEEZNS1_21segmented_reduce_implIS3_PKfPfPKifN6hipcub16HIPCUB_304000_NS6detail27convert_result_type_wrapperIS8_S9_N2at6native12_GLOBAL__N_19CustomSumEEEEE10hipError_tPvRmT0_T1_jT2_SQ_T4_T3_P12ihipStream_tbEUlT_E_NS1_11comp_targetILNS1_3genE9ELNS1_11target_archE1100ELNS1_3gpuE3ELNS1_3repE0EEENS1_30default_config_static_selectorELNS0_4arch9wavefront6targetE0EEEvSP_.num_named_barrier, 0
	.set _ZN7rocprim17ROCPRIM_400000_NS6detail17trampoline_kernelINS0_14default_configENS1_32segmented_reduce_config_selectorIfEEZNS1_21segmented_reduce_implIS3_PKfPfPKifN6hipcub16HIPCUB_304000_NS6detail27convert_result_type_wrapperIS8_S9_N2at6native12_GLOBAL__N_19CustomSumEEEEE10hipError_tPvRmT0_T1_jT2_SQ_T4_T3_P12ihipStream_tbEUlT_E_NS1_11comp_targetILNS1_3genE9ELNS1_11target_archE1100ELNS1_3gpuE3ELNS1_3repE0EEENS1_30default_config_static_selectorELNS0_4arch9wavefront6targetE0EEEvSP_.private_seg_size, 0
	.set _ZN7rocprim17ROCPRIM_400000_NS6detail17trampoline_kernelINS0_14default_configENS1_32segmented_reduce_config_selectorIfEEZNS1_21segmented_reduce_implIS3_PKfPfPKifN6hipcub16HIPCUB_304000_NS6detail27convert_result_type_wrapperIS8_S9_N2at6native12_GLOBAL__N_19CustomSumEEEEE10hipError_tPvRmT0_T1_jT2_SQ_T4_T3_P12ihipStream_tbEUlT_E_NS1_11comp_targetILNS1_3genE9ELNS1_11target_archE1100ELNS1_3gpuE3ELNS1_3repE0EEENS1_30default_config_static_selectorELNS0_4arch9wavefront6targetE0EEEvSP_.uses_vcc, 0
	.set _ZN7rocprim17ROCPRIM_400000_NS6detail17trampoline_kernelINS0_14default_configENS1_32segmented_reduce_config_selectorIfEEZNS1_21segmented_reduce_implIS3_PKfPfPKifN6hipcub16HIPCUB_304000_NS6detail27convert_result_type_wrapperIS8_S9_N2at6native12_GLOBAL__N_19CustomSumEEEEE10hipError_tPvRmT0_T1_jT2_SQ_T4_T3_P12ihipStream_tbEUlT_E_NS1_11comp_targetILNS1_3genE9ELNS1_11target_archE1100ELNS1_3gpuE3ELNS1_3repE0EEENS1_30default_config_static_selectorELNS0_4arch9wavefront6targetE0EEEvSP_.uses_flat_scratch, 0
	.set _ZN7rocprim17ROCPRIM_400000_NS6detail17trampoline_kernelINS0_14default_configENS1_32segmented_reduce_config_selectorIfEEZNS1_21segmented_reduce_implIS3_PKfPfPKifN6hipcub16HIPCUB_304000_NS6detail27convert_result_type_wrapperIS8_S9_N2at6native12_GLOBAL__N_19CustomSumEEEEE10hipError_tPvRmT0_T1_jT2_SQ_T4_T3_P12ihipStream_tbEUlT_E_NS1_11comp_targetILNS1_3genE9ELNS1_11target_archE1100ELNS1_3gpuE3ELNS1_3repE0EEENS1_30default_config_static_selectorELNS0_4arch9wavefront6targetE0EEEvSP_.has_dyn_sized_stack, 0
	.set _ZN7rocprim17ROCPRIM_400000_NS6detail17trampoline_kernelINS0_14default_configENS1_32segmented_reduce_config_selectorIfEEZNS1_21segmented_reduce_implIS3_PKfPfPKifN6hipcub16HIPCUB_304000_NS6detail27convert_result_type_wrapperIS8_S9_N2at6native12_GLOBAL__N_19CustomSumEEEEE10hipError_tPvRmT0_T1_jT2_SQ_T4_T3_P12ihipStream_tbEUlT_E_NS1_11comp_targetILNS1_3genE9ELNS1_11target_archE1100ELNS1_3gpuE3ELNS1_3repE0EEENS1_30default_config_static_selectorELNS0_4arch9wavefront6targetE0EEEvSP_.has_recursion, 0
	.set _ZN7rocprim17ROCPRIM_400000_NS6detail17trampoline_kernelINS0_14default_configENS1_32segmented_reduce_config_selectorIfEEZNS1_21segmented_reduce_implIS3_PKfPfPKifN6hipcub16HIPCUB_304000_NS6detail27convert_result_type_wrapperIS8_S9_N2at6native12_GLOBAL__N_19CustomSumEEEEE10hipError_tPvRmT0_T1_jT2_SQ_T4_T3_P12ihipStream_tbEUlT_E_NS1_11comp_targetILNS1_3genE9ELNS1_11target_archE1100ELNS1_3gpuE3ELNS1_3repE0EEENS1_30default_config_static_selectorELNS0_4arch9wavefront6targetE0EEEvSP_.has_indirect_call, 0
	.section	.AMDGPU.csdata,"",@progbits
; Kernel info:
; codeLenInByte = 0
; TotalNumSgprs: 0
; NumVgprs: 0
; ScratchSize: 0
; MemoryBound: 0
; FloatMode: 240
; IeeeMode: 1
; LDSByteSize: 0 bytes/workgroup (compile time only)
; SGPRBlocks: 0
; VGPRBlocks: 0
; NumSGPRsForWavesPerEU: 1
; NumVGPRsForWavesPerEU: 1
; Occupancy: 16
; WaveLimiterHint : 0
; COMPUTE_PGM_RSRC2:SCRATCH_EN: 0
; COMPUTE_PGM_RSRC2:USER_SGPR: 6
; COMPUTE_PGM_RSRC2:TRAP_HANDLER: 0
; COMPUTE_PGM_RSRC2:TGID_X_EN: 1
; COMPUTE_PGM_RSRC2:TGID_Y_EN: 0
; COMPUTE_PGM_RSRC2:TGID_Z_EN: 0
; COMPUTE_PGM_RSRC2:TIDIG_COMP_CNT: 0
	.section	.text._ZN7rocprim17ROCPRIM_400000_NS6detail17trampoline_kernelINS0_14default_configENS1_32segmented_reduce_config_selectorIfEEZNS1_21segmented_reduce_implIS3_PKfPfPKifN6hipcub16HIPCUB_304000_NS6detail27convert_result_type_wrapperIS8_S9_N2at6native12_GLOBAL__N_19CustomSumEEEEE10hipError_tPvRmT0_T1_jT2_SQ_T4_T3_P12ihipStream_tbEUlT_E_NS1_11comp_targetILNS1_3genE8ELNS1_11target_archE1030ELNS1_3gpuE2ELNS1_3repE0EEENS1_30default_config_static_selectorELNS0_4arch9wavefront6targetE0EEEvSP_,"axG",@progbits,_ZN7rocprim17ROCPRIM_400000_NS6detail17trampoline_kernelINS0_14default_configENS1_32segmented_reduce_config_selectorIfEEZNS1_21segmented_reduce_implIS3_PKfPfPKifN6hipcub16HIPCUB_304000_NS6detail27convert_result_type_wrapperIS8_S9_N2at6native12_GLOBAL__N_19CustomSumEEEEE10hipError_tPvRmT0_T1_jT2_SQ_T4_T3_P12ihipStream_tbEUlT_E_NS1_11comp_targetILNS1_3genE8ELNS1_11target_archE1030ELNS1_3gpuE2ELNS1_3repE0EEENS1_30default_config_static_selectorELNS0_4arch9wavefront6targetE0EEEvSP_,comdat
	.globl	_ZN7rocprim17ROCPRIM_400000_NS6detail17trampoline_kernelINS0_14default_configENS1_32segmented_reduce_config_selectorIfEEZNS1_21segmented_reduce_implIS3_PKfPfPKifN6hipcub16HIPCUB_304000_NS6detail27convert_result_type_wrapperIS8_S9_N2at6native12_GLOBAL__N_19CustomSumEEEEE10hipError_tPvRmT0_T1_jT2_SQ_T4_T3_P12ihipStream_tbEUlT_E_NS1_11comp_targetILNS1_3genE8ELNS1_11target_archE1030ELNS1_3gpuE2ELNS1_3repE0EEENS1_30default_config_static_selectorELNS0_4arch9wavefront6targetE0EEEvSP_ ; -- Begin function _ZN7rocprim17ROCPRIM_400000_NS6detail17trampoline_kernelINS0_14default_configENS1_32segmented_reduce_config_selectorIfEEZNS1_21segmented_reduce_implIS3_PKfPfPKifN6hipcub16HIPCUB_304000_NS6detail27convert_result_type_wrapperIS8_S9_N2at6native12_GLOBAL__N_19CustomSumEEEEE10hipError_tPvRmT0_T1_jT2_SQ_T4_T3_P12ihipStream_tbEUlT_E_NS1_11comp_targetILNS1_3genE8ELNS1_11target_archE1030ELNS1_3gpuE2ELNS1_3repE0EEENS1_30default_config_static_selectorELNS0_4arch9wavefront6targetE0EEEvSP_
	.p2align	8
	.type	_ZN7rocprim17ROCPRIM_400000_NS6detail17trampoline_kernelINS0_14default_configENS1_32segmented_reduce_config_selectorIfEEZNS1_21segmented_reduce_implIS3_PKfPfPKifN6hipcub16HIPCUB_304000_NS6detail27convert_result_type_wrapperIS8_S9_N2at6native12_GLOBAL__N_19CustomSumEEEEE10hipError_tPvRmT0_T1_jT2_SQ_T4_T3_P12ihipStream_tbEUlT_E_NS1_11comp_targetILNS1_3genE8ELNS1_11target_archE1030ELNS1_3gpuE2ELNS1_3repE0EEENS1_30default_config_static_selectorELNS0_4arch9wavefront6targetE0EEEvSP_,@function
_ZN7rocprim17ROCPRIM_400000_NS6detail17trampoline_kernelINS0_14default_configENS1_32segmented_reduce_config_selectorIfEEZNS1_21segmented_reduce_implIS3_PKfPfPKifN6hipcub16HIPCUB_304000_NS6detail27convert_result_type_wrapperIS8_S9_N2at6native12_GLOBAL__N_19CustomSumEEEEE10hipError_tPvRmT0_T1_jT2_SQ_T4_T3_P12ihipStream_tbEUlT_E_NS1_11comp_targetILNS1_3genE8ELNS1_11target_archE1030ELNS1_3gpuE2ELNS1_3repE0EEENS1_30default_config_static_selectorELNS0_4arch9wavefront6targetE0EEEvSP_: ; @_ZN7rocprim17ROCPRIM_400000_NS6detail17trampoline_kernelINS0_14default_configENS1_32segmented_reduce_config_selectorIfEEZNS1_21segmented_reduce_implIS3_PKfPfPKifN6hipcub16HIPCUB_304000_NS6detail27convert_result_type_wrapperIS8_S9_N2at6native12_GLOBAL__N_19CustomSumEEEEE10hipError_tPvRmT0_T1_jT2_SQ_T4_T3_P12ihipStream_tbEUlT_E_NS1_11comp_targetILNS1_3genE8ELNS1_11target_archE1030ELNS1_3gpuE2ELNS1_3repE0EEENS1_30default_config_static_selectorELNS0_4arch9wavefront6targetE0EEEvSP_
; %bb.0:
	s_clause 0x1
	s_load_dwordx8 s[16:23], s[4:5], 0x0
	s_load_dwordx2 s[0:1], s[4:5], 0x20
	s_mov_b32 s7, 0
	s_load_dword s28, s[4:5], 0x2c
	v_cmp_eq_u32_e32 vcc_lo, 0, v0
	s_waitcnt lgkmcnt(0)
	s_lshl_b64 s[20:21], s[20:21], 2
	s_add_u32 s2, s22, s20
	s_addc_u32 s3, s23, s21
	s_add_u32 s4, s0, s20
	s_addc_u32 s5, s1, s21
	s_lshl_b64 s[22:23], s[6:7], 2
	s_add_u32 s0, s2, s22
	s_addc_u32 s1, s3, s23
	s_add_u32 s2, s4, s22
	s_addc_u32 s3, s5, s23
	s_load_dword s24, s[0:1], 0x0
	s_load_dword s29, s[2:3], 0x0
	s_mov_b32 s0, -1
	s_waitcnt lgkmcnt(0)
	s_cmp_gt_i32 s29, s24
	s_cbranch_scc1 .LBB58_2
; %bb.1:
	s_mov_b32 s0, 0
	s_and_b32 s7, vcc_lo, exec_lo
.LBB58_2:
	s_andn2_b32 vcc_lo, exec_lo, s0
	s_cbranch_vccnz .LBB58_44
; %bb.3:
	s_add_i32 s0, s24, 0x1000
	s_cmp_le_i32 s0, s29
	s_cbranch_scc0 .LBB58_45
; %bb.4:
	s_ashr_i32 s25, s24, 31
	v_lshlrev_b32_e32 v18, 2, v0
	s_lshl_b64 s[2:3], s[24:25], 2
	s_add_u32 s2, s16, s2
	s_addc_u32 s3, s17, s3
	v_add_co_u32 v17, s1, s2, v18
	v_add_co_ci_u32_e64 v20, null, s3, 0, s1
	s_clause 0x1
	global_load_dword v2, v18, s[2:3]
	global_load_dword v1, v18, s[2:3] offset:1024
	v_add_co_u32 v5, vcc_lo, v17, 0x1000
	v_add_co_ci_u32_e64 v6, null, 0, v20, vcc_lo
	v_add_co_u32 v7, vcc_lo, 0x800, v17
	v_add_co_ci_u32_e64 v8, null, 0, v20, vcc_lo
	s_clause 0x1
	global_load_dword v4, v[5:6], off offset:-2048
	global_load_dword v3, v[7:8], off offset:1024
	v_add_co_u32 v7, vcc_lo, 0x1000, v17
	v_add_co_ci_u32_e64 v8, null, 0, v20, vcc_lo
	global_load_dword v5, v[5:6], off
	v_add_co_u32 v9, vcc_lo, v17, 0x2000
	v_add_co_ci_u32_e64 v10, null, 0, v20, vcc_lo
	global_load_dword v6, v[7:8], off offset:1024
	v_add_co_u32 v11, vcc_lo, 0x1800, v17
	v_add_co_ci_u32_e64 v12, null, 0, v20, vcc_lo
	s_clause 0x1
	global_load_dword v8, v[9:10], off offset:-2048
	global_load_dword v7, v[11:12], off offset:1024
	v_add_co_u32 v11, vcc_lo, 0x2000, v17
	v_add_co_ci_u32_e64 v12, null, 0, v20, vcc_lo
	global_load_dword v9, v[9:10], off
	v_add_co_u32 v13, vcc_lo, v17, 0x3000
	v_add_co_ci_u32_e64 v14, null, 0, v20, vcc_lo
	global_load_dword v10, v[11:12], off offset:1024
	v_add_co_u32 v15, vcc_lo, 0x2800, v17
	v_add_co_ci_u32_e64 v16, null, 0, v20, vcc_lo
	s_clause 0x1
	global_load_dword v12, v[13:14], off offset:-2048
	global_load_dword v11, v[15:16], off offset:1024
	v_add_co_u32 v15, vcc_lo, 0x3000, v17
	global_load_dword v13, v[13:14], off
	v_add_co_ci_u32_e64 v16, null, 0, v20, vcc_lo
	v_add_co_u32 v19, vcc_lo, 0x3800, v17
	v_add_co_ci_u32_e64 v20, null, 0, v20, vcc_lo
	s_clause 0x2
	global_load_dword v15, v[15:16], off offset:1024
	global_load_dword v16, v[19:20], off
	global_load_dword v17, v[19:20], off offset:1024
	s_add_i32 s1, s24, 0x2000
	s_cmp_ge_i32 s1, s29
	s_waitcnt vmcnt(14)
	v_add_f32_e32 v14, v2, v1
	s_waitcnt vmcnt(13)
	v_add_f32_e32 v14, v14, v4
	;; [unrolled: 2-line block ×15, first 2 shown]
	s_cbranch_scc1 .LBB58_7
; %bb.5:
	v_add_co_u32 v19, s1, s16, v18
	v_add_co_ci_u32_e64 v20, null, s17, 0, s1
.LBB58_6:                               ; =>This Inner Loop Header: Depth=1
	s_ashr_i32 s1, s0, 31
	s_lshl_b64 s[2:3], s[0:1], 2
	s_add_i32 s1, s0, 0x2000
	v_add_co_u32 v15, vcc_lo, v19, s2
	v_add_co_ci_u32_e64 v16, null, s3, v20, vcc_lo
	s_addk_i32 s0, 0x1000
	v_add_co_u32 v5, vcc_lo, v15, 0x1000
	s_clause 0x1
	global_load_dword v2, v[15:16], off
	global_load_dword v1, v[15:16], off offset:1024
	v_add_co_ci_u32_e64 v6, null, 0, v16, vcc_lo
	v_add_co_u32 v7, vcc_lo, 0x800, v15
	v_add_co_ci_u32_e64 v8, null, 0, v16, vcc_lo
	s_clause 0x1
	global_load_dword v4, v[5:6], off offset:-2048
	global_load_dword v3, v[7:8], off offset:1024
	v_add_co_u32 v7, vcc_lo, 0x1000, v15
	v_add_co_ci_u32_e64 v8, null, 0, v16, vcc_lo
	global_load_dword v5, v[5:6], off
	v_add_co_u32 v9, vcc_lo, v15, 0x2000
	v_add_co_ci_u32_e64 v10, null, 0, v16, vcc_lo
	global_load_dword v6, v[7:8], off offset:1024
	v_add_co_u32 v11, vcc_lo, 0x1800, v15
	v_add_co_ci_u32_e64 v12, null, 0, v16, vcc_lo
	s_clause 0x1
	global_load_dword v8, v[9:10], off offset:-2048
	global_load_dword v7, v[11:12], off offset:1024
	v_add_co_u32 v11, vcc_lo, 0x2000, v15
	v_add_co_ci_u32_e64 v12, null, 0, v16, vcc_lo
	global_load_dword v9, v[9:10], off
	v_add_co_u32 v21, vcc_lo, v15, 0x3000
	v_add_co_ci_u32_e64 v22, null, 0, v16, vcc_lo
	global_load_dword v10, v[11:12], off offset:1024
	v_add_co_u32 v23, vcc_lo, 0x2800, v15
	v_add_co_ci_u32_e64 v24, null, 0, v16, vcc_lo
	s_clause 0x1
	global_load_dword v12, v[21:22], off offset:-2048
	global_load_dword v11, v[23:24], off offset:1024
	v_add_co_u32 v23, vcc_lo, 0x3000, v15
	global_load_dword v13, v[21:22], off
	v_add_co_ci_u32_e64 v24, null, 0, v16, vcc_lo
	v_add_co_u32 v21, vcc_lo, 0x3800, v15
	v_add_co_ci_u32_e64 v22, null, 0, v16, vcc_lo
	s_clause 0x2
	global_load_dword v15, v[23:24], off offset:1024
	global_load_dword v16, v[21:22], off
	global_load_dword v17, v[21:22], off offset:1024
	s_cmp_lt_i32 s1, s29
	s_waitcnt vmcnt(15)
	v_add_f32_e32 v14, v14, v2
	s_waitcnt vmcnt(14)
	v_add_f32_e32 v14, v14, v1
	;; [unrolled: 2-line block ×16, first 2 shown]
	s_cbranch_scc1 .LBB58_6
.LBB58_7:
	s_ashr_i32 s1, s0, 31
	s_sub_i32 s15, s29, s0
	s_lshl_b64 s[0:1], s[0:1], 2
	v_cmp_gt_u32_e32 vcc_lo, s15, v0
	s_add_u32 s26, s16, s0
	s_addc_u32 s27, s17, s1
	s_and_saveexec_b32 s0, vcc_lo
	s_cbranch_execz .LBB58_9
; %bb.8:
	global_load_dword v2, v18, s[26:27]
.LBB58_9:
	s_or_b32 exec_lo, exec_lo, s0
	v_or_b32_e32 v19, 0x100, v0
	v_cmp_gt_u32_e64 s0, s15, v19
	s_and_saveexec_b32 s1, s0
	s_cbranch_execz .LBB58_11
; %bb.10:
	global_load_dword v1, v18, s[26:27] offset:1024
.LBB58_11:
	s_or_b32 exec_lo, exec_lo, s1
	v_or_b32_e32 v18, 0x200, v0
	v_cmp_gt_u32_e64 s1, s15, v18
	s_and_saveexec_b32 s2, s1
	s_cbranch_execz .LBB58_13
; %bb.12:
	v_lshlrev_b32_e32 v4, 2, v18
	global_load_dword v4, v4, s[26:27]
.LBB58_13:
	s_or_b32 exec_lo, exec_lo, s2
	v_or_b32_e32 v18, 0x300, v0
	v_cmp_gt_u32_e64 s2, s15, v18
	s_and_saveexec_b32 s3, s2
	s_cbranch_execz .LBB58_15
; %bb.14:
	v_lshlrev_b32_e32 v3, 2, v18
	global_load_dword v3, v3, s[26:27]
.LBB58_15:
	;; [unrolled: 9-line block ×14, first 2 shown]
	s_or_b32 exec_lo, exec_lo, s25
	s_waitcnt vmcnt(0)
	v_add_f32_e32 v2, v14, v2
	v_cndmask_b32_e32 v2, v14, v2, vcc_lo
	v_add_f32_e32 v1, v1, v2
	v_cndmask_b32_e64 v1, v2, v1, s0
	s_mov_b32 s0, exec_lo
	v_add_f32_e32 v2, v4, v1
	v_cndmask_b32_e64 v1, v1, v2, s1
	v_add_f32_e32 v2, v3, v1
	v_cndmask_b32_e64 v1, v1, v2, s2
	;; [unrolled: 2-line block ×14, first 2 shown]
	v_mov_b32_dpp v2, v1 quad_perm:[1,0,3,2] row_mask:0xf bank_mask:0xf
	v_add_f32_e32 v1, v1, v2
	v_mov_b32_dpp v2, v1 quad_perm:[2,3,0,1] row_mask:0xf bank_mask:0xf
	v_add_f32_e32 v1, v1, v2
	v_mov_b32_dpp v2, v1 row_ror:4 row_mask:0xf bank_mask:0xf
	v_add_f32_e32 v1, v1, v2
	v_mov_b32_dpp v2, v1 row_ror:8 row_mask:0xf bank_mask:0xf
	v_add_f32_e32 v1, v1, v2
	ds_swizzle_b32 v2, v1 offset:swizzle(BROADCAST,32,15)
	s_waitcnt lgkmcnt(0)
	v_add_f32_e32 v1, v1, v2
	v_mov_b32_e32 v2, 0
	ds_bpermute_b32 v2, v2, v1 offset:124
	v_mbcnt_lo_u32_b32 v1, -1, 0
	v_cmpx_eq_u32_e32 0, v1
	s_cbranch_execz .LBB58_41
; %bb.40:
	v_lshrrev_b32_e32 v3, 3, v0
	v_and_b32_e32 v3, 28, v3
	s_waitcnt lgkmcnt(0)
	ds_write_b32 v3, v2
.LBB58_41:
	s_or_b32 exec_lo, exec_lo, s0
	s_mov_b32 s0, exec_lo
	s_waitcnt lgkmcnt(0)
	s_barrier
	buffer_gl0_inv
	v_cmpx_gt_u32_e32 32, v0
	s_cbranch_execz .LBB58_43
; %bb.42:
	v_and_b32_e32 v2, 7, v1
	v_lshlrev_b32_e32 v3, 2, v2
	v_cmp_ne_u32_e32 vcc_lo, 7, v2
	ds_read_b32 v3, v3
	v_add_co_ci_u32_e64 v4, null, 0, v1, vcc_lo
	v_cmp_gt_u32_e32 vcc_lo, 6, v2
	v_lshlrev_b32_e32 v4, 2, v4
	v_cndmask_b32_e64 v2, 0, 2, vcc_lo
	v_add_lshl_u32 v2, v2, v1, 2
	v_lshlrev_b32_e32 v1, 2, v1
	v_or_b32_e32 v1, 16, v1
	s_waitcnt lgkmcnt(0)
	ds_bpermute_b32 v4, v4, v3
	s_waitcnt lgkmcnt(0)
	v_add_f32_e32 v3, v3, v4
	ds_bpermute_b32 v2, v2, v3
	s_waitcnt lgkmcnt(0)
	v_add_f32_e32 v2, v3, v2
	;; [unrolled: 3-line block ×3, first 2 shown]
.LBB58_43:
	s_or_b32 exec_lo, exec_lo, s0
	s_branch .LBB58_64
.LBB58_44:
	v_mov_b32_e32 v1, s28
	s_and_saveexec_b32 s0, s7
	s_cbranch_execnz .LBB58_67
	s_branch .LBB58_68
.LBB58_45:
                                        ; implicit-def: $vgpr2
	s_cbranch_execz .LBB58_64
; %bb.46:
	s_sub_i32 s2, s29, s24
	s_mov_b32 s0, exec_lo
                                        ; implicit-def: $vgpr3
	v_cmpx_gt_u32_e64 s2, v0
	s_cbranch_execz .LBB58_52
; %bb.47:
	v_add_nc_u32_e32 v1, s24, v0
	s_mov_b32 s1, exec_lo
	v_ashrrev_i32_e32 v2, 31, v1
	v_lshlrev_b64 v[2:3], 2, v[1:2]
	v_add_nc_u32_e32 v1, 0x100, v1
	v_add_co_u32 v2, vcc_lo, s16, v2
	v_add_co_ci_u32_e64 v3, null, s17, v3, vcc_lo
	global_load_dword v3, v[2:3], off
	v_cmpx_gt_i32_e64 s29, v1
	s_cbranch_execz .LBB58_51
; %bb.48:
	s_mov_b32 s3, 0
.LBB58_49:                              ; =>This Inner Loop Header: Depth=1
	v_ashrrev_i32_e32 v2, 31, v1
	v_lshlrev_b64 v[4:5], 2, v[1:2]
	v_add_nc_u32_e32 v1, 0x100, v1
	v_add_co_u32 v4, vcc_lo, s16, v4
	v_add_co_ci_u32_e64 v5, null, s17, v5, vcc_lo
	v_cmp_le_i32_e32 vcc_lo, s29, v1
	global_load_dword v2, v[4:5], off
	s_or_b32 s3, vcc_lo, s3
	s_waitcnt vmcnt(0)
	v_add_f32_e32 v3, v3, v2
	s_andn2_b32 exec_lo, exec_lo, s3
	s_cbranch_execnz .LBB58_49
; %bb.50:
	s_or_b32 exec_lo, exec_lo, s3
.LBB58_51:
	s_or_b32 exec_lo, exec_lo, s1
.LBB58_52:
	s_or_b32 exec_lo, exec_lo, s0
	v_mbcnt_lo_u32_b32 v1, -1, 0
	s_cmpk_lt_u32 s2, 0x100
	s_mov_b32 s0, -1
                                        ; implicit-def: $vgpr2
	v_cmp_eq_u32_e32 vcc_lo, 0, v1
	s_cbranch_scc0 .LBB58_58
; %bb.53:
	v_cmp_ne_u32_e64 s0, 31, v1
	v_and_b32_e32 v4, 0xe0, v0
	v_add_nc_u32_e32 v5, 1, v1
	v_cmp_gt_u32_e64 s1, 28, v1
	v_add_co_ci_u32_e64 v2, null, 0, v1, s0
	v_cmp_gt_u32_e64 s0, 30, v1
	v_sub_nc_u32_e64 v7, s2, v4 clamp
	v_lshlrev_b32_e32 v2, 2, v2
	v_cndmask_b32_e64 v6, 0, 2, s0
	v_cmp_lt_u32_e64 s0, v5, v7
	v_cndmask_b32_e64 v5, 0, 4, s1
	s_waitcnt vmcnt(0)
	ds_bpermute_b32 v2, v2, v3
	v_add_lshl_u32 v4, v6, v1, 2
	v_add_nc_u32_e32 v6, 2, v1
	v_add_lshl_u32 v5, v5, v1, 2
	v_cmp_lt_u32_e64 s1, v6, v7
	v_add_nc_u32_e32 v6, 4, v1
	s_waitcnt lgkmcnt(0)
	v_add_f32_e32 v2, v3, v2
	v_cndmask_b32_e64 v2, v3, v2, s0
	ds_bpermute_b32 v4, v4, v2
	s_waitcnt lgkmcnt(0)
	v_add_f32_e32 v4, v2, v4
	v_cndmask_b32_e64 v2, v2, v4, s1
	v_cmp_gt_u32_e64 s1, 24, v1
	ds_bpermute_b32 v4, v5, v2
	v_cndmask_b32_e64 v5, 0, 8, s1
	v_cmp_lt_u32_e64 s1, v6, v7
	v_add_lshl_u32 v5, v5, v1, 2
	s_waitcnt lgkmcnt(0)
	v_add_f32_e32 v4, v2, v4
	v_cndmask_b32_e64 v2, v2, v4, s1
	ds_bpermute_b32 v4, v5, v2
	v_add_nc_u32_e32 v5, 8, v1
	v_cmp_lt_u32_e64 s1, v5, v7
	s_waitcnt lgkmcnt(0)
	v_add_f32_e32 v6, v2, v4
	v_lshlrev_b32_e32 v4, 2, v1
	v_cndmask_b32_e64 v2, v2, v6, s1
	v_or_b32_e32 v5, 64, v4
	v_add_nc_u32_e32 v6, 16, v1
	ds_bpermute_b32 v5, v5, v2
	v_cmp_lt_u32_e64 s1, v6, v7
	s_waitcnt lgkmcnt(0)
	v_add_f32_e32 v5, v2, v5
	v_cndmask_b32_e64 v2, v2, v5, s1
	v_cndmask_b32_e64 v2, v3, v2, s0
	s_and_saveexec_b32 s0, vcc_lo
; %bb.54:
	v_lshrrev_b32_e32 v5, 3, v0
	v_and_b32_e32 v5, 28, v5
	ds_write_b32 v5, v2
; %bb.55:
	s_or_b32 exec_lo, exec_lo, s0
	s_mov_b32 s1, exec_lo
	s_waitcnt lgkmcnt(0)
	s_barrier
	buffer_gl0_inv
	v_cmpx_gt_u32_e32 8, v0
	s_cbranch_execz .LBB58_57
; %bb.56:
	ds_read_b32 v2, v4
	v_and_b32_e32 v5, 7, v1
	s_add_i32 s2, s2, 31
	v_or_b32_e32 v4, 16, v4
	s_lshr_b32 s2, s2, 5
	v_cmp_ne_u32_e32 vcc_lo, 7, v5
	v_add_nc_u32_e32 v8, 1, v5
	v_add_co_ci_u32_e64 v6, null, 0, v1, vcc_lo
	v_cmp_gt_u32_e32 vcc_lo, 6, v5
	v_lshlrev_b32_e32 v6, 2, v6
	v_cndmask_b32_e64 v7, 0, 2, vcc_lo
	v_cmp_gt_u32_e32 vcc_lo, s2, v8
	v_add_nc_u32_e32 v8, 2, v5
	s_waitcnt lgkmcnt(0)
	ds_bpermute_b32 v6, v6, v2
	v_add_nc_u32_e32 v5, 4, v5
	v_add_lshl_u32 v7, v7, v1, 2
	v_cmp_gt_u32_e64 s0, s2, v8
	s_waitcnt lgkmcnt(0)
	v_add_f32_e32 v6, v2, v6
	v_cndmask_b32_e32 v6, v2, v6, vcc_lo
	ds_bpermute_b32 v7, v7, v6
	s_waitcnt lgkmcnt(0)
	v_add_f32_e32 v7, v6, v7
	v_cndmask_b32_e64 v6, v6, v7, s0
	v_cmp_gt_u32_e64 s0, s2, v5
	ds_bpermute_b32 v4, v4, v6
	s_waitcnt lgkmcnt(0)
	v_add_f32_e32 v4, v6, v4
	v_cndmask_b32_e64 v4, v6, v4, s0
	v_cndmask_b32_e32 v2, v2, v4, vcc_lo
.LBB58_57:
	s_or_b32 exec_lo, exec_lo, s1
	s_mov_b32 s0, 0
.LBB58_58:
	s_and_b32 vcc_lo, exec_lo, s0
	s_cbranch_vccz .LBB58_64
; %bb.59:
	s_waitcnt vmcnt(0)
	v_mov_b32_dpp v2, v3 quad_perm:[1,0,3,2] row_mask:0xf bank_mask:0xf
	s_mov_b32 s0, exec_lo
	v_add_f32_e32 v2, v3, v2
	v_mov_b32_dpp v3, v2 quad_perm:[2,3,0,1] row_mask:0xf bank_mask:0xf
	v_add_f32_e32 v2, v2, v3
	v_mov_b32_dpp v3, v2 row_ror:4 row_mask:0xf bank_mask:0xf
	v_add_f32_e32 v2, v2, v3
	v_mov_b32_dpp v3, v2 row_ror:8 row_mask:0xf bank_mask:0xf
	v_add_f32_e32 v2, v2, v3
	ds_swizzle_b32 v3, v2 offset:swizzle(BROADCAST,32,15)
	s_waitcnt lgkmcnt(0)
	v_add_f32_e32 v2, v2, v3
	v_mov_b32_e32 v3, 0
	ds_bpermute_b32 v2, v3, v2 offset:124
	v_cmpx_eq_u32_e32 0, v1
	s_cbranch_execz .LBB58_61
; %bb.60:
	v_lshrrev_b32_e32 v3, 3, v0
	v_and_b32_e32 v3, 28, v3
	s_waitcnt lgkmcnt(0)
	ds_write_b32 v3, v2
.LBB58_61:
	s_or_b32 exec_lo, exec_lo, s0
	s_mov_b32 s0, exec_lo
	s_waitcnt lgkmcnt(0)
	s_barrier
	buffer_gl0_inv
	v_cmpx_gt_u32_e32 32, v0
	s_cbranch_execz .LBB58_63
; %bb.62:
	v_and_b32_e32 v2, 7, v1
	v_lshlrev_b32_e32 v3, 2, v2
	v_cmp_ne_u32_e32 vcc_lo, 7, v2
	ds_read_b32 v3, v3
	v_add_co_ci_u32_e64 v4, null, 0, v1, vcc_lo
	v_cmp_gt_u32_e32 vcc_lo, 6, v2
	v_lshlrev_b32_e32 v4, 2, v4
	v_cndmask_b32_e64 v2, 0, 2, vcc_lo
	v_add_lshl_u32 v2, v2, v1, 2
	v_lshlrev_b32_e32 v1, 2, v1
	v_or_b32_e32 v1, 16, v1
	s_waitcnt lgkmcnt(0)
	ds_bpermute_b32 v4, v4, v3
	s_waitcnt lgkmcnt(0)
	v_add_f32_e32 v3, v3, v4
	ds_bpermute_b32 v2, v2, v3
	s_waitcnt lgkmcnt(0)
	v_add_f32_e32 v2, v3, v2
	;; [unrolled: 3-line block ×3, first 2 shown]
.LBB58_63:
	s_or_b32 exec_lo, exec_lo, s0
.LBB58_64:
	s_mov_b32 s0, exec_lo
                                        ; implicit-def: $vgpr1
	v_cmpx_eq_u32_e32 0, v0
; %bb.65:
	v_add_f32_e32 v1, s28, v2
	s_or_b32 s7, s7, exec_lo
; %bb.66:
	s_or_b32 exec_lo, exec_lo, s0
	s_and_saveexec_b32 s0, s7
	s_cbranch_execz .LBB58_68
.LBB58_67:
	s_add_u32 s0, s18, s20
	v_mov_b32_e32 v0, 0
	s_addc_u32 s1, s19, s21
	s_add_u32 s0, s0, s22
	s_addc_u32 s1, s1, s23
	global_store_dword v0, v1, s[0:1]
.LBB58_68:
	s_endpgm
	.section	.rodata,"a",@progbits
	.p2align	6, 0x0
	.amdhsa_kernel _ZN7rocprim17ROCPRIM_400000_NS6detail17trampoline_kernelINS0_14default_configENS1_32segmented_reduce_config_selectorIfEEZNS1_21segmented_reduce_implIS3_PKfPfPKifN6hipcub16HIPCUB_304000_NS6detail27convert_result_type_wrapperIS8_S9_N2at6native12_GLOBAL__N_19CustomSumEEEEE10hipError_tPvRmT0_T1_jT2_SQ_T4_T3_P12ihipStream_tbEUlT_E_NS1_11comp_targetILNS1_3genE8ELNS1_11target_archE1030ELNS1_3gpuE2ELNS1_3repE0EEENS1_30default_config_static_selectorELNS0_4arch9wavefront6targetE0EEEvSP_
		.amdhsa_group_segment_fixed_size 32
		.amdhsa_private_segment_fixed_size 0
		.amdhsa_kernarg_size 48
		.amdhsa_user_sgpr_count 6
		.amdhsa_user_sgpr_private_segment_buffer 1
		.amdhsa_user_sgpr_dispatch_ptr 0
		.amdhsa_user_sgpr_queue_ptr 0
		.amdhsa_user_sgpr_kernarg_segment_ptr 1
		.amdhsa_user_sgpr_dispatch_id 0
		.amdhsa_user_sgpr_flat_scratch_init 0
		.amdhsa_user_sgpr_private_segment_size 0
		.amdhsa_wavefront_size32 1
		.amdhsa_uses_dynamic_stack 0
		.amdhsa_system_sgpr_private_segment_wavefront_offset 0
		.amdhsa_system_sgpr_workgroup_id_x 1
		.amdhsa_system_sgpr_workgroup_id_y 0
		.amdhsa_system_sgpr_workgroup_id_z 0
		.amdhsa_system_sgpr_workgroup_info 0
		.amdhsa_system_vgpr_workitem_id 0
		.amdhsa_next_free_vgpr 25
		.amdhsa_next_free_sgpr 30
		.amdhsa_reserve_vcc 1
		.amdhsa_reserve_flat_scratch 0
		.amdhsa_float_round_mode_32 0
		.amdhsa_float_round_mode_16_64 0
		.amdhsa_float_denorm_mode_32 3
		.amdhsa_float_denorm_mode_16_64 3
		.amdhsa_dx10_clamp 1
		.amdhsa_ieee_mode 1
		.amdhsa_fp16_overflow 0
		.amdhsa_workgroup_processor_mode 1
		.amdhsa_memory_ordered 1
		.amdhsa_forward_progress 1
		.amdhsa_shared_vgpr_count 0
		.amdhsa_exception_fp_ieee_invalid_op 0
		.amdhsa_exception_fp_denorm_src 0
		.amdhsa_exception_fp_ieee_div_zero 0
		.amdhsa_exception_fp_ieee_overflow 0
		.amdhsa_exception_fp_ieee_underflow 0
		.amdhsa_exception_fp_ieee_inexact 0
		.amdhsa_exception_int_div_zero 0
	.end_amdhsa_kernel
	.section	.text._ZN7rocprim17ROCPRIM_400000_NS6detail17trampoline_kernelINS0_14default_configENS1_32segmented_reduce_config_selectorIfEEZNS1_21segmented_reduce_implIS3_PKfPfPKifN6hipcub16HIPCUB_304000_NS6detail27convert_result_type_wrapperIS8_S9_N2at6native12_GLOBAL__N_19CustomSumEEEEE10hipError_tPvRmT0_T1_jT2_SQ_T4_T3_P12ihipStream_tbEUlT_E_NS1_11comp_targetILNS1_3genE8ELNS1_11target_archE1030ELNS1_3gpuE2ELNS1_3repE0EEENS1_30default_config_static_selectorELNS0_4arch9wavefront6targetE0EEEvSP_,"axG",@progbits,_ZN7rocprim17ROCPRIM_400000_NS6detail17trampoline_kernelINS0_14default_configENS1_32segmented_reduce_config_selectorIfEEZNS1_21segmented_reduce_implIS3_PKfPfPKifN6hipcub16HIPCUB_304000_NS6detail27convert_result_type_wrapperIS8_S9_N2at6native12_GLOBAL__N_19CustomSumEEEEE10hipError_tPvRmT0_T1_jT2_SQ_T4_T3_P12ihipStream_tbEUlT_E_NS1_11comp_targetILNS1_3genE8ELNS1_11target_archE1030ELNS1_3gpuE2ELNS1_3repE0EEENS1_30default_config_static_selectorELNS0_4arch9wavefront6targetE0EEEvSP_,comdat
.Lfunc_end58:
	.size	_ZN7rocprim17ROCPRIM_400000_NS6detail17trampoline_kernelINS0_14default_configENS1_32segmented_reduce_config_selectorIfEEZNS1_21segmented_reduce_implIS3_PKfPfPKifN6hipcub16HIPCUB_304000_NS6detail27convert_result_type_wrapperIS8_S9_N2at6native12_GLOBAL__N_19CustomSumEEEEE10hipError_tPvRmT0_T1_jT2_SQ_T4_T3_P12ihipStream_tbEUlT_E_NS1_11comp_targetILNS1_3genE8ELNS1_11target_archE1030ELNS1_3gpuE2ELNS1_3repE0EEENS1_30default_config_static_selectorELNS0_4arch9wavefront6targetE0EEEvSP_, .Lfunc_end58-_ZN7rocprim17ROCPRIM_400000_NS6detail17trampoline_kernelINS0_14default_configENS1_32segmented_reduce_config_selectorIfEEZNS1_21segmented_reduce_implIS3_PKfPfPKifN6hipcub16HIPCUB_304000_NS6detail27convert_result_type_wrapperIS8_S9_N2at6native12_GLOBAL__N_19CustomSumEEEEE10hipError_tPvRmT0_T1_jT2_SQ_T4_T3_P12ihipStream_tbEUlT_E_NS1_11comp_targetILNS1_3genE8ELNS1_11target_archE1030ELNS1_3gpuE2ELNS1_3repE0EEENS1_30default_config_static_selectorELNS0_4arch9wavefront6targetE0EEEvSP_
                                        ; -- End function
	.set _ZN7rocprim17ROCPRIM_400000_NS6detail17trampoline_kernelINS0_14default_configENS1_32segmented_reduce_config_selectorIfEEZNS1_21segmented_reduce_implIS3_PKfPfPKifN6hipcub16HIPCUB_304000_NS6detail27convert_result_type_wrapperIS8_S9_N2at6native12_GLOBAL__N_19CustomSumEEEEE10hipError_tPvRmT0_T1_jT2_SQ_T4_T3_P12ihipStream_tbEUlT_E_NS1_11comp_targetILNS1_3genE8ELNS1_11target_archE1030ELNS1_3gpuE2ELNS1_3repE0EEENS1_30default_config_static_selectorELNS0_4arch9wavefront6targetE0EEEvSP_.num_vgpr, 25
	.set _ZN7rocprim17ROCPRIM_400000_NS6detail17trampoline_kernelINS0_14default_configENS1_32segmented_reduce_config_selectorIfEEZNS1_21segmented_reduce_implIS3_PKfPfPKifN6hipcub16HIPCUB_304000_NS6detail27convert_result_type_wrapperIS8_S9_N2at6native12_GLOBAL__N_19CustomSumEEEEE10hipError_tPvRmT0_T1_jT2_SQ_T4_T3_P12ihipStream_tbEUlT_E_NS1_11comp_targetILNS1_3genE8ELNS1_11target_archE1030ELNS1_3gpuE2ELNS1_3repE0EEENS1_30default_config_static_selectorELNS0_4arch9wavefront6targetE0EEEvSP_.num_agpr, 0
	.set _ZN7rocprim17ROCPRIM_400000_NS6detail17trampoline_kernelINS0_14default_configENS1_32segmented_reduce_config_selectorIfEEZNS1_21segmented_reduce_implIS3_PKfPfPKifN6hipcub16HIPCUB_304000_NS6detail27convert_result_type_wrapperIS8_S9_N2at6native12_GLOBAL__N_19CustomSumEEEEE10hipError_tPvRmT0_T1_jT2_SQ_T4_T3_P12ihipStream_tbEUlT_E_NS1_11comp_targetILNS1_3genE8ELNS1_11target_archE1030ELNS1_3gpuE2ELNS1_3repE0EEENS1_30default_config_static_selectorELNS0_4arch9wavefront6targetE0EEEvSP_.numbered_sgpr, 30
	.set _ZN7rocprim17ROCPRIM_400000_NS6detail17trampoline_kernelINS0_14default_configENS1_32segmented_reduce_config_selectorIfEEZNS1_21segmented_reduce_implIS3_PKfPfPKifN6hipcub16HIPCUB_304000_NS6detail27convert_result_type_wrapperIS8_S9_N2at6native12_GLOBAL__N_19CustomSumEEEEE10hipError_tPvRmT0_T1_jT2_SQ_T4_T3_P12ihipStream_tbEUlT_E_NS1_11comp_targetILNS1_3genE8ELNS1_11target_archE1030ELNS1_3gpuE2ELNS1_3repE0EEENS1_30default_config_static_selectorELNS0_4arch9wavefront6targetE0EEEvSP_.num_named_barrier, 0
	.set _ZN7rocprim17ROCPRIM_400000_NS6detail17trampoline_kernelINS0_14default_configENS1_32segmented_reduce_config_selectorIfEEZNS1_21segmented_reduce_implIS3_PKfPfPKifN6hipcub16HIPCUB_304000_NS6detail27convert_result_type_wrapperIS8_S9_N2at6native12_GLOBAL__N_19CustomSumEEEEE10hipError_tPvRmT0_T1_jT2_SQ_T4_T3_P12ihipStream_tbEUlT_E_NS1_11comp_targetILNS1_3genE8ELNS1_11target_archE1030ELNS1_3gpuE2ELNS1_3repE0EEENS1_30default_config_static_selectorELNS0_4arch9wavefront6targetE0EEEvSP_.private_seg_size, 0
	.set _ZN7rocprim17ROCPRIM_400000_NS6detail17trampoline_kernelINS0_14default_configENS1_32segmented_reduce_config_selectorIfEEZNS1_21segmented_reduce_implIS3_PKfPfPKifN6hipcub16HIPCUB_304000_NS6detail27convert_result_type_wrapperIS8_S9_N2at6native12_GLOBAL__N_19CustomSumEEEEE10hipError_tPvRmT0_T1_jT2_SQ_T4_T3_P12ihipStream_tbEUlT_E_NS1_11comp_targetILNS1_3genE8ELNS1_11target_archE1030ELNS1_3gpuE2ELNS1_3repE0EEENS1_30default_config_static_selectorELNS0_4arch9wavefront6targetE0EEEvSP_.uses_vcc, 1
	.set _ZN7rocprim17ROCPRIM_400000_NS6detail17trampoline_kernelINS0_14default_configENS1_32segmented_reduce_config_selectorIfEEZNS1_21segmented_reduce_implIS3_PKfPfPKifN6hipcub16HIPCUB_304000_NS6detail27convert_result_type_wrapperIS8_S9_N2at6native12_GLOBAL__N_19CustomSumEEEEE10hipError_tPvRmT0_T1_jT2_SQ_T4_T3_P12ihipStream_tbEUlT_E_NS1_11comp_targetILNS1_3genE8ELNS1_11target_archE1030ELNS1_3gpuE2ELNS1_3repE0EEENS1_30default_config_static_selectorELNS0_4arch9wavefront6targetE0EEEvSP_.uses_flat_scratch, 0
	.set _ZN7rocprim17ROCPRIM_400000_NS6detail17trampoline_kernelINS0_14default_configENS1_32segmented_reduce_config_selectorIfEEZNS1_21segmented_reduce_implIS3_PKfPfPKifN6hipcub16HIPCUB_304000_NS6detail27convert_result_type_wrapperIS8_S9_N2at6native12_GLOBAL__N_19CustomSumEEEEE10hipError_tPvRmT0_T1_jT2_SQ_T4_T3_P12ihipStream_tbEUlT_E_NS1_11comp_targetILNS1_3genE8ELNS1_11target_archE1030ELNS1_3gpuE2ELNS1_3repE0EEENS1_30default_config_static_selectorELNS0_4arch9wavefront6targetE0EEEvSP_.has_dyn_sized_stack, 0
	.set _ZN7rocprim17ROCPRIM_400000_NS6detail17trampoline_kernelINS0_14default_configENS1_32segmented_reduce_config_selectorIfEEZNS1_21segmented_reduce_implIS3_PKfPfPKifN6hipcub16HIPCUB_304000_NS6detail27convert_result_type_wrapperIS8_S9_N2at6native12_GLOBAL__N_19CustomSumEEEEE10hipError_tPvRmT0_T1_jT2_SQ_T4_T3_P12ihipStream_tbEUlT_E_NS1_11comp_targetILNS1_3genE8ELNS1_11target_archE1030ELNS1_3gpuE2ELNS1_3repE0EEENS1_30default_config_static_selectorELNS0_4arch9wavefront6targetE0EEEvSP_.has_recursion, 0
	.set _ZN7rocprim17ROCPRIM_400000_NS6detail17trampoline_kernelINS0_14default_configENS1_32segmented_reduce_config_selectorIfEEZNS1_21segmented_reduce_implIS3_PKfPfPKifN6hipcub16HIPCUB_304000_NS6detail27convert_result_type_wrapperIS8_S9_N2at6native12_GLOBAL__N_19CustomSumEEEEE10hipError_tPvRmT0_T1_jT2_SQ_T4_T3_P12ihipStream_tbEUlT_E_NS1_11comp_targetILNS1_3genE8ELNS1_11target_archE1030ELNS1_3gpuE2ELNS1_3repE0EEENS1_30default_config_static_selectorELNS0_4arch9wavefront6targetE0EEEvSP_.has_indirect_call, 0
	.section	.AMDGPU.csdata,"",@progbits
; Kernel info:
; codeLenInByte = 3376
; TotalNumSgprs: 32
; NumVgprs: 25
; ScratchSize: 0
; MemoryBound: 0
; FloatMode: 240
; IeeeMode: 1
; LDSByteSize: 32 bytes/workgroup (compile time only)
; SGPRBlocks: 0
; VGPRBlocks: 3
; NumSGPRsForWavesPerEU: 32
; NumVGPRsForWavesPerEU: 25
; Occupancy: 16
; WaveLimiterHint : 1
; COMPUTE_PGM_RSRC2:SCRATCH_EN: 0
; COMPUTE_PGM_RSRC2:USER_SGPR: 6
; COMPUTE_PGM_RSRC2:TRAP_HANDLER: 0
; COMPUTE_PGM_RSRC2:TGID_X_EN: 1
; COMPUTE_PGM_RSRC2:TGID_Y_EN: 0
; COMPUTE_PGM_RSRC2:TGID_Z_EN: 0
; COMPUTE_PGM_RSRC2:TIDIG_COMP_CNT: 0
	.section	.text._ZN2at6native12_GLOBAL__N_119post_sum_div_kernelIfiEEvPT_PKT0_lbS3_,"axG",@progbits,_ZN2at6native12_GLOBAL__N_119post_sum_div_kernelIfiEEvPT_PKT0_lbS3_,comdat
	.globl	_ZN2at6native12_GLOBAL__N_119post_sum_div_kernelIfiEEvPT_PKT0_lbS3_ ; -- Begin function _ZN2at6native12_GLOBAL__N_119post_sum_div_kernelIfiEEvPT_PKT0_lbS3_
	.p2align	8
	.type	_ZN2at6native12_GLOBAL__N_119post_sum_div_kernelIfiEEvPT_PKT0_lbS3_,@function
_ZN2at6native12_GLOBAL__N_119post_sum_div_kernelIfiEEvPT_PKT0_lbS3_: ; @_ZN2at6native12_GLOBAL__N_119post_sum_div_kernelIfiEEvPT_PKT0_lbS3_
; %bb.0:
	s_clause 0x1
	s_load_dword s7, s[4:5], 0x2c
	s_load_dwordx2 s[2:3], s[4:5], 0x10
	v_mov_b32_e32 v1, 0
	s_add_u32 s0, s4, 32
	s_addc_u32 s1, s5, 0
	s_waitcnt lgkmcnt(0)
	s_and_b32 s8, s7, 0xffff
	v_mad_u64_u32 v[2:3], null, s8, s6, v[0:1]
	s_mov_b32 s6, exec_lo
	v_cmpx_gt_i64_e64 s[2:3], v[2:3]
	s_cbranch_execz .LBB59_12
; %bb.1:
	s_load_dwordx2 s[10:11], s[4:5], 0x18
	s_load_dword s0, s[0:1], 0x0
	s_load_dwordx4 s[4:7], s[4:5], 0x0
	v_mov_b32_e32 v0, v1
	v_mov_b32_e32 v1, v2
	s_mov_b32 s1, 0
                                        ; implicit-def: $sgpr9
                                        ; implicit-def: $sgpr12
	s_waitcnt lgkmcnt(0)
	v_mov_b32_e32 v4, s11
	s_bitcmp1_b32 s10, 0
	s_mul_i32 s8, s0, s8
	s_cselect_b32 vcc_lo, -1, 0
	s_mov_b32 s10, s8
	v_cndmask_b32_e32 v6, 0x7fc00000, v4, vcc_lo
                                        ; implicit-def: $sgpr11
.LBB59_2:                               ; =>This Inner Loop Header: Depth=1
	v_ashrrev_i64 v[4:5], 30, v[0:1]
	s_or_b32 s11, s11, exec_lo
	s_or_b32 s12, s12, exec_lo
	s_mov_b32 s13, exec_lo
	v_add_co_u32 v4, vcc_lo, s6, v4
	v_add_co_ci_u32_e64 v5, null, s7, v5, vcc_lo
	global_load_dword v7, v[4:5], off
	s_waitcnt vmcnt(0)
	v_cmpx_lt_i32_e32 -1, v7
	s_cbranch_execz .LBB59_10
; %bb.3:                                ;   in Loop: Header=BB59_2 Depth=1
	v_ashrrev_i32_e32 v5, 31, v1
	v_mov_b32_e32 v4, v1
	v_mov_b32_e32 v8, v6
	s_mov_b32 s14, -1
	v_lshlrev_b64 v[4:5], 2, v[4:5]
	v_add_co_u32 v4, s0, s4, v4
	v_add_co_ci_u32_e64 v5, null, s5, v5, s0
	s_mov_b32 s0, exec_lo
	v_cmpx_ne_u32_e32 0, v7
	s_cbranch_execz .LBB59_7
; %bb.4:                                ;   in Loop: Header=BB59_2 Depth=1
	global_load_dword v9, v[4:5], off
	s_mov_b32 s14, 0
	s_mov_b32 s15, exec_lo
                                        ; implicit-def: $vgpr8
	s_waitcnt vmcnt(0)
	v_cmpx_o_f32_e32 v9, v9
	s_cbranch_execz .LBB59_6
; %bb.5:                                ;   in Loop: Header=BB59_2 Depth=1
	v_cvt_f32_u32_e32 v7, v7
	s_mov_b32 s14, exec_lo
	v_div_scale_f32 v8, null, v7, v7, v9
	v_rcp_f32_e32 v10, v8
	v_fma_f32 v11, -v8, v10, 1.0
	v_fmac_f32_e32 v10, v11, v10
	v_div_scale_f32 v11, vcc_lo, v9, v7, v9
	v_mul_f32_e32 v12, v11, v10
	v_fma_f32 v13, -v8, v12, v11
	v_fmac_f32_e32 v12, v13, v10
	v_fma_f32 v8, -v8, v12, v11
	v_div_fmas_f32 v8, v8, v10, v12
	v_div_fixup_f32 v8, v8, v7, v9
.LBB59_6:                               ;   in Loop: Header=BB59_2 Depth=1
	s_or_b32 exec_lo, exec_lo, s15
	s_orn2_b32 s14, s14, exec_lo
.LBB59_7:                               ;   in Loop: Header=BB59_2 Depth=1
	s_or_b32 exec_lo, exec_lo, s0
	s_and_saveexec_b32 s0, s14
	s_cbranch_execz .LBB59_9
; %bb.8:                                ;   in Loop: Header=BB59_2 Depth=1
	global_store_dword v[4:5], v8, off
.LBB59_9:                               ;   in Loop: Header=BB59_2 Depth=1
	s_or_b32 exec_lo, exec_lo, s0
	v_add_co_u32 v2, vcc_lo, v2, s8
	v_add_co_ci_u32_e64 v3, null, 0, v3, vcc_lo
	v_add_co_u32 v0, s0, v0, 0
	v_add_co_ci_u32_e64 v1, null, s10, v1, s0
	v_cmp_le_i64_e32 vcc_lo, s[2:3], v[2:3]
	s_andn2_b32 s0, s12, exec_lo
	s_andn2_b32 s11, s11, exec_lo
	s_and_b32 s12, vcc_lo, exec_lo
	s_or_b32 s12, s0, s12
.LBB59_10:                              ;   in Loop: Header=BB59_2 Depth=1
	s_or_b32 exec_lo, exec_lo, s13
	s_and_b32 s0, exec_lo, s12
	s_or_b32 s1, s0, s1
	s_andn2_b32 s0, s9, exec_lo
	s_and_b32 s9, s11, exec_lo
	s_or_b32 s9, s0, s9
	s_andn2_b32 exec_lo, exec_lo, s1
	s_cbranch_execnz .LBB59_2
; %bb.11:
	s_or_b32 exec_lo, exec_lo, s1
	s_and_saveexec_b32 s0, s9
	s_xor_b32 s0, exec_lo, s0
	s_cbranch_execnz .LBB59_13
.LBB59_12:
	s_endpgm
.LBB59_13:
	s_trap 2
	; divergent unreachable
	s_endpgm
	.section	.rodata,"a",@progbits
	.p2align	6, 0x0
	.amdhsa_kernel _ZN2at6native12_GLOBAL__N_119post_sum_div_kernelIfiEEvPT_PKT0_lbS3_
		.amdhsa_group_segment_fixed_size 0
		.amdhsa_private_segment_fixed_size 0
		.amdhsa_kernarg_size 288
		.amdhsa_user_sgpr_count 6
		.amdhsa_user_sgpr_private_segment_buffer 1
		.amdhsa_user_sgpr_dispatch_ptr 0
		.amdhsa_user_sgpr_queue_ptr 0
		.amdhsa_user_sgpr_kernarg_segment_ptr 1
		.amdhsa_user_sgpr_dispatch_id 0
		.amdhsa_user_sgpr_flat_scratch_init 0
		.amdhsa_user_sgpr_private_segment_size 0
		.amdhsa_wavefront_size32 1
		.amdhsa_uses_dynamic_stack 0
		.amdhsa_system_sgpr_private_segment_wavefront_offset 0
		.amdhsa_system_sgpr_workgroup_id_x 1
		.amdhsa_system_sgpr_workgroup_id_y 0
		.amdhsa_system_sgpr_workgroup_id_z 0
		.amdhsa_system_sgpr_workgroup_info 0
		.amdhsa_system_vgpr_workitem_id 0
		.amdhsa_next_free_vgpr 14
		.amdhsa_next_free_sgpr 16
		.amdhsa_reserve_vcc 1
		.amdhsa_reserve_flat_scratch 0
		.amdhsa_float_round_mode_32 0
		.amdhsa_float_round_mode_16_64 0
		.amdhsa_float_denorm_mode_32 3
		.amdhsa_float_denorm_mode_16_64 3
		.amdhsa_dx10_clamp 1
		.amdhsa_ieee_mode 1
		.amdhsa_fp16_overflow 0
		.amdhsa_workgroup_processor_mode 1
		.amdhsa_memory_ordered 1
		.amdhsa_forward_progress 1
		.amdhsa_shared_vgpr_count 0
		.amdhsa_exception_fp_ieee_invalid_op 0
		.amdhsa_exception_fp_denorm_src 0
		.amdhsa_exception_fp_ieee_div_zero 0
		.amdhsa_exception_fp_ieee_overflow 0
		.amdhsa_exception_fp_ieee_underflow 0
		.amdhsa_exception_fp_ieee_inexact 0
		.amdhsa_exception_int_div_zero 0
	.end_amdhsa_kernel
	.section	.text._ZN2at6native12_GLOBAL__N_119post_sum_div_kernelIfiEEvPT_PKT0_lbS3_,"axG",@progbits,_ZN2at6native12_GLOBAL__N_119post_sum_div_kernelIfiEEvPT_PKT0_lbS3_,comdat
.Lfunc_end59:
	.size	_ZN2at6native12_GLOBAL__N_119post_sum_div_kernelIfiEEvPT_PKT0_lbS3_, .Lfunc_end59-_ZN2at6native12_GLOBAL__N_119post_sum_div_kernelIfiEEvPT_PKT0_lbS3_
                                        ; -- End function
	.set _ZN2at6native12_GLOBAL__N_119post_sum_div_kernelIfiEEvPT_PKT0_lbS3_.num_vgpr, 14
	.set _ZN2at6native12_GLOBAL__N_119post_sum_div_kernelIfiEEvPT_PKT0_lbS3_.num_agpr, 0
	.set _ZN2at6native12_GLOBAL__N_119post_sum_div_kernelIfiEEvPT_PKT0_lbS3_.numbered_sgpr, 16
	.set _ZN2at6native12_GLOBAL__N_119post_sum_div_kernelIfiEEvPT_PKT0_lbS3_.num_named_barrier, 0
	.set _ZN2at6native12_GLOBAL__N_119post_sum_div_kernelIfiEEvPT_PKT0_lbS3_.private_seg_size, 0
	.set _ZN2at6native12_GLOBAL__N_119post_sum_div_kernelIfiEEvPT_PKT0_lbS3_.uses_vcc, 1
	.set _ZN2at6native12_GLOBAL__N_119post_sum_div_kernelIfiEEvPT_PKT0_lbS3_.uses_flat_scratch, 0
	.set _ZN2at6native12_GLOBAL__N_119post_sum_div_kernelIfiEEvPT_PKT0_lbS3_.has_dyn_sized_stack, 0
	.set _ZN2at6native12_GLOBAL__N_119post_sum_div_kernelIfiEEvPT_PKT0_lbS3_.has_recursion, 0
	.set _ZN2at6native12_GLOBAL__N_119post_sum_div_kernelIfiEEvPT_PKT0_lbS3_.has_indirect_call, 0
	.section	.AMDGPU.csdata,"",@progbits
; Kernel info:
; codeLenInByte = 496
; TotalNumSgprs: 18
; NumVgprs: 14
; ScratchSize: 0
; MemoryBound: 0
; FloatMode: 240
; IeeeMode: 1
; LDSByteSize: 0 bytes/workgroup (compile time only)
; SGPRBlocks: 0
; VGPRBlocks: 1
; NumSGPRsForWavesPerEU: 18
; NumVGPRsForWavesPerEU: 14
; Occupancy: 16
; WaveLimiterHint : 0
; COMPUTE_PGM_RSRC2:SCRATCH_EN: 0
; COMPUTE_PGM_RSRC2:USER_SGPR: 6
; COMPUTE_PGM_RSRC2:TRAP_HANDLER: 0
; COMPUTE_PGM_RSRC2:TGID_X_EN: 1
; COMPUTE_PGM_RSRC2:TGID_Y_EN: 0
; COMPUTE_PGM_RSRC2:TGID_Z_EN: 0
; COMPUTE_PGM_RSRC2:TIDIG_COMP_CNT: 0
	.section	.text._ZN7rocprim17ROCPRIM_400000_NS6detail17trampoline_kernelINS0_14default_configENS1_32segmented_reduce_config_selectorIfEEZNS1_21segmented_reduce_implIS3_PKfPfPKifN6hipcub16HIPCUB_304000_NS6detail27convert_result_type_wrapperIS8_S9_N2at6native12_GLOBAL__N_19CustomMinEEEEE10hipError_tPvRmT0_T1_jT2_SQ_T4_T3_P12ihipStream_tbEUlT_E_NS1_11comp_targetILNS1_3genE0ELNS1_11target_archE4294967295ELNS1_3gpuE0ELNS1_3repE0EEENS1_30default_config_static_selectorELNS0_4arch9wavefront6targetE0EEEvSP_,"axG",@progbits,_ZN7rocprim17ROCPRIM_400000_NS6detail17trampoline_kernelINS0_14default_configENS1_32segmented_reduce_config_selectorIfEEZNS1_21segmented_reduce_implIS3_PKfPfPKifN6hipcub16HIPCUB_304000_NS6detail27convert_result_type_wrapperIS8_S9_N2at6native12_GLOBAL__N_19CustomMinEEEEE10hipError_tPvRmT0_T1_jT2_SQ_T4_T3_P12ihipStream_tbEUlT_E_NS1_11comp_targetILNS1_3genE0ELNS1_11target_archE4294967295ELNS1_3gpuE0ELNS1_3repE0EEENS1_30default_config_static_selectorELNS0_4arch9wavefront6targetE0EEEvSP_,comdat
	.globl	_ZN7rocprim17ROCPRIM_400000_NS6detail17trampoline_kernelINS0_14default_configENS1_32segmented_reduce_config_selectorIfEEZNS1_21segmented_reduce_implIS3_PKfPfPKifN6hipcub16HIPCUB_304000_NS6detail27convert_result_type_wrapperIS8_S9_N2at6native12_GLOBAL__N_19CustomMinEEEEE10hipError_tPvRmT0_T1_jT2_SQ_T4_T3_P12ihipStream_tbEUlT_E_NS1_11comp_targetILNS1_3genE0ELNS1_11target_archE4294967295ELNS1_3gpuE0ELNS1_3repE0EEENS1_30default_config_static_selectorELNS0_4arch9wavefront6targetE0EEEvSP_ ; -- Begin function _ZN7rocprim17ROCPRIM_400000_NS6detail17trampoline_kernelINS0_14default_configENS1_32segmented_reduce_config_selectorIfEEZNS1_21segmented_reduce_implIS3_PKfPfPKifN6hipcub16HIPCUB_304000_NS6detail27convert_result_type_wrapperIS8_S9_N2at6native12_GLOBAL__N_19CustomMinEEEEE10hipError_tPvRmT0_T1_jT2_SQ_T4_T3_P12ihipStream_tbEUlT_E_NS1_11comp_targetILNS1_3genE0ELNS1_11target_archE4294967295ELNS1_3gpuE0ELNS1_3repE0EEENS1_30default_config_static_selectorELNS0_4arch9wavefront6targetE0EEEvSP_
	.p2align	8
	.type	_ZN7rocprim17ROCPRIM_400000_NS6detail17trampoline_kernelINS0_14default_configENS1_32segmented_reduce_config_selectorIfEEZNS1_21segmented_reduce_implIS3_PKfPfPKifN6hipcub16HIPCUB_304000_NS6detail27convert_result_type_wrapperIS8_S9_N2at6native12_GLOBAL__N_19CustomMinEEEEE10hipError_tPvRmT0_T1_jT2_SQ_T4_T3_P12ihipStream_tbEUlT_E_NS1_11comp_targetILNS1_3genE0ELNS1_11target_archE4294967295ELNS1_3gpuE0ELNS1_3repE0EEENS1_30default_config_static_selectorELNS0_4arch9wavefront6targetE0EEEvSP_,@function
_ZN7rocprim17ROCPRIM_400000_NS6detail17trampoline_kernelINS0_14default_configENS1_32segmented_reduce_config_selectorIfEEZNS1_21segmented_reduce_implIS3_PKfPfPKifN6hipcub16HIPCUB_304000_NS6detail27convert_result_type_wrapperIS8_S9_N2at6native12_GLOBAL__N_19CustomMinEEEEE10hipError_tPvRmT0_T1_jT2_SQ_T4_T3_P12ihipStream_tbEUlT_E_NS1_11comp_targetILNS1_3genE0ELNS1_11target_archE4294967295ELNS1_3gpuE0ELNS1_3repE0EEENS1_30default_config_static_selectorELNS0_4arch9wavefront6targetE0EEEvSP_: ; @_ZN7rocprim17ROCPRIM_400000_NS6detail17trampoline_kernelINS0_14default_configENS1_32segmented_reduce_config_selectorIfEEZNS1_21segmented_reduce_implIS3_PKfPfPKifN6hipcub16HIPCUB_304000_NS6detail27convert_result_type_wrapperIS8_S9_N2at6native12_GLOBAL__N_19CustomMinEEEEE10hipError_tPvRmT0_T1_jT2_SQ_T4_T3_P12ihipStream_tbEUlT_E_NS1_11comp_targetILNS1_3genE0ELNS1_11target_archE4294967295ELNS1_3gpuE0ELNS1_3repE0EEENS1_30default_config_static_selectorELNS0_4arch9wavefront6targetE0EEEvSP_
; %bb.0:
	.section	.rodata,"a",@progbits
	.p2align	6, 0x0
	.amdhsa_kernel _ZN7rocprim17ROCPRIM_400000_NS6detail17trampoline_kernelINS0_14default_configENS1_32segmented_reduce_config_selectorIfEEZNS1_21segmented_reduce_implIS3_PKfPfPKifN6hipcub16HIPCUB_304000_NS6detail27convert_result_type_wrapperIS8_S9_N2at6native12_GLOBAL__N_19CustomMinEEEEE10hipError_tPvRmT0_T1_jT2_SQ_T4_T3_P12ihipStream_tbEUlT_E_NS1_11comp_targetILNS1_3genE0ELNS1_11target_archE4294967295ELNS1_3gpuE0ELNS1_3repE0EEENS1_30default_config_static_selectorELNS0_4arch9wavefront6targetE0EEEvSP_
		.amdhsa_group_segment_fixed_size 0
		.amdhsa_private_segment_fixed_size 0
		.amdhsa_kernarg_size 48
		.amdhsa_user_sgpr_count 6
		.amdhsa_user_sgpr_private_segment_buffer 1
		.amdhsa_user_sgpr_dispatch_ptr 0
		.amdhsa_user_sgpr_queue_ptr 0
		.amdhsa_user_sgpr_kernarg_segment_ptr 1
		.amdhsa_user_sgpr_dispatch_id 0
		.amdhsa_user_sgpr_flat_scratch_init 0
		.amdhsa_user_sgpr_private_segment_size 0
		.amdhsa_wavefront_size32 1
		.amdhsa_uses_dynamic_stack 0
		.amdhsa_system_sgpr_private_segment_wavefront_offset 0
		.amdhsa_system_sgpr_workgroup_id_x 1
		.amdhsa_system_sgpr_workgroup_id_y 0
		.amdhsa_system_sgpr_workgroup_id_z 0
		.amdhsa_system_sgpr_workgroup_info 0
		.amdhsa_system_vgpr_workitem_id 0
		.amdhsa_next_free_vgpr 1
		.amdhsa_next_free_sgpr 1
		.amdhsa_reserve_vcc 0
		.amdhsa_reserve_flat_scratch 0
		.amdhsa_float_round_mode_32 0
		.amdhsa_float_round_mode_16_64 0
		.amdhsa_float_denorm_mode_32 3
		.amdhsa_float_denorm_mode_16_64 3
		.amdhsa_dx10_clamp 1
		.amdhsa_ieee_mode 1
		.amdhsa_fp16_overflow 0
		.amdhsa_workgroup_processor_mode 1
		.amdhsa_memory_ordered 1
		.amdhsa_forward_progress 1
		.amdhsa_shared_vgpr_count 0
		.amdhsa_exception_fp_ieee_invalid_op 0
		.amdhsa_exception_fp_denorm_src 0
		.amdhsa_exception_fp_ieee_div_zero 0
		.amdhsa_exception_fp_ieee_overflow 0
		.amdhsa_exception_fp_ieee_underflow 0
		.amdhsa_exception_fp_ieee_inexact 0
		.amdhsa_exception_int_div_zero 0
	.end_amdhsa_kernel
	.section	.text._ZN7rocprim17ROCPRIM_400000_NS6detail17trampoline_kernelINS0_14default_configENS1_32segmented_reduce_config_selectorIfEEZNS1_21segmented_reduce_implIS3_PKfPfPKifN6hipcub16HIPCUB_304000_NS6detail27convert_result_type_wrapperIS8_S9_N2at6native12_GLOBAL__N_19CustomMinEEEEE10hipError_tPvRmT0_T1_jT2_SQ_T4_T3_P12ihipStream_tbEUlT_E_NS1_11comp_targetILNS1_3genE0ELNS1_11target_archE4294967295ELNS1_3gpuE0ELNS1_3repE0EEENS1_30default_config_static_selectorELNS0_4arch9wavefront6targetE0EEEvSP_,"axG",@progbits,_ZN7rocprim17ROCPRIM_400000_NS6detail17trampoline_kernelINS0_14default_configENS1_32segmented_reduce_config_selectorIfEEZNS1_21segmented_reduce_implIS3_PKfPfPKifN6hipcub16HIPCUB_304000_NS6detail27convert_result_type_wrapperIS8_S9_N2at6native12_GLOBAL__N_19CustomMinEEEEE10hipError_tPvRmT0_T1_jT2_SQ_T4_T3_P12ihipStream_tbEUlT_E_NS1_11comp_targetILNS1_3genE0ELNS1_11target_archE4294967295ELNS1_3gpuE0ELNS1_3repE0EEENS1_30default_config_static_selectorELNS0_4arch9wavefront6targetE0EEEvSP_,comdat
.Lfunc_end60:
	.size	_ZN7rocprim17ROCPRIM_400000_NS6detail17trampoline_kernelINS0_14default_configENS1_32segmented_reduce_config_selectorIfEEZNS1_21segmented_reduce_implIS3_PKfPfPKifN6hipcub16HIPCUB_304000_NS6detail27convert_result_type_wrapperIS8_S9_N2at6native12_GLOBAL__N_19CustomMinEEEEE10hipError_tPvRmT0_T1_jT2_SQ_T4_T3_P12ihipStream_tbEUlT_E_NS1_11comp_targetILNS1_3genE0ELNS1_11target_archE4294967295ELNS1_3gpuE0ELNS1_3repE0EEENS1_30default_config_static_selectorELNS0_4arch9wavefront6targetE0EEEvSP_, .Lfunc_end60-_ZN7rocprim17ROCPRIM_400000_NS6detail17trampoline_kernelINS0_14default_configENS1_32segmented_reduce_config_selectorIfEEZNS1_21segmented_reduce_implIS3_PKfPfPKifN6hipcub16HIPCUB_304000_NS6detail27convert_result_type_wrapperIS8_S9_N2at6native12_GLOBAL__N_19CustomMinEEEEE10hipError_tPvRmT0_T1_jT2_SQ_T4_T3_P12ihipStream_tbEUlT_E_NS1_11comp_targetILNS1_3genE0ELNS1_11target_archE4294967295ELNS1_3gpuE0ELNS1_3repE0EEENS1_30default_config_static_selectorELNS0_4arch9wavefront6targetE0EEEvSP_
                                        ; -- End function
	.set _ZN7rocprim17ROCPRIM_400000_NS6detail17trampoline_kernelINS0_14default_configENS1_32segmented_reduce_config_selectorIfEEZNS1_21segmented_reduce_implIS3_PKfPfPKifN6hipcub16HIPCUB_304000_NS6detail27convert_result_type_wrapperIS8_S9_N2at6native12_GLOBAL__N_19CustomMinEEEEE10hipError_tPvRmT0_T1_jT2_SQ_T4_T3_P12ihipStream_tbEUlT_E_NS1_11comp_targetILNS1_3genE0ELNS1_11target_archE4294967295ELNS1_3gpuE0ELNS1_3repE0EEENS1_30default_config_static_selectorELNS0_4arch9wavefront6targetE0EEEvSP_.num_vgpr, 0
	.set _ZN7rocprim17ROCPRIM_400000_NS6detail17trampoline_kernelINS0_14default_configENS1_32segmented_reduce_config_selectorIfEEZNS1_21segmented_reduce_implIS3_PKfPfPKifN6hipcub16HIPCUB_304000_NS6detail27convert_result_type_wrapperIS8_S9_N2at6native12_GLOBAL__N_19CustomMinEEEEE10hipError_tPvRmT0_T1_jT2_SQ_T4_T3_P12ihipStream_tbEUlT_E_NS1_11comp_targetILNS1_3genE0ELNS1_11target_archE4294967295ELNS1_3gpuE0ELNS1_3repE0EEENS1_30default_config_static_selectorELNS0_4arch9wavefront6targetE0EEEvSP_.num_agpr, 0
	.set _ZN7rocprim17ROCPRIM_400000_NS6detail17trampoline_kernelINS0_14default_configENS1_32segmented_reduce_config_selectorIfEEZNS1_21segmented_reduce_implIS3_PKfPfPKifN6hipcub16HIPCUB_304000_NS6detail27convert_result_type_wrapperIS8_S9_N2at6native12_GLOBAL__N_19CustomMinEEEEE10hipError_tPvRmT0_T1_jT2_SQ_T4_T3_P12ihipStream_tbEUlT_E_NS1_11comp_targetILNS1_3genE0ELNS1_11target_archE4294967295ELNS1_3gpuE0ELNS1_3repE0EEENS1_30default_config_static_selectorELNS0_4arch9wavefront6targetE0EEEvSP_.numbered_sgpr, 0
	.set _ZN7rocprim17ROCPRIM_400000_NS6detail17trampoline_kernelINS0_14default_configENS1_32segmented_reduce_config_selectorIfEEZNS1_21segmented_reduce_implIS3_PKfPfPKifN6hipcub16HIPCUB_304000_NS6detail27convert_result_type_wrapperIS8_S9_N2at6native12_GLOBAL__N_19CustomMinEEEEE10hipError_tPvRmT0_T1_jT2_SQ_T4_T3_P12ihipStream_tbEUlT_E_NS1_11comp_targetILNS1_3genE0ELNS1_11target_archE4294967295ELNS1_3gpuE0ELNS1_3repE0EEENS1_30default_config_static_selectorELNS0_4arch9wavefront6targetE0EEEvSP_.num_named_barrier, 0
	.set _ZN7rocprim17ROCPRIM_400000_NS6detail17trampoline_kernelINS0_14default_configENS1_32segmented_reduce_config_selectorIfEEZNS1_21segmented_reduce_implIS3_PKfPfPKifN6hipcub16HIPCUB_304000_NS6detail27convert_result_type_wrapperIS8_S9_N2at6native12_GLOBAL__N_19CustomMinEEEEE10hipError_tPvRmT0_T1_jT2_SQ_T4_T3_P12ihipStream_tbEUlT_E_NS1_11comp_targetILNS1_3genE0ELNS1_11target_archE4294967295ELNS1_3gpuE0ELNS1_3repE0EEENS1_30default_config_static_selectorELNS0_4arch9wavefront6targetE0EEEvSP_.private_seg_size, 0
	.set _ZN7rocprim17ROCPRIM_400000_NS6detail17trampoline_kernelINS0_14default_configENS1_32segmented_reduce_config_selectorIfEEZNS1_21segmented_reduce_implIS3_PKfPfPKifN6hipcub16HIPCUB_304000_NS6detail27convert_result_type_wrapperIS8_S9_N2at6native12_GLOBAL__N_19CustomMinEEEEE10hipError_tPvRmT0_T1_jT2_SQ_T4_T3_P12ihipStream_tbEUlT_E_NS1_11comp_targetILNS1_3genE0ELNS1_11target_archE4294967295ELNS1_3gpuE0ELNS1_3repE0EEENS1_30default_config_static_selectorELNS0_4arch9wavefront6targetE0EEEvSP_.uses_vcc, 0
	.set _ZN7rocprim17ROCPRIM_400000_NS6detail17trampoline_kernelINS0_14default_configENS1_32segmented_reduce_config_selectorIfEEZNS1_21segmented_reduce_implIS3_PKfPfPKifN6hipcub16HIPCUB_304000_NS6detail27convert_result_type_wrapperIS8_S9_N2at6native12_GLOBAL__N_19CustomMinEEEEE10hipError_tPvRmT0_T1_jT2_SQ_T4_T3_P12ihipStream_tbEUlT_E_NS1_11comp_targetILNS1_3genE0ELNS1_11target_archE4294967295ELNS1_3gpuE0ELNS1_3repE0EEENS1_30default_config_static_selectorELNS0_4arch9wavefront6targetE0EEEvSP_.uses_flat_scratch, 0
	.set _ZN7rocprim17ROCPRIM_400000_NS6detail17trampoline_kernelINS0_14default_configENS1_32segmented_reduce_config_selectorIfEEZNS1_21segmented_reduce_implIS3_PKfPfPKifN6hipcub16HIPCUB_304000_NS6detail27convert_result_type_wrapperIS8_S9_N2at6native12_GLOBAL__N_19CustomMinEEEEE10hipError_tPvRmT0_T1_jT2_SQ_T4_T3_P12ihipStream_tbEUlT_E_NS1_11comp_targetILNS1_3genE0ELNS1_11target_archE4294967295ELNS1_3gpuE0ELNS1_3repE0EEENS1_30default_config_static_selectorELNS0_4arch9wavefront6targetE0EEEvSP_.has_dyn_sized_stack, 0
	.set _ZN7rocprim17ROCPRIM_400000_NS6detail17trampoline_kernelINS0_14default_configENS1_32segmented_reduce_config_selectorIfEEZNS1_21segmented_reduce_implIS3_PKfPfPKifN6hipcub16HIPCUB_304000_NS6detail27convert_result_type_wrapperIS8_S9_N2at6native12_GLOBAL__N_19CustomMinEEEEE10hipError_tPvRmT0_T1_jT2_SQ_T4_T3_P12ihipStream_tbEUlT_E_NS1_11comp_targetILNS1_3genE0ELNS1_11target_archE4294967295ELNS1_3gpuE0ELNS1_3repE0EEENS1_30default_config_static_selectorELNS0_4arch9wavefront6targetE0EEEvSP_.has_recursion, 0
	.set _ZN7rocprim17ROCPRIM_400000_NS6detail17trampoline_kernelINS0_14default_configENS1_32segmented_reduce_config_selectorIfEEZNS1_21segmented_reduce_implIS3_PKfPfPKifN6hipcub16HIPCUB_304000_NS6detail27convert_result_type_wrapperIS8_S9_N2at6native12_GLOBAL__N_19CustomMinEEEEE10hipError_tPvRmT0_T1_jT2_SQ_T4_T3_P12ihipStream_tbEUlT_E_NS1_11comp_targetILNS1_3genE0ELNS1_11target_archE4294967295ELNS1_3gpuE0ELNS1_3repE0EEENS1_30default_config_static_selectorELNS0_4arch9wavefront6targetE0EEEvSP_.has_indirect_call, 0
	.section	.AMDGPU.csdata,"",@progbits
; Kernel info:
; codeLenInByte = 0
; TotalNumSgprs: 0
; NumVgprs: 0
; ScratchSize: 0
; MemoryBound: 0
; FloatMode: 240
; IeeeMode: 1
; LDSByteSize: 0 bytes/workgroup (compile time only)
; SGPRBlocks: 0
; VGPRBlocks: 0
; NumSGPRsForWavesPerEU: 1
; NumVGPRsForWavesPerEU: 1
; Occupancy: 16
; WaveLimiterHint : 0
; COMPUTE_PGM_RSRC2:SCRATCH_EN: 0
; COMPUTE_PGM_RSRC2:USER_SGPR: 6
; COMPUTE_PGM_RSRC2:TRAP_HANDLER: 0
; COMPUTE_PGM_RSRC2:TGID_X_EN: 1
; COMPUTE_PGM_RSRC2:TGID_Y_EN: 0
; COMPUTE_PGM_RSRC2:TGID_Z_EN: 0
; COMPUTE_PGM_RSRC2:TIDIG_COMP_CNT: 0
	.section	.text._ZN7rocprim17ROCPRIM_400000_NS6detail17trampoline_kernelINS0_14default_configENS1_32segmented_reduce_config_selectorIfEEZNS1_21segmented_reduce_implIS3_PKfPfPKifN6hipcub16HIPCUB_304000_NS6detail27convert_result_type_wrapperIS8_S9_N2at6native12_GLOBAL__N_19CustomMinEEEEE10hipError_tPvRmT0_T1_jT2_SQ_T4_T3_P12ihipStream_tbEUlT_E_NS1_11comp_targetILNS1_3genE5ELNS1_11target_archE942ELNS1_3gpuE9ELNS1_3repE0EEENS1_30default_config_static_selectorELNS0_4arch9wavefront6targetE0EEEvSP_,"axG",@progbits,_ZN7rocprim17ROCPRIM_400000_NS6detail17trampoline_kernelINS0_14default_configENS1_32segmented_reduce_config_selectorIfEEZNS1_21segmented_reduce_implIS3_PKfPfPKifN6hipcub16HIPCUB_304000_NS6detail27convert_result_type_wrapperIS8_S9_N2at6native12_GLOBAL__N_19CustomMinEEEEE10hipError_tPvRmT0_T1_jT2_SQ_T4_T3_P12ihipStream_tbEUlT_E_NS1_11comp_targetILNS1_3genE5ELNS1_11target_archE942ELNS1_3gpuE9ELNS1_3repE0EEENS1_30default_config_static_selectorELNS0_4arch9wavefront6targetE0EEEvSP_,comdat
	.globl	_ZN7rocprim17ROCPRIM_400000_NS6detail17trampoline_kernelINS0_14default_configENS1_32segmented_reduce_config_selectorIfEEZNS1_21segmented_reduce_implIS3_PKfPfPKifN6hipcub16HIPCUB_304000_NS6detail27convert_result_type_wrapperIS8_S9_N2at6native12_GLOBAL__N_19CustomMinEEEEE10hipError_tPvRmT0_T1_jT2_SQ_T4_T3_P12ihipStream_tbEUlT_E_NS1_11comp_targetILNS1_3genE5ELNS1_11target_archE942ELNS1_3gpuE9ELNS1_3repE0EEENS1_30default_config_static_selectorELNS0_4arch9wavefront6targetE0EEEvSP_ ; -- Begin function _ZN7rocprim17ROCPRIM_400000_NS6detail17trampoline_kernelINS0_14default_configENS1_32segmented_reduce_config_selectorIfEEZNS1_21segmented_reduce_implIS3_PKfPfPKifN6hipcub16HIPCUB_304000_NS6detail27convert_result_type_wrapperIS8_S9_N2at6native12_GLOBAL__N_19CustomMinEEEEE10hipError_tPvRmT0_T1_jT2_SQ_T4_T3_P12ihipStream_tbEUlT_E_NS1_11comp_targetILNS1_3genE5ELNS1_11target_archE942ELNS1_3gpuE9ELNS1_3repE0EEENS1_30default_config_static_selectorELNS0_4arch9wavefront6targetE0EEEvSP_
	.p2align	8
	.type	_ZN7rocprim17ROCPRIM_400000_NS6detail17trampoline_kernelINS0_14default_configENS1_32segmented_reduce_config_selectorIfEEZNS1_21segmented_reduce_implIS3_PKfPfPKifN6hipcub16HIPCUB_304000_NS6detail27convert_result_type_wrapperIS8_S9_N2at6native12_GLOBAL__N_19CustomMinEEEEE10hipError_tPvRmT0_T1_jT2_SQ_T4_T3_P12ihipStream_tbEUlT_E_NS1_11comp_targetILNS1_3genE5ELNS1_11target_archE942ELNS1_3gpuE9ELNS1_3repE0EEENS1_30default_config_static_selectorELNS0_4arch9wavefront6targetE0EEEvSP_,@function
_ZN7rocprim17ROCPRIM_400000_NS6detail17trampoline_kernelINS0_14default_configENS1_32segmented_reduce_config_selectorIfEEZNS1_21segmented_reduce_implIS3_PKfPfPKifN6hipcub16HIPCUB_304000_NS6detail27convert_result_type_wrapperIS8_S9_N2at6native12_GLOBAL__N_19CustomMinEEEEE10hipError_tPvRmT0_T1_jT2_SQ_T4_T3_P12ihipStream_tbEUlT_E_NS1_11comp_targetILNS1_3genE5ELNS1_11target_archE942ELNS1_3gpuE9ELNS1_3repE0EEENS1_30default_config_static_selectorELNS0_4arch9wavefront6targetE0EEEvSP_: ; @_ZN7rocprim17ROCPRIM_400000_NS6detail17trampoline_kernelINS0_14default_configENS1_32segmented_reduce_config_selectorIfEEZNS1_21segmented_reduce_implIS3_PKfPfPKifN6hipcub16HIPCUB_304000_NS6detail27convert_result_type_wrapperIS8_S9_N2at6native12_GLOBAL__N_19CustomMinEEEEE10hipError_tPvRmT0_T1_jT2_SQ_T4_T3_P12ihipStream_tbEUlT_E_NS1_11comp_targetILNS1_3genE5ELNS1_11target_archE942ELNS1_3gpuE9ELNS1_3repE0EEENS1_30default_config_static_selectorELNS0_4arch9wavefront6targetE0EEEvSP_
; %bb.0:
	.section	.rodata,"a",@progbits
	.p2align	6, 0x0
	.amdhsa_kernel _ZN7rocprim17ROCPRIM_400000_NS6detail17trampoline_kernelINS0_14default_configENS1_32segmented_reduce_config_selectorIfEEZNS1_21segmented_reduce_implIS3_PKfPfPKifN6hipcub16HIPCUB_304000_NS6detail27convert_result_type_wrapperIS8_S9_N2at6native12_GLOBAL__N_19CustomMinEEEEE10hipError_tPvRmT0_T1_jT2_SQ_T4_T3_P12ihipStream_tbEUlT_E_NS1_11comp_targetILNS1_3genE5ELNS1_11target_archE942ELNS1_3gpuE9ELNS1_3repE0EEENS1_30default_config_static_selectorELNS0_4arch9wavefront6targetE0EEEvSP_
		.amdhsa_group_segment_fixed_size 0
		.amdhsa_private_segment_fixed_size 0
		.amdhsa_kernarg_size 48
		.amdhsa_user_sgpr_count 6
		.amdhsa_user_sgpr_private_segment_buffer 1
		.amdhsa_user_sgpr_dispatch_ptr 0
		.amdhsa_user_sgpr_queue_ptr 0
		.amdhsa_user_sgpr_kernarg_segment_ptr 1
		.amdhsa_user_sgpr_dispatch_id 0
		.amdhsa_user_sgpr_flat_scratch_init 0
		.amdhsa_user_sgpr_private_segment_size 0
		.amdhsa_wavefront_size32 1
		.amdhsa_uses_dynamic_stack 0
		.amdhsa_system_sgpr_private_segment_wavefront_offset 0
		.amdhsa_system_sgpr_workgroup_id_x 1
		.amdhsa_system_sgpr_workgroup_id_y 0
		.amdhsa_system_sgpr_workgroup_id_z 0
		.amdhsa_system_sgpr_workgroup_info 0
		.amdhsa_system_vgpr_workitem_id 0
		.amdhsa_next_free_vgpr 1
		.amdhsa_next_free_sgpr 1
		.amdhsa_reserve_vcc 0
		.amdhsa_reserve_flat_scratch 0
		.amdhsa_float_round_mode_32 0
		.amdhsa_float_round_mode_16_64 0
		.amdhsa_float_denorm_mode_32 3
		.amdhsa_float_denorm_mode_16_64 3
		.amdhsa_dx10_clamp 1
		.amdhsa_ieee_mode 1
		.amdhsa_fp16_overflow 0
		.amdhsa_workgroup_processor_mode 1
		.amdhsa_memory_ordered 1
		.amdhsa_forward_progress 1
		.amdhsa_shared_vgpr_count 0
		.amdhsa_exception_fp_ieee_invalid_op 0
		.amdhsa_exception_fp_denorm_src 0
		.amdhsa_exception_fp_ieee_div_zero 0
		.amdhsa_exception_fp_ieee_overflow 0
		.amdhsa_exception_fp_ieee_underflow 0
		.amdhsa_exception_fp_ieee_inexact 0
		.amdhsa_exception_int_div_zero 0
	.end_amdhsa_kernel
	.section	.text._ZN7rocprim17ROCPRIM_400000_NS6detail17trampoline_kernelINS0_14default_configENS1_32segmented_reduce_config_selectorIfEEZNS1_21segmented_reduce_implIS3_PKfPfPKifN6hipcub16HIPCUB_304000_NS6detail27convert_result_type_wrapperIS8_S9_N2at6native12_GLOBAL__N_19CustomMinEEEEE10hipError_tPvRmT0_T1_jT2_SQ_T4_T3_P12ihipStream_tbEUlT_E_NS1_11comp_targetILNS1_3genE5ELNS1_11target_archE942ELNS1_3gpuE9ELNS1_3repE0EEENS1_30default_config_static_selectorELNS0_4arch9wavefront6targetE0EEEvSP_,"axG",@progbits,_ZN7rocprim17ROCPRIM_400000_NS6detail17trampoline_kernelINS0_14default_configENS1_32segmented_reduce_config_selectorIfEEZNS1_21segmented_reduce_implIS3_PKfPfPKifN6hipcub16HIPCUB_304000_NS6detail27convert_result_type_wrapperIS8_S9_N2at6native12_GLOBAL__N_19CustomMinEEEEE10hipError_tPvRmT0_T1_jT2_SQ_T4_T3_P12ihipStream_tbEUlT_E_NS1_11comp_targetILNS1_3genE5ELNS1_11target_archE942ELNS1_3gpuE9ELNS1_3repE0EEENS1_30default_config_static_selectorELNS0_4arch9wavefront6targetE0EEEvSP_,comdat
.Lfunc_end61:
	.size	_ZN7rocprim17ROCPRIM_400000_NS6detail17trampoline_kernelINS0_14default_configENS1_32segmented_reduce_config_selectorIfEEZNS1_21segmented_reduce_implIS3_PKfPfPKifN6hipcub16HIPCUB_304000_NS6detail27convert_result_type_wrapperIS8_S9_N2at6native12_GLOBAL__N_19CustomMinEEEEE10hipError_tPvRmT0_T1_jT2_SQ_T4_T3_P12ihipStream_tbEUlT_E_NS1_11comp_targetILNS1_3genE5ELNS1_11target_archE942ELNS1_3gpuE9ELNS1_3repE0EEENS1_30default_config_static_selectorELNS0_4arch9wavefront6targetE0EEEvSP_, .Lfunc_end61-_ZN7rocprim17ROCPRIM_400000_NS6detail17trampoline_kernelINS0_14default_configENS1_32segmented_reduce_config_selectorIfEEZNS1_21segmented_reduce_implIS3_PKfPfPKifN6hipcub16HIPCUB_304000_NS6detail27convert_result_type_wrapperIS8_S9_N2at6native12_GLOBAL__N_19CustomMinEEEEE10hipError_tPvRmT0_T1_jT2_SQ_T4_T3_P12ihipStream_tbEUlT_E_NS1_11comp_targetILNS1_3genE5ELNS1_11target_archE942ELNS1_3gpuE9ELNS1_3repE0EEENS1_30default_config_static_selectorELNS0_4arch9wavefront6targetE0EEEvSP_
                                        ; -- End function
	.set _ZN7rocprim17ROCPRIM_400000_NS6detail17trampoline_kernelINS0_14default_configENS1_32segmented_reduce_config_selectorIfEEZNS1_21segmented_reduce_implIS3_PKfPfPKifN6hipcub16HIPCUB_304000_NS6detail27convert_result_type_wrapperIS8_S9_N2at6native12_GLOBAL__N_19CustomMinEEEEE10hipError_tPvRmT0_T1_jT2_SQ_T4_T3_P12ihipStream_tbEUlT_E_NS1_11comp_targetILNS1_3genE5ELNS1_11target_archE942ELNS1_3gpuE9ELNS1_3repE0EEENS1_30default_config_static_selectorELNS0_4arch9wavefront6targetE0EEEvSP_.num_vgpr, 0
	.set _ZN7rocprim17ROCPRIM_400000_NS6detail17trampoline_kernelINS0_14default_configENS1_32segmented_reduce_config_selectorIfEEZNS1_21segmented_reduce_implIS3_PKfPfPKifN6hipcub16HIPCUB_304000_NS6detail27convert_result_type_wrapperIS8_S9_N2at6native12_GLOBAL__N_19CustomMinEEEEE10hipError_tPvRmT0_T1_jT2_SQ_T4_T3_P12ihipStream_tbEUlT_E_NS1_11comp_targetILNS1_3genE5ELNS1_11target_archE942ELNS1_3gpuE9ELNS1_3repE0EEENS1_30default_config_static_selectorELNS0_4arch9wavefront6targetE0EEEvSP_.num_agpr, 0
	.set _ZN7rocprim17ROCPRIM_400000_NS6detail17trampoline_kernelINS0_14default_configENS1_32segmented_reduce_config_selectorIfEEZNS1_21segmented_reduce_implIS3_PKfPfPKifN6hipcub16HIPCUB_304000_NS6detail27convert_result_type_wrapperIS8_S9_N2at6native12_GLOBAL__N_19CustomMinEEEEE10hipError_tPvRmT0_T1_jT2_SQ_T4_T3_P12ihipStream_tbEUlT_E_NS1_11comp_targetILNS1_3genE5ELNS1_11target_archE942ELNS1_3gpuE9ELNS1_3repE0EEENS1_30default_config_static_selectorELNS0_4arch9wavefront6targetE0EEEvSP_.numbered_sgpr, 0
	.set _ZN7rocprim17ROCPRIM_400000_NS6detail17trampoline_kernelINS0_14default_configENS1_32segmented_reduce_config_selectorIfEEZNS1_21segmented_reduce_implIS3_PKfPfPKifN6hipcub16HIPCUB_304000_NS6detail27convert_result_type_wrapperIS8_S9_N2at6native12_GLOBAL__N_19CustomMinEEEEE10hipError_tPvRmT0_T1_jT2_SQ_T4_T3_P12ihipStream_tbEUlT_E_NS1_11comp_targetILNS1_3genE5ELNS1_11target_archE942ELNS1_3gpuE9ELNS1_3repE0EEENS1_30default_config_static_selectorELNS0_4arch9wavefront6targetE0EEEvSP_.num_named_barrier, 0
	.set _ZN7rocprim17ROCPRIM_400000_NS6detail17trampoline_kernelINS0_14default_configENS1_32segmented_reduce_config_selectorIfEEZNS1_21segmented_reduce_implIS3_PKfPfPKifN6hipcub16HIPCUB_304000_NS6detail27convert_result_type_wrapperIS8_S9_N2at6native12_GLOBAL__N_19CustomMinEEEEE10hipError_tPvRmT0_T1_jT2_SQ_T4_T3_P12ihipStream_tbEUlT_E_NS1_11comp_targetILNS1_3genE5ELNS1_11target_archE942ELNS1_3gpuE9ELNS1_3repE0EEENS1_30default_config_static_selectorELNS0_4arch9wavefront6targetE0EEEvSP_.private_seg_size, 0
	.set _ZN7rocprim17ROCPRIM_400000_NS6detail17trampoline_kernelINS0_14default_configENS1_32segmented_reduce_config_selectorIfEEZNS1_21segmented_reduce_implIS3_PKfPfPKifN6hipcub16HIPCUB_304000_NS6detail27convert_result_type_wrapperIS8_S9_N2at6native12_GLOBAL__N_19CustomMinEEEEE10hipError_tPvRmT0_T1_jT2_SQ_T4_T3_P12ihipStream_tbEUlT_E_NS1_11comp_targetILNS1_3genE5ELNS1_11target_archE942ELNS1_3gpuE9ELNS1_3repE0EEENS1_30default_config_static_selectorELNS0_4arch9wavefront6targetE0EEEvSP_.uses_vcc, 0
	.set _ZN7rocprim17ROCPRIM_400000_NS6detail17trampoline_kernelINS0_14default_configENS1_32segmented_reduce_config_selectorIfEEZNS1_21segmented_reduce_implIS3_PKfPfPKifN6hipcub16HIPCUB_304000_NS6detail27convert_result_type_wrapperIS8_S9_N2at6native12_GLOBAL__N_19CustomMinEEEEE10hipError_tPvRmT0_T1_jT2_SQ_T4_T3_P12ihipStream_tbEUlT_E_NS1_11comp_targetILNS1_3genE5ELNS1_11target_archE942ELNS1_3gpuE9ELNS1_3repE0EEENS1_30default_config_static_selectorELNS0_4arch9wavefront6targetE0EEEvSP_.uses_flat_scratch, 0
	.set _ZN7rocprim17ROCPRIM_400000_NS6detail17trampoline_kernelINS0_14default_configENS1_32segmented_reduce_config_selectorIfEEZNS1_21segmented_reduce_implIS3_PKfPfPKifN6hipcub16HIPCUB_304000_NS6detail27convert_result_type_wrapperIS8_S9_N2at6native12_GLOBAL__N_19CustomMinEEEEE10hipError_tPvRmT0_T1_jT2_SQ_T4_T3_P12ihipStream_tbEUlT_E_NS1_11comp_targetILNS1_3genE5ELNS1_11target_archE942ELNS1_3gpuE9ELNS1_3repE0EEENS1_30default_config_static_selectorELNS0_4arch9wavefront6targetE0EEEvSP_.has_dyn_sized_stack, 0
	.set _ZN7rocprim17ROCPRIM_400000_NS6detail17trampoline_kernelINS0_14default_configENS1_32segmented_reduce_config_selectorIfEEZNS1_21segmented_reduce_implIS3_PKfPfPKifN6hipcub16HIPCUB_304000_NS6detail27convert_result_type_wrapperIS8_S9_N2at6native12_GLOBAL__N_19CustomMinEEEEE10hipError_tPvRmT0_T1_jT2_SQ_T4_T3_P12ihipStream_tbEUlT_E_NS1_11comp_targetILNS1_3genE5ELNS1_11target_archE942ELNS1_3gpuE9ELNS1_3repE0EEENS1_30default_config_static_selectorELNS0_4arch9wavefront6targetE0EEEvSP_.has_recursion, 0
	.set _ZN7rocprim17ROCPRIM_400000_NS6detail17trampoline_kernelINS0_14default_configENS1_32segmented_reduce_config_selectorIfEEZNS1_21segmented_reduce_implIS3_PKfPfPKifN6hipcub16HIPCUB_304000_NS6detail27convert_result_type_wrapperIS8_S9_N2at6native12_GLOBAL__N_19CustomMinEEEEE10hipError_tPvRmT0_T1_jT2_SQ_T4_T3_P12ihipStream_tbEUlT_E_NS1_11comp_targetILNS1_3genE5ELNS1_11target_archE942ELNS1_3gpuE9ELNS1_3repE0EEENS1_30default_config_static_selectorELNS0_4arch9wavefront6targetE0EEEvSP_.has_indirect_call, 0
	.section	.AMDGPU.csdata,"",@progbits
; Kernel info:
; codeLenInByte = 0
; TotalNumSgprs: 0
; NumVgprs: 0
; ScratchSize: 0
; MemoryBound: 0
; FloatMode: 240
; IeeeMode: 1
; LDSByteSize: 0 bytes/workgroup (compile time only)
; SGPRBlocks: 0
; VGPRBlocks: 0
; NumSGPRsForWavesPerEU: 1
; NumVGPRsForWavesPerEU: 1
; Occupancy: 16
; WaveLimiterHint : 0
; COMPUTE_PGM_RSRC2:SCRATCH_EN: 0
; COMPUTE_PGM_RSRC2:USER_SGPR: 6
; COMPUTE_PGM_RSRC2:TRAP_HANDLER: 0
; COMPUTE_PGM_RSRC2:TGID_X_EN: 1
; COMPUTE_PGM_RSRC2:TGID_Y_EN: 0
; COMPUTE_PGM_RSRC2:TGID_Z_EN: 0
; COMPUTE_PGM_RSRC2:TIDIG_COMP_CNT: 0
	.section	.text._ZN7rocprim17ROCPRIM_400000_NS6detail17trampoline_kernelINS0_14default_configENS1_32segmented_reduce_config_selectorIfEEZNS1_21segmented_reduce_implIS3_PKfPfPKifN6hipcub16HIPCUB_304000_NS6detail27convert_result_type_wrapperIS8_S9_N2at6native12_GLOBAL__N_19CustomMinEEEEE10hipError_tPvRmT0_T1_jT2_SQ_T4_T3_P12ihipStream_tbEUlT_E_NS1_11comp_targetILNS1_3genE10ELNS1_11target_archE1201ELNS1_3gpuE5ELNS1_3repE0EEENS1_30default_config_static_selectorELNS0_4arch9wavefront6targetE0EEEvSP_,"axG",@progbits,_ZN7rocprim17ROCPRIM_400000_NS6detail17trampoline_kernelINS0_14default_configENS1_32segmented_reduce_config_selectorIfEEZNS1_21segmented_reduce_implIS3_PKfPfPKifN6hipcub16HIPCUB_304000_NS6detail27convert_result_type_wrapperIS8_S9_N2at6native12_GLOBAL__N_19CustomMinEEEEE10hipError_tPvRmT0_T1_jT2_SQ_T4_T3_P12ihipStream_tbEUlT_E_NS1_11comp_targetILNS1_3genE10ELNS1_11target_archE1201ELNS1_3gpuE5ELNS1_3repE0EEENS1_30default_config_static_selectorELNS0_4arch9wavefront6targetE0EEEvSP_,comdat
	.globl	_ZN7rocprim17ROCPRIM_400000_NS6detail17trampoline_kernelINS0_14default_configENS1_32segmented_reduce_config_selectorIfEEZNS1_21segmented_reduce_implIS3_PKfPfPKifN6hipcub16HIPCUB_304000_NS6detail27convert_result_type_wrapperIS8_S9_N2at6native12_GLOBAL__N_19CustomMinEEEEE10hipError_tPvRmT0_T1_jT2_SQ_T4_T3_P12ihipStream_tbEUlT_E_NS1_11comp_targetILNS1_3genE10ELNS1_11target_archE1201ELNS1_3gpuE5ELNS1_3repE0EEENS1_30default_config_static_selectorELNS0_4arch9wavefront6targetE0EEEvSP_ ; -- Begin function _ZN7rocprim17ROCPRIM_400000_NS6detail17trampoline_kernelINS0_14default_configENS1_32segmented_reduce_config_selectorIfEEZNS1_21segmented_reduce_implIS3_PKfPfPKifN6hipcub16HIPCUB_304000_NS6detail27convert_result_type_wrapperIS8_S9_N2at6native12_GLOBAL__N_19CustomMinEEEEE10hipError_tPvRmT0_T1_jT2_SQ_T4_T3_P12ihipStream_tbEUlT_E_NS1_11comp_targetILNS1_3genE10ELNS1_11target_archE1201ELNS1_3gpuE5ELNS1_3repE0EEENS1_30default_config_static_selectorELNS0_4arch9wavefront6targetE0EEEvSP_
	.p2align	8
	.type	_ZN7rocprim17ROCPRIM_400000_NS6detail17trampoline_kernelINS0_14default_configENS1_32segmented_reduce_config_selectorIfEEZNS1_21segmented_reduce_implIS3_PKfPfPKifN6hipcub16HIPCUB_304000_NS6detail27convert_result_type_wrapperIS8_S9_N2at6native12_GLOBAL__N_19CustomMinEEEEE10hipError_tPvRmT0_T1_jT2_SQ_T4_T3_P12ihipStream_tbEUlT_E_NS1_11comp_targetILNS1_3genE10ELNS1_11target_archE1201ELNS1_3gpuE5ELNS1_3repE0EEENS1_30default_config_static_selectorELNS0_4arch9wavefront6targetE0EEEvSP_,@function
_ZN7rocprim17ROCPRIM_400000_NS6detail17trampoline_kernelINS0_14default_configENS1_32segmented_reduce_config_selectorIfEEZNS1_21segmented_reduce_implIS3_PKfPfPKifN6hipcub16HIPCUB_304000_NS6detail27convert_result_type_wrapperIS8_S9_N2at6native12_GLOBAL__N_19CustomMinEEEEE10hipError_tPvRmT0_T1_jT2_SQ_T4_T3_P12ihipStream_tbEUlT_E_NS1_11comp_targetILNS1_3genE10ELNS1_11target_archE1201ELNS1_3gpuE5ELNS1_3repE0EEENS1_30default_config_static_selectorELNS0_4arch9wavefront6targetE0EEEvSP_: ; @_ZN7rocprim17ROCPRIM_400000_NS6detail17trampoline_kernelINS0_14default_configENS1_32segmented_reduce_config_selectorIfEEZNS1_21segmented_reduce_implIS3_PKfPfPKifN6hipcub16HIPCUB_304000_NS6detail27convert_result_type_wrapperIS8_S9_N2at6native12_GLOBAL__N_19CustomMinEEEEE10hipError_tPvRmT0_T1_jT2_SQ_T4_T3_P12ihipStream_tbEUlT_E_NS1_11comp_targetILNS1_3genE10ELNS1_11target_archE1201ELNS1_3gpuE5ELNS1_3repE0EEENS1_30default_config_static_selectorELNS0_4arch9wavefront6targetE0EEEvSP_
; %bb.0:
	.section	.rodata,"a",@progbits
	.p2align	6, 0x0
	.amdhsa_kernel _ZN7rocprim17ROCPRIM_400000_NS6detail17trampoline_kernelINS0_14default_configENS1_32segmented_reduce_config_selectorIfEEZNS1_21segmented_reduce_implIS3_PKfPfPKifN6hipcub16HIPCUB_304000_NS6detail27convert_result_type_wrapperIS8_S9_N2at6native12_GLOBAL__N_19CustomMinEEEEE10hipError_tPvRmT0_T1_jT2_SQ_T4_T3_P12ihipStream_tbEUlT_E_NS1_11comp_targetILNS1_3genE10ELNS1_11target_archE1201ELNS1_3gpuE5ELNS1_3repE0EEENS1_30default_config_static_selectorELNS0_4arch9wavefront6targetE0EEEvSP_
		.amdhsa_group_segment_fixed_size 0
		.amdhsa_private_segment_fixed_size 0
		.amdhsa_kernarg_size 48
		.amdhsa_user_sgpr_count 6
		.amdhsa_user_sgpr_private_segment_buffer 1
		.amdhsa_user_sgpr_dispatch_ptr 0
		.amdhsa_user_sgpr_queue_ptr 0
		.amdhsa_user_sgpr_kernarg_segment_ptr 1
		.amdhsa_user_sgpr_dispatch_id 0
		.amdhsa_user_sgpr_flat_scratch_init 0
		.amdhsa_user_sgpr_private_segment_size 0
		.amdhsa_wavefront_size32 1
		.amdhsa_uses_dynamic_stack 0
		.amdhsa_system_sgpr_private_segment_wavefront_offset 0
		.amdhsa_system_sgpr_workgroup_id_x 1
		.amdhsa_system_sgpr_workgroup_id_y 0
		.amdhsa_system_sgpr_workgroup_id_z 0
		.amdhsa_system_sgpr_workgroup_info 0
		.amdhsa_system_vgpr_workitem_id 0
		.amdhsa_next_free_vgpr 1
		.amdhsa_next_free_sgpr 1
		.amdhsa_reserve_vcc 0
		.amdhsa_reserve_flat_scratch 0
		.amdhsa_float_round_mode_32 0
		.amdhsa_float_round_mode_16_64 0
		.amdhsa_float_denorm_mode_32 3
		.amdhsa_float_denorm_mode_16_64 3
		.amdhsa_dx10_clamp 1
		.amdhsa_ieee_mode 1
		.amdhsa_fp16_overflow 0
		.amdhsa_workgroup_processor_mode 1
		.amdhsa_memory_ordered 1
		.amdhsa_forward_progress 1
		.amdhsa_shared_vgpr_count 0
		.amdhsa_exception_fp_ieee_invalid_op 0
		.amdhsa_exception_fp_denorm_src 0
		.amdhsa_exception_fp_ieee_div_zero 0
		.amdhsa_exception_fp_ieee_overflow 0
		.amdhsa_exception_fp_ieee_underflow 0
		.amdhsa_exception_fp_ieee_inexact 0
		.amdhsa_exception_int_div_zero 0
	.end_amdhsa_kernel
	.section	.text._ZN7rocprim17ROCPRIM_400000_NS6detail17trampoline_kernelINS0_14default_configENS1_32segmented_reduce_config_selectorIfEEZNS1_21segmented_reduce_implIS3_PKfPfPKifN6hipcub16HIPCUB_304000_NS6detail27convert_result_type_wrapperIS8_S9_N2at6native12_GLOBAL__N_19CustomMinEEEEE10hipError_tPvRmT0_T1_jT2_SQ_T4_T3_P12ihipStream_tbEUlT_E_NS1_11comp_targetILNS1_3genE10ELNS1_11target_archE1201ELNS1_3gpuE5ELNS1_3repE0EEENS1_30default_config_static_selectorELNS0_4arch9wavefront6targetE0EEEvSP_,"axG",@progbits,_ZN7rocprim17ROCPRIM_400000_NS6detail17trampoline_kernelINS0_14default_configENS1_32segmented_reduce_config_selectorIfEEZNS1_21segmented_reduce_implIS3_PKfPfPKifN6hipcub16HIPCUB_304000_NS6detail27convert_result_type_wrapperIS8_S9_N2at6native12_GLOBAL__N_19CustomMinEEEEE10hipError_tPvRmT0_T1_jT2_SQ_T4_T3_P12ihipStream_tbEUlT_E_NS1_11comp_targetILNS1_3genE10ELNS1_11target_archE1201ELNS1_3gpuE5ELNS1_3repE0EEENS1_30default_config_static_selectorELNS0_4arch9wavefront6targetE0EEEvSP_,comdat
.Lfunc_end62:
	.size	_ZN7rocprim17ROCPRIM_400000_NS6detail17trampoline_kernelINS0_14default_configENS1_32segmented_reduce_config_selectorIfEEZNS1_21segmented_reduce_implIS3_PKfPfPKifN6hipcub16HIPCUB_304000_NS6detail27convert_result_type_wrapperIS8_S9_N2at6native12_GLOBAL__N_19CustomMinEEEEE10hipError_tPvRmT0_T1_jT2_SQ_T4_T3_P12ihipStream_tbEUlT_E_NS1_11comp_targetILNS1_3genE10ELNS1_11target_archE1201ELNS1_3gpuE5ELNS1_3repE0EEENS1_30default_config_static_selectorELNS0_4arch9wavefront6targetE0EEEvSP_, .Lfunc_end62-_ZN7rocprim17ROCPRIM_400000_NS6detail17trampoline_kernelINS0_14default_configENS1_32segmented_reduce_config_selectorIfEEZNS1_21segmented_reduce_implIS3_PKfPfPKifN6hipcub16HIPCUB_304000_NS6detail27convert_result_type_wrapperIS8_S9_N2at6native12_GLOBAL__N_19CustomMinEEEEE10hipError_tPvRmT0_T1_jT2_SQ_T4_T3_P12ihipStream_tbEUlT_E_NS1_11comp_targetILNS1_3genE10ELNS1_11target_archE1201ELNS1_3gpuE5ELNS1_3repE0EEENS1_30default_config_static_selectorELNS0_4arch9wavefront6targetE0EEEvSP_
                                        ; -- End function
	.set _ZN7rocprim17ROCPRIM_400000_NS6detail17trampoline_kernelINS0_14default_configENS1_32segmented_reduce_config_selectorIfEEZNS1_21segmented_reduce_implIS3_PKfPfPKifN6hipcub16HIPCUB_304000_NS6detail27convert_result_type_wrapperIS8_S9_N2at6native12_GLOBAL__N_19CustomMinEEEEE10hipError_tPvRmT0_T1_jT2_SQ_T4_T3_P12ihipStream_tbEUlT_E_NS1_11comp_targetILNS1_3genE10ELNS1_11target_archE1201ELNS1_3gpuE5ELNS1_3repE0EEENS1_30default_config_static_selectorELNS0_4arch9wavefront6targetE0EEEvSP_.num_vgpr, 0
	.set _ZN7rocprim17ROCPRIM_400000_NS6detail17trampoline_kernelINS0_14default_configENS1_32segmented_reduce_config_selectorIfEEZNS1_21segmented_reduce_implIS3_PKfPfPKifN6hipcub16HIPCUB_304000_NS6detail27convert_result_type_wrapperIS8_S9_N2at6native12_GLOBAL__N_19CustomMinEEEEE10hipError_tPvRmT0_T1_jT2_SQ_T4_T3_P12ihipStream_tbEUlT_E_NS1_11comp_targetILNS1_3genE10ELNS1_11target_archE1201ELNS1_3gpuE5ELNS1_3repE0EEENS1_30default_config_static_selectorELNS0_4arch9wavefront6targetE0EEEvSP_.num_agpr, 0
	.set _ZN7rocprim17ROCPRIM_400000_NS6detail17trampoline_kernelINS0_14default_configENS1_32segmented_reduce_config_selectorIfEEZNS1_21segmented_reduce_implIS3_PKfPfPKifN6hipcub16HIPCUB_304000_NS6detail27convert_result_type_wrapperIS8_S9_N2at6native12_GLOBAL__N_19CustomMinEEEEE10hipError_tPvRmT0_T1_jT2_SQ_T4_T3_P12ihipStream_tbEUlT_E_NS1_11comp_targetILNS1_3genE10ELNS1_11target_archE1201ELNS1_3gpuE5ELNS1_3repE0EEENS1_30default_config_static_selectorELNS0_4arch9wavefront6targetE0EEEvSP_.numbered_sgpr, 0
	.set _ZN7rocprim17ROCPRIM_400000_NS6detail17trampoline_kernelINS0_14default_configENS1_32segmented_reduce_config_selectorIfEEZNS1_21segmented_reduce_implIS3_PKfPfPKifN6hipcub16HIPCUB_304000_NS6detail27convert_result_type_wrapperIS8_S9_N2at6native12_GLOBAL__N_19CustomMinEEEEE10hipError_tPvRmT0_T1_jT2_SQ_T4_T3_P12ihipStream_tbEUlT_E_NS1_11comp_targetILNS1_3genE10ELNS1_11target_archE1201ELNS1_3gpuE5ELNS1_3repE0EEENS1_30default_config_static_selectorELNS0_4arch9wavefront6targetE0EEEvSP_.num_named_barrier, 0
	.set _ZN7rocprim17ROCPRIM_400000_NS6detail17trampoline_kernelINS0_14default_configENS1_32segmented_reduce_config_selectorIfEEZNS1_21segmented_reduce_implIS3_PKfPfPKifN6hipcub16HIPCUB_304000_NS6detail27convert_result_type_wrapperIS8_S9_N2at6native12_GLOBAL__N_19CustomMinEEEEE10hipError_tPvRmT0_T1_jT2_SQ_T4_T3_P12ihipStream_tbEUlT_E_NS1_11comp_targetILNS1_3genE10ELNS1_11target_archE1201ELNS1_3gpuE5ELNS1_3repE0EEENS1_30default_config_static_selectorELNS0_4arch9wavefront6targetE0EEEvSP_.private_seg_size, 0
	.set _ZN7rocprim17ROCPRIM_400000_NS6detail17trampoline_kernelINS0_14default_configENS1_32segmented_reduce_config_selectorIfEEZNS1_21segmented_reduce_implIS3_PKfPfPKifN6hipcub16HIPCUB_304000_NS6detail27convert_result_type_wrapperIS8_S9_N2at6native12_GLOBAL__N_19CustomMinEEEEE10hipError_tPvRmT0_T1_jT2_SQ_T4_T3_P12ihipStream_tbEUlT_E_NS1_11comp_targetILNS1_3genE10ELNS1_11target_archE1201ELNS1_3gpuE5ELNS1_3repE0EEENS1_30default_config_static_selectorELNS0_4arch9wavefront6targetE0EEEvSP_.uses_vcc, 0
	.set _ZN7rocprim17ROCPRIM_400000_NS6detail17trampoline_kernelINS0_14default_configENS1_32segmented_reduce_config_selectorIfEEZNS1_21segmented_reduce_implIS3_PKfPfPKifN6hipcub16HIPCUB_304000_NS6detail27convert_result_type_wrapperIS8_S9_N2at6native12_GLOBAL__N_19CustomMinEEEEE10hipError_tPvRmT0_T1_jT2_SQ_T4_T3_P12ihipStream_tbEUlT_E_NS1_11comp_targetILNS1_3genE10ELNS1_11target_archE1201ELNS1_3gpuE5ELNS1_3repE0EEENS1_30default_config_static_selectorELNS0_4arch9wavefront6targetE0EEEvSP_.uses_flat_scratch, 0
	.set _ZN7rocprim17ROCPRIM_400000_NS6detail17trampoline_kernelINS0_14default_configENS1_32segmented_reduce_config_selectorIfEEZNS1_21segmented_reduce_implIS3_PKfPfPKifN6hipcub16HIPCUB_304000_NS6detail27convert_result_type_wrapperIS8_S9_N2at6native12_GLOBAL__N_19CustomMinEEEEE10hipError_tPvRmT0_T1_jT2_SQ_T4_T3_P12ihipStream_tbEUlT_E_NS1_11comp_targetILNS1_3genE10ELNS1_11target_archE1201ELNS1_3gpuE5ELNS1_3repE0EEENS1_30default_config_static_selectorELNS0_4arch9wavefront6targetE0EEEvSP_.has_dyn_sized_stack, 0
	.set _ZN7rocprim17ROCPRIM_400000_NS6detail17trampoline_kernelINS0_14default_configENS1_32segmented_reduce_config_selectorIfEEZNS1_21segmented_reduce_implIS3_PKfPfPKifN6hipcub16HIPCUB_304000_NS6detail27convert_result_type_wrapperIS8_S9_N2at6native12_GLOBAL__N_19CustomMinEEEEE10hipError_tPvRmT0_T1_jT2_SQ_T4_T3_P12ihipStream_tbEUlT_E_NS1_11comp_targetILNS1_3genE10ELNS1_11target_archE1201ELNS1_3gpuE5ELNS1_3repE0EEENS1_30default_config_static_selectorELNS0_4arch9wavefront6targetE0EEEvSP_.has_recursion, 0
	.set _ZN7rocprim17ROCPRIM_400000_NS6detail17trampoline_kernelINS0_14default_configENS1_32segmented_reduce_config_selectorIfEEZNS1_21segmented_reduce_implIS3_PKfPfPKifN6hipcub16HIPCUB_304000_NS6detail27convert_result_type_wrapperIS8_S9_N2at6native12_GLOBAL__N_19CustomMinEEEEE10hipError_tPvRmT0_T1_jT2_SQ_T4_T3_P12ihipStream_tbEUlT_E_NS1_11comp_targetILNS1_3genE10ELNS1_11target_archE1201ELNS1_3gpuE5ELNS1_3repE0EEENS1_30default_config_static_selectorELNS0_4arch9wavefront6targetE0EEEvSP_.has_indirect_call, 0
	.section	.AMDGPU.csdata,"",@progbits
; Kernel info:
; codeLenInByte = 0
; TotalNumSgprs: 0
; NumVgprs: 0
; ScratchSize: 0
; MemoryBound: 0
; FloatMode: 240
; IeeeMode: 1
; LDSByteSize: 0 bytes/workgroup (compile time only)
; SGPRBlocks: 0
; VGPRBlocks: 0
; NumSGPRsForWavesPerEU: 1
; NumVGPRsForWavesPerEU: 1
; Occupancy: 16
; WaveLimiterHint : 0
; COMPUTE_PGM_RSRC2:SCRATCH_EN: 0
; COMPUTE_PGM_RSRC2:USER_SGPR: 6
; COMPUTE_PGM_RSRC2:TRAP_HANDLER: 0
; COMPUTE_PGM_RSRC2:TGID_X_EN: 1
; COMPUTE_PGM_RSRC2:TGID_Y_EN: 0
; COMPUTE_PGM_RSRC2:TGID_Z_EN: 0
; COMPUTE_PGM_RSRC2:TIDIG_COMP_CNT: 0
	.section	.text._ZN7rocprim17ROCPRIM_400000_NS6detail17trampoline_kernelINS0_14default_configENS1_32segmented_reduce_config_selectorIfEEZNS1_21segmented_reduce_implIS3_PKfPfPKifN6hipcub16HIPCUB_304000_NS6detail27convert_result_type_wrapperIS8_S9_N2at6native12_GLOBAL__N_19CustomMinEEEEE10hipError_tPvRmT0_T1_jT2_SQ_T4_T3_P12ihipStream_tbEUlT_E_NS1_11comp_targetILNS1_3genE4ELNS1_11target_archE910ELNS1_3gpuE8ELNS1_3repE0EEENS1_30default_config_static_selectorELNS0_4arch9wavefront6targetE0EEEvSP_,"axG",@progbits,_ZN7rocprim17ROCPRIM_400000_NS6detail17trampoline_kernelINS0_14default_configENS1_32segmented_reduce_config_selectorIfEEZNS1_21segmented_reduce_implIS3_PKfPfPKifN6hipcub16HIPCUB_304000_NS6detail27convert_result_type_wrapperIS8_S9_N2at6native12_GLOBAL__N_19CustomMinEEEEE10hipError_tPvRmT0_T1_jT2_SQ_T4_T3_P12ihipStream_tbEUlT_E_NS1_11comp_targetILNS1_3genE4ELNS1_11target_archE910ELNS1_3gpuE8ELNS1_3repE0EEENS1_30default_config_static_selectorELNS0_4arch9wavefront6targetE0EEEvSP_,comdat
	.globl	_ZN7rocprim17ROCPRIM_400000_NS6detail17trampoline_kernelINS0_14default_configENS1_32segmented_reduce_config_selectorIfEEZNS1_21segmented_reduce_implIS3_PKfPfPKifN6hipcub16HIPCUB_304000_NS6detail27convert_result_type_wrapperIS8_S9_N2at6native12_GLOBAL__N_19CustomMinEEEEE10hipError_tPvRmT0_T1_jT2_SQ_T4_T3_P12ihipStream_tbEUlT_E_NS1_11comp_targetILNS1_3genE4ELNS1_11target_archE910ELNS1_3gpuE8ELNS1_3repE0EEENS1_30default_config_static_selectorELNS0_4arch9wavefront6targetE0EEEvSP_ ; -- Begin function _ZN7rocprim17ROCPRIM_400000_NS6detail17trampoline_kernelINS0_14default_configENS1_32segmented_reduce_config_selectorIfEEZNS1_21segmented_reduce_implIS3_PKfPfPKifN6hipcub16HIPCUB_304000_NS6detail27convert_result_type_wrapperIS8_S9_N2at6native12_GLOBAL__N_19CustomMinEEEEE10hipError_tPvRmT0_T1_jT2_SQ_T4_T3_P12ihipStream_tbEUlT_E_NS1_11comp_targetILNS1_3genE4ELNS1_11target_archE910ELNS1_3gpuE8ELNS1_3repE0EEENS1_30default_config_static_selectorELNS0_4arch9wavefront6targetE0EEEvSP_
	.p2align	8
	.type	_ZN7rocprim17ROCPRIM_400000_NS6detail17trampoline_kernelINS0_14default_configENS1_32segmented_reduce_config_selectorIfEEZNS1_21segmented_reduce_implIS3_PKfPfPKifN6hipcub16HIPCUB_304000_NS6detail27convert_result_type_wrapperIS8_S9_N2at6native12_GLOBAL__N_19CustomMinEEEEE10hipError_tPvRmT0_T1_jT2_SQ_T4_T3_P12ihipStream_tbEUlT_E_NS1_11comp_targetILNS1_3genE4ELNS1_11target_archE910ELNS1_3gpuE8ELNS1_3repE0EEENS1_30default_config_static_selectorELNS0_4arch9wavefront6targetE0EEEvSP_,@function
_ZN7rocprim17ROCPRIM_400000_NS6detail17trampoline_kernelINS0_14default_configENS1_32segmented_reduce_config_selectorIfEEZNS1_21segmented_reduce_implIS3_PKfPfPKifN6hipcub16HIPCUB_304000_NS6detail27convert_result_type_wrapperIS8_S9_N2at6native12_GLOBAL__N_19CustomMinEEEEE10hipError_tPvRmT0_T1_jT2_SQ_T4_T3_P12ihipStream_tbEUlT_E_NS1_11comp_targetILNS1_3genE4ELNS1_11target_archE910ELNS1_3gpuE8ELNS1_3repE0EEENS1_30default_config_static_selectorELNS0_4arch9wavefront6targetE0EEEvSP_: ; @_ZN7rocprim17ROCPRIM_400000_NS6detail17trampoline_kernelINS0_14default_configENS1_32segmented_reduce_config_selectorIfEEZNS1_21segmented_reduce_implIS3_PKfPfPKifN6hipcub16HIPCUB_304000_NS6detail27convert_result_type_wrapperIS8_S9_N2at6native12_GLOBAL__N_19CustomMinEEEEE10hipError_tPvRmT0_T1_jT2_SQ_T4_T3_P12ihipStream_tbEUlT_E_NS1_11comp_targetILNS1_3genE4ELNS1_11target_archE910ELNS1_3gpuE8ELNS1_3repE0EEENS1_30default_config_static_selectorELNS0_4arch9wavefront6targetE0EEEvSP_
; %bb.0:
	.section	.rodata,"a",@progbits
	.p2align	6, 0x0
	.amdhsa_kernel _ZN7rocprim17ROCPRIM_400000_NS6detail17trampoline_kernelINS0_14default_configENS1_32segmented_reduce_config_selectorIfEEZNS1_21segmented_reduce_implIS3_PKfPfPKifN6hipcub16HIPCUB_304000_NS6detail27convert_result_type_wrapperIS8_S9_N2at6native12_GLOBAL__N_19CustomMinEEEEE10hipError_tPvRmT0_T1_jT2_SQ_T4_T3_P12ihipStream_tbEUlT_E_NS1_11comp_targetILNS1_3genE4ELNS1_11target_archE910ELNS1_3gpuE8ELNS1_3repE0EEENS1_30default_config_static_selectorELNS0_4arch9wavefront6targetE0EEEvSP_
		.amdhsa_group_segment_fixed_size 0
		.amdhsa_private_segment_fixed_size 0
		.amdhsa_kernarg_size 48
		.amdhsa_user_sgpr_count 6
		.amdhsa_user_sgpr_private_segment_buffer 1
		.amdhsa_user_sgpr_dispatch_ptr 0
		.amdhsa_user_sgpr_queue_ptr 0
		.amdhsa_user_sgpr_kernarg_segment_ptr 1
		.amdhsa_user_sgpr_dispatch_id 0
		.amdhsa_user_sgpr_flat_scratch_init 0
		.amdhsa_user_sgpr_private_segment_size 0
		.amdhsa_wavefront_size32 1
		.amdhsa_uses_dynamic_stack 0
		.amdhsa_system_sgpr_private_segment_wavefront_offset 0
		.amdhsa_system_sgpr_workgroup_id_x 1
		.amdhsa_system_sgpr_workgroup_id_y 0
		.amdhsa_system_sgpr_workgroup_id_z 0
		.amdhsa_system_sgpr_workgroup_info 0
		.amdhsa_system_vgpr_workitem_id 0
		.amdhsa_next_free_vgpr 1
		.amdhsa_next_free_sgpr 1
		.amdhsa_reserve_vcc 0
		.amdhsa_reserve_flat_scratch 0
		.amdhsa_float_round_mode_32 0
		.amdhsa_float_round_mode_16_64 0
		.amdhsa_float_denorm_mode_32 3
		.amdhsa_float_denorm_mode_16_64 3
		.amdhsa_dx10_clamp 1
		.amdhsa_ieee_mode 1
		.amdhsa_fp16_overflow 0
		.amdhsa_workgroup_processor_mode 1
		.amdhsa_memory_ordered 1
		.amdhsa_forward_progress 1
		.amdhsa_shared_vgpr_count 0
		.amdhsa_exception_fp_ieee_invalid_op 0
		.amdhsa_exception_fp_denorm_src 0
		.amdhsa_exception_fp_ieee_div_zero 0
		.amdhsa_exception_fp_ieee_overflow 0
		.amdhsa_exception_fp_ieee_underflow 0
		.amdhsa_exception_fp_ieee_inexact 0
		.amdhsa_exception_int_div_zero 0
	.end_amdhsa_kernel
	.section	.text._ZN7rocprim17ROCPRIM_400000_NS6detail17trampoline_kernelINS0_14default_configENS1_32segmented_reduce_config_selectorIfEEZNS1_21segmented_reduce_implIS3_PKfPfPKifN6hipcub16HIPCUB_304000_NS6detail27convert_result_type_wrapperIS8_S9_N2at6native12_GLOBAL__N_19CustomMinEEEEE10hipError_tPvRmT0_T1_jT2_SQ_T4_T3_P12ihipStream_tbEUlT_E_NS1_11comp_targetILNS1_3genE4ELNS1_11target_archE910ELNS1_3gpuE8ELNS1_3repE0EEENS1_30default_config_static_selectorELNS0_4arch9wavefront6targetE0EEEvSP_,"axG",@progbits,_ZN7rocprim17ROCPRIM_400000_NS6detail17trampoline_kernelINS0_14default_configENS1_32segmented_reduce_config_selectorIfEEZNS1_21segmented_reduce_implIS3_PKfPfPKifN6hipcub16HIPCUB_304000_NS6detail27convert_result_type_wrapperIS8_S9_N2at6native12_GLOBAL__N_19CustomMinEEEEE10hipError_tPvRmT0_T1_jT2_SQ_T4_T3_P12ihipStream_tbEUlT_E_NS1_11comp_targetILNS1_3genE4ELNS1_11target_archE910ELNS1_3gpuE8ELNS1_3repE0EEENS1_30default_config_static_selectorELNS0_4arch9wavefront6targetE0EEEvSP_,comdat
.Lfunc_end63:
	.size	_ZN7rocprim17ROCPRIM_400000_NS6detail17trampoline_kernelINS0_14default_configENS1_32segmented_reduce_config_selectorIfEEZNS1_21segmented_reduce_implIS3_PKfPfPKifN6hipcub16HIPCUB_304000_NS6detail27convert_result_type_wrapperIS8_S9_N2at6native12_GLOBAL__N_19CustomMinEEEEE10hipError_tPvRmT0_T1_jT2_SQ_T4_T3_P12ihipStream_tbEUlT_E_NS1_11comp_targetILNS1_3genE4ELNS1_11target_archE910ELNS1_3gpuE8ELNS1_3repE0EEENS1_30default_config_static_selectorELNS0_4arch9wavefront6targetE0EEEvSP_, .Lfunc_end63-_ZN7rocprim17ROCPRIM_400000_NS6detail17trampoline_kernelINS0_14default_configENS1_32segmented_reduce_config_selectorIfEEZNS1_21segmented_reduce_implIS3_PKfPfPKifN6hipcub16HIPCUB_304000_NS6detail27convert_result_type_wrapperIS8_S9_N2at6native12_GLOBAL__N_19CustomMinEEEEE10hipError_tPvRmT0_T1_jT2_SQ_T4_T3_P12ihipStream_tbEUlT_E_NS1_11comp_targetILNS1_3genE4ELNS1_11target_archE910ELNS1_3gpuE8ELNS1_3repE0EEENS1_30default_config_static_selectorELNS0_4arch9wavefront6targetE0EEEvSP_
                                        ; -- End function
	.set _ZN7rocprim17ROCPRIM_400000_NS6detail17trampoline_kernelINS0_14default_configENS1_32segmented_reduce_config_selectorIfEEZNS1_21segmented_reduce_implIS3_PKfPfPKifN6hipcub16HIPCUB_304000_NS6detail27convert_result_type_wrapperIS8_S9_N2at6native12_GLOBAL__N_19CustomMinEEEEE10hipError_tPvRmT0_T1_jT2_SQ_T4_T3_P12ihipStream_tbEUlT_E_NS1_11comp_targetILNS1_3genE4ELNS1_11target_archE910ELNS1_3gpuE8ELNS1_3repE0EEENS1_30default_config_static_selectorELNS0_4arch9wavefront6targetE0EEEvSP_.num_vgpr, 0
	.set _ZN7rocprim17ROCPRIM_400000_NS6detail17trampoline_kernelINS0_14default_configENS1_32segmented_reduce_config_selectorIfEEZNS1_21segmented_reduce_implIS3_PKfPfPKifN6hipcub16HIPCUB_304000_NS6detail27convert_result_type_wrapperIS8_S9_N2at6native12_GLOBAL__N_19CustomMinEEEEE10hipError_tPvRmT0_T1_jT2_SQ_T4_T3_P12ihipStream_tbEUlT_E_NS1_11comp_targetILNS1_3genE4ELNS1_11target_archE910ELNS1_3gpuE8ELNS1_3repE0EEENS1_30default_config_static_selectorELNS0_4arch9wavefront6targetE0EEEvSP_.num_agpr, 0
	.set _ZN7rocprim17ROCPRIM_400000_NS6detail17trampoline_kernelINS0_14default_configENS1_32segmented_reduce_config_selectorIfEEZNS1_21segmented_reduce_implIS3_PKfPfPKifN6hipcub16HIPCUB_304000_NS6detail27convert_result_type_wrapperIS8_S9_N2at6native12_GLOBAL__N_19CustomMinEEEEE10hipError_tPvRmT0_T1_jT2_SQ_T4_T3_P12ihipStream_tbEUlT_E_NS1_11comp_targetILNS1_3genE4ELNS1_11target_archE910ELNS1_3gpuE8ELNS1_3repE0EEENS1_30default_config_static_selectorELNS0_4arch9wavefront6targetE0EEEvSP_.numbered_sgpr, 0
	.set _ZN7rocprim17ROCPRIM_400000_NS6detail17trampoline_kernelINS0_14default_configENS1_32segmented_reduce_config_selectorIfEEZNS1_21segmented_reduce_implIS3_PKfPfPKifN6hipcub16HIPCUB_304000_NS6detail27convert_result_type_wrapperIS8_S9_N2at6native12_GLOBAL__N_19CustomMinEEEEE10hipError_tPvRmT0_T1_jT2_SQ_T4_T3_P12ihipStream_tbEUlT_E_NS1_11comp_targetILNS1_3genE4ELNS1_11target_archE910ELNS1_3gpuE8ELNS1_3repE0EEENS1_30default_config_static_selectorELNS0_4arch9wavefront6targetE0EEEvSP_.num_named_barrier, 0
	.set _ZN7rocprim17ROCPRIM_400000_NS6detail17trampoline_kernelINS0_14default_configENS1_32segmented_reduce_config_selectorIfEEZNS1_21segmented_reduce_implIS3_PKfPfPKifN6hipcub16HIPCUB_304000_NS6detail27convert_result_type_wrapperIS8_S9_N2at6native12_GLOBAL__N_19CustomMinEEEEE10hipError_tPvRmT0_T1_jT2_SQ_T4_T3_P12ihipStream_tbEUlT_E_NS1_11comp_targetILNS1_3genE4ELNS1_11target_archE910ELNS1_3gpuE8ELNS1_3repE0EEENS1_30default_config_static_selectorELNS0_4arch9wavefront6targetE0EEEvSP_.private_seg_size, 0
	.set _ZN7rocprim17ROCPRIM_400000_NS6detail17trampoline_kernelINS0_14default_configENS1_32segmented_reduce_config_selectorIfEEZNS1_21segmented_reduce_implIS3_PKfPfPKifN6hipcub16HIPCUB_304000_NS6detail27convert_result_type_wrapperIS8_S9_N2at6native12_GLOBAL__N_19CustomMinEEEEE10hipError_tPvRmT0_T1_jT2_SQ_T4_T3_P12ihipStream_tbEUlT_E_NS1_11comp_targetILNS1_3genE4ELNS1_11target_archE910ELNS1_3gpuE8ELNS1_3repE0EEENS1_30default_config_static_selectorELNS0_4arch9wavefront6targetE0EEEvSP_.uses_vcc, 0
	.set _ZN7rocprim17ROCPRIM_400000_NS6detail17trampoline_kernelINS0_14default_configENS1_32segmented_reduce_config_selectorIfEEZNS1_21segmented_reduce_implIS3_PKfPfPKifN6hipcub16HIPCUB_304000_NS6detail27convert_result_type_wrapperIS8_S9_N2at6native12_GLOBAL__N_19CustomMinEEEEE10hipError_tPvRmT0_T1_jT2_SQ_T4_T3_P12ihipStream_tbEUlT_E_NS1_11comp_targetILNS1_3genE4ELNS1_11target_archE910ELNS1_3gpuE8ELNS1_3repE0EEENS1_30default_config_static_selectorELNS0_4arch9wavefront6targetE0EEEvSP_.uses_flat_scratch, 0
	.set _ZN7rocprim17ROCPRIM_400000_NS6detail17trampoline_kernelINS0_14default_configENS1_32segmented_reduce_config_selectorIfEEZNS1_21segmented_reduce_implIS3_PKfPfPKifN6hipcub16HIPCUB_304000_NS6detail27convert_result_type_wrapperIS8_S9_N2at6native12_GLOBAL__N_19CustomMinEEEEE10hipError_tPvRmT0_T1_jT2_SQ_T4_T3_P12ihipStream_tbEUlT_E_NS1_11comp_targetILNS1_3genE4ELNS1_11target_archE910ELNS1_3gpuE8ELNS1_3repE0EEENS1_30default_config_static_selectorELNS0_4arch9wavefront6targetE0EEEvSP_.has_dyn_sized_stack, 0
	.set _ZN7rocprim17ROCPRIM_400000_NS6detail17trampoline_kernelINS0_14default_configENS1_32segmented_reduce_config_selectorIfEEZNS1_21segmented_reduce_implIS3_PKfPfPKifN6hipcub16HIPCUB_304000_NS6detail27convert_result_type_wrapperIS8_S9_N2at6native12_GLOBAL__N_19CustomMinEEEEE10hipError_tPvRmT0_T1_jT2_SQ_T4_T3_P12ihipStream_tbEUlT_E_NS1_11comp_targetILNS1_3genE4ELNS1_11target_archE910ELNS1_3gpuE8ELNS1_3repE0EEENS1_30default_config_static_selectorELNS0_4arch9wavefront6targetE0EEEvSP_.has_recursion, 0
	.set _ZN7rocprim17ROCPRIM_400000_NS6detail17trampoline_kernelINS0_14default_configENS1_32segmented_reduce_config_selectorIfEEZNS1_21segmented_reduce_implIS3_PKfPfPKifN6hipcub16HIPCUB_304000_NS6detail27convert_result_type_wrapperIS8_S9_N2at6native12_GLOBAL__N_19CustomMinEEEEE10hipError_tPvRmT0_T1_jT2_SQ_T4_T3_P12ihipStream_tbEUlT_E_NS1_11comp_targetILNS1_3genE4ELNS1_11target_archE910ELNS1_3gpuE8ELNS1_3repE0EEENS1_30default_config_static_selectorELNS0_4arch9wavefront6targetE0EEEvSP_.has_indirect_call, 0
	.section	.AMDGPU.csdata,"",@progbits
; Kernel info:
; codeLenInByte = 0
; TotalNumSgprs: 0
; NumVgprs: 0
; ScratchSize: 0
; MemoryBound: 0
; FloatMode: 240
; IeeeMode: 1
; LDSByteSize: 0 bytes/workgroup (compile time only)
; SGPRBlocks: 0
; VGPRBlocks: 0
; NumSGPRsForWavesPerEU: 1
; NumVGPRsForWavesPerEU: 1
; Occupancy: 16
; WaveLimiterHint : 0
; COMPUTE_PGM_RSRC2:SCRATCH_EN: 0
; COMPUTE_PGM_RSRC2:USER_SGPR: 6
; COMPUTE_PGM_RSRC2:TRAP_HANDLER: 0
; COMPUTE_PGM_RSRC2:TGID_X_EN: 1
; COMPUTE_PGM_RSRC2:TGID_Y_EN: 0
; COMPUTE_PGM_RSRC2:TGID_Z_EN: 0
; COMPUTE_PGM_RSRC2:TIDIG_COMP_CNT: 0
	.section	.text._ZN7rocprim17ROCPRIM_400000_NS6detail17trampoline_kernelINS0_14default_configENS1_32segmented_reduce_config_selectorIfEEZNS1_21segmented_reduce_implIS3_PKfPfPKifN6hipcub16HIPCUB_304000_NS6detail27convert_result_type_wrapperIS8_S9_N2at6native12_GLOBAL__N_19CustomMinEEEEE10hipError_tPvRmT0_T1_jT2_SQ_T4_T3_P12ihipStream_tbEUlT_E_NS1_11comp_targetILNS1_3genE3ELNS1_11target_archE908ELNS1_3gpuE7ELNS1_3repE0EEENS1_30default_config_static_selectorELNS0_4arch9wavefront6targetE0EEEvSP_,"axG",@progbits,_ZN7rocprim17ROCPRIM_400000_NS6detail17trampoline_kernelINS0_14default_configENS1_32segmented_reduce_config_selectorIfEEZNS1_21segmented_reduce_implIS3_PKfPfPKifN6hipcub16HIPCUB_304000_NS6detail27convert_result_type_wrapperIS8_S9_N2at6native12_GLOBAL__N_19CustomMinEEEEE10hipError_tPvRmT0_T1_jT2_SQ_T4_T3_P12ihipStream_tbEUlT_E_NS1_11comp_targetILNS1_3genE3ELNS1_11target_archE908ELNS1_3gpuE7ELNS1_3repE0EEENS1_30default_config_static_selectorELNS0_4arch9wavefront6targetE0EEEvSP_,comdat
	.globl	_ZN7rocprim17ROCPRIM_400000_NS6detail17trampoline_kernelINS0_14default_configENS1_32segmented_reduce_config_selectorIfEEZNS1_21segmented_reduce_implIS3_PKfPfPKifN6hipcub16HIPCUB_304000_NS6detail27convert_result_type_wrapperIS8_S9_N2at6native12_GLOBAL__N_19CustomMinEEEEE10hipError_tPvRmT0_T1_jT2_SQ_T4_T3_P12ihipStream_tbEUlT_E_NS1_11comp_targetILNS1_3genE3ELNS1_11target_archE908ELNS1_3gpuE7ELNS1_3repE0EEENS1_30default_config_static_selectorELNS0_4arch9wavefront6targetE0EEEvSP_ ; -- Begin function _ZN7rocprim17ROCPRIM_400000_NS6detail17trampoline_kernelINS0_14default_configENS1_32segmented_reduce_config_selectorIfEEZNS1_21segmented_reduce_implIS3_PKfPfPKifN6hipcub16HIPCUB_304000_NS6detail27convert_result_type_wrapperIS8_S9_N2at6native12_GLOBAL__N_19CustomMinEEEEE10hipError_tPvRmT0_T1_jT2_SQ_T4_T3_P12ihipStream_tbEUlT_E_NS1_11comp_targetILNS1_3genE3ELNS1_11target_archE908ELNS1_3gpuE7ELNS1_3repE0EEENS1_30default_config_static_selectorELNS0_4arch9wavefront6targetE0EEEvSP_
	.p2align	8
	.type	_ZN7rocprim17ROCPRIM_400000_NS6detail17trampoline_kernelINS0_14default_configENS1_32segmented_reduce_config_selectorIfEEZNS1_21segmented_reduce_implIS3_PKfPfPKifN6hipcub16HIPCUB_304000_NS6detail27convert_result_type_wrapperIS8_S9_N2at6native12_GLOBAL__N_19CustomMinEEEEE10hipError_tPvRmT0_T1_jT2_SQ_T4_T3_P12ihipStream_tbEUlT_E_NS1_11comp_targetILNS1_3genE3ELNS1_11target_archE908ELNS1_3gpuE7ELNS1_3repE0EEENS1_30default_config_static_selectorELNS0_4arch9wavefront6targetE0EEEvSP_,@function
_ZN7rocprim17ROCPRIM_400000_NS6detail17trampoline_kernelINS0_14default_configENS1_32segmented_reduce_config_selectorIfEEZNS1_21segmented_reduce_implIS3_PKfPfPKifN6hipcub16HIPCUB_304000_NS6detail27convert_result_type_wrapperIS8_S9_N2at6native12_GLOBAL__N_19CustomMinEEEEE10hipError_tPvRmT0_T1_jT2_SQ_T4_T3_P12ihipStream_tbEUlT_E_NS1_11comp_targetILNS1_3genE3ELNS1_11target_archE908ELNS1_3gpuE7ELNS1_3repE0EEENS1_30default_config_static_selectorELNS0_4arch9wavefront6targetE0EEEvSP_: ; @_ZN7rocprim17ROCPRIM_400000_NS6detail17trampoline_kernelINS0_14default_configENS1_32segmented_reduce_config_selectorIfEEZNS1_21segmented_reduce_implIS3_PKfPfPKifN6hipcub16HIPCUB_304000_NS6detail27convert_result_type_wrapperIS8_S9_N2at6native12_GLOBAL__N_19CustomMinEEEEE10hipError_tPvRmT0_T1_jT2_SQ_T4_T3_P12ihipStream_tbEUlT_E_NS1_11comp_targetILNS1_3genE3ELNS1_11target_archE908ELNS1_3gpuE7ELNS1_3repE0EEENS1_30default_config_static_selectorELNS0_4arch9wavefront6targetE0EEEvSP_
; %bb.0:
	.section	.rodata,"a",@progbits
	.p2align	6, 0x0
	.amdhsa_kernel _ZN7rocprim17ROCPRIM_400000_NS6detail17trampoline_kernelINS0_14default_configENS1_32segmented_reduce_config_selectorIfEEZNS1_21segmented_reduce_implIS3_PKfPfPKifN6hipcub16HIPCUB_304000_NS6detail27convert_result_type_wrapperIS8_S9_N2at6native12_GLOBAL__N_19CustomMinEEEEE10hipError_tPvRmT0_T1_jT2_SQ_T4_T3_P12ihipStream_tbEUlT_E_NS1_11comp_targetILNS1_3genE3ELNS1_11target_archE908ELNS1_3gpuE7ELNS1_3repE0EEENS1_30default_config_static_selectorELNS0_4arch9wavefront6targetE0EEEvSP_
		.amdhsa_group_segment_fixed_size 0
		.amdhsa_private_segment_fixed_size 0
		.amdhsa_kernarg_size 48
		.amdhsa_user_sgpr_count 6
		.amdhsa_user_sgpr_private_segment_buffer 1
		.amdhsa_user_sgpr_dispatch_ptr 0
		.amdhsa_user_sgpr_queue_ptr 0
		.amdhsa_user_sgpr_kernarg_segment_ptr 1
		.amdhsa_user_sgpr_dispatch_id 0
		.amdhsa_user_sgpr_flat_scratch_init 0
		.amdhsa_user_sgpr_private_segment_size 0
		.amdhsa_wavefront_size32 1
		.amdhsa_uses_dynamic_stack 0
		.amdhsa_system_sgpr_private_segment_wavefront_offset 0
		.amdhsa_system_sgpr_workgroup_id_x 1
		.amdhsa_system_sgpr_workgroup_id_y 0
		.amdhsa_system_sgpr_workgroup_id_z 0
		.amdhsa_system_sgpr_workgroup_info 0
		.amdhsa_system_vgpr_workitem_id 0
		.amdhsa_next_free_vgpr 1
		.amdhsa_next_free_sgpr 1
		.amdhsa_reserve_vcc 0
		.amdhsa_reserve_flat_scratch 0
		.amdhsa_float_round_mode_32 0
		.amdhsa_float_round_mode_16_64 0
		.amdhsa_float_denorm_mode_32 3
		.amdhsa_float_denorm_mode_16_64 3
		.amdhsa_dx10_clamp 1
		.amdhsa_ieee_mode 1
		.amdhsa_fp16_overflow 0
		.amdhsa_workgroup_processor_mode 1
		.amdhsa_memory_ordered 1
		.amdhsa_forward_progress 1
		.amdhsa_shared_vgpr_count 0
		.amdhsa_exception_fp_ieee_invalid_op 0
		.amdhsa_exception_fp_denorm_src 0
		.amdhsa_exception_fp_ieee_div_zero 0
		.amdhsa_exception_fp_ieee_overflow 0
		.amdhsa_exception_fp_ieee_underflow 0
		.amdhsa_exception_fp_ieee_inexact 0
		.amdhsa_exception_int_div_zero 0
	.end_amdhsa_kernel
	.section	.text._ZN7rocprim17ROCPRIM_400000_NS6detail17trampoline_kernelINS0_14default_configENS1_32segmented_reduce_config_selectorIfEEZNS1_21segmented_reduce_implIS3_PKfPfPKifN6hipcub16HIPCUB_304000_NS6detail27convert_result_type_wrapperIS8_S9_N2at6native12_GLOBAL__N_19CustomMinEEEEE10hipError_tPvRmT0_T1_jT2_SQ_T4_T3_P12ihipStream_tbEUlT_E_NS1_11comp_targetILNS1_3genE3ELNS1_11target_archE908ELNS1_3gpuE7ELNS1_3repE0EEENS1_30default_config_static_selectorELNS0_4arch9wavefront6targetE0EEEvSP_,"axG",@progbits,_ZN7rocprim17ROCPRIM_400000_NS6detail17trampoline_kernelINS0_14default_configENS1_32segmented_reduce_config_selectorIfEEZNS1_21segmented_reduce_implIS3_PKfPfPKifN6hipcub16HIPCUB_304000_NS6detail27convert_result_type_wrapperIS8_S9_N2at6native12_GLOBAL__N_19CustomMinEEEEE10hipError_tPvRmT0_T1_jT2_SQ_T4_T3_P12ihipStream_tbEUlT_E_NS1_11comp_targetILNS1_3genE3ELNS1_11target_archE908ELNS1_3gpuE7ELNS1_3repE0EEENS1_30default_config_static_selectorELNS0_4arch9wavefront6targetE0EEEvSP_,comdat
.Lfunc_end64:
	.size	_ZN7rocprim17ROCPRIM_400000_NS6detail17trampoline_kernelINS0_14default_configENS1_32segmented_reduce_config_selectorIfEEZNS1_21segmented_reduce_implIS3_PKfPfPKifN6hipcub16HIPCUB_304000_NS6detail27convert_result_type_wrapperIS8_S9_N2at6native12_GLOBAL__N_19CustomMinEEEEE10hipError_tPvRmT0_T1_jT2_SQ_T4_T3_P12ihipStream_tbEUlT_E_NS1_11comp_targetILNS1_3genE3ELNS1_11target_archE908ELNS1_3gpuE7ELNS1_3repE0EEENS1_30default_config_static_selectorELNS0_4arch9wavefront6targetE0EEEvSP_, .Lfunc_end64-_ZN7rocprim17ROCPRIM_400000_NS6detail17trampoline_kernelINS0_14default_configENS1_32segmented_reduce_config_selectorIfEEZNS1_21segmented_reduce_implIS3_PKfPfPKifN6hipcub16HIPCUB_304000_NS6detail27convert_result_type_wrapperIS8_S9_N2at6native12_GLOBAL__N_19CustomMinEEEEE10hipError_tPvRmT0_T1_jT2_SQ_T4_T3_P12ihipStream_tbEUlT_E_NS1_11comp_targetILNS1_3genE3ELNS1_11target_archE908ELNS1_3gpuE7ELNS1_3repE0EEENS1_30default_config_static_selectorELNS0_4arch9wavefront6targetE0EEEvSP_
                                        ; -- End function
	.set _ZN7rocprim17ROCPRIM_400000_NS6detail17trampoline_kernelINS0_14default_configENS1_32segmented_reduce_config_selectorIfEEZNS1_21segmented_reduce_implIS3_PKfPfPKifN6hipcub16HIPCUB_304000_NS6detail27convert_result_type_wrapperIS8_S9_N2at6native12_GLOBAL__N_19CustomMinEEEEE10hipError_tPvRmT0_T1_jT2_SQ_T4_T3_P12ihipStream_tbEUlT_E_NS1_11comp_targetILNS1_3genE3ELNS1_11target_archE908ELNS1_3gpuE7ELNS1_3repE0EEENS1_30default_config_static_selectorELNS0_4arch9wavefront6targetE0EEEvSP_.num_vgpr, 0
	.set _ZN7rocprim17ROCPRIM_400000_NS6detail17trampoline_kernelINS0_14default_configENS1_32segmented_reduce_config_selectorIfEEZNS1_21segmented_reduce_implIS3_PKfPfPKifN6hipcub16HIPCUB_304000_NS6detail27convert_result_type_wrapperIS8_S9_N2at6native12_GLOBAL__N_19CustomMinEEEEE10hipError_tPvRmT0_T1_jT2_SQ_T4_T3_P12ihipStream_tbEUlT_E_NS1_11comp_targetILNS1_3genE3ELNS1_11target_archE908ELNS1_3gpuE7ELNS1_3repE0EEENS1_30default_config_static_selectorELNS0_4arch9wavefront6targetE0EEEvSP_.num_agpr, 0
	.set _ZN7rocprim17ROCPRIM_400000_NS6detail17trampoline_kernelINS0_14default_configENS1_32segmented_reduce_config_selectorIfEEZNS1_21segmented_reduce_implIS3_PKfPfPKifN6hipcub16HIPCUB_304000_NS6detail27convert_result_type_wrapperIS8_S9_N2at6native12_GLOBAL__N_19CustomMinEEEEE10hipError_tPvRmT0_T1_jT2_SQ_T4_T3_P12ihipStream_tbEUlT_E_NS1_11comp_targetILNS1_3genE3ELNS1_11target_archE908ELNS1_3gpuE7ELNS1_3repE0EEENS1_30default_config_static_selectorELNS0_4arch9wavefront6targetE0EEEvSP_.numbered_sgpr, 0
	.set _ZN7rocprim17ROCPRIM_400000_NS6detail17trampoline_kernelINS0_14default_configENS1_32segmented_reduce_config_selectorIfEEZNS1_21segmented_reduce_implIS3_PKfPfPKifN6hipcub16HIPCUB_304000_NS6detail27convert_result_type_wrapperIS8_S9_N2at6native12_GLOBAL__N_19CustomMinEEEEE10hipError_tPvRmT0_T1_jT2_SQ_T4_T3_P12ihipStream_tbEUlT_E_NS1_11comp_targetILNS1_3genE3ELNS1_11target_archE908ELNS1_3gpuE7ELNS1_3repE0EEENS1_30default_config_static_selectorELNS0_4arch9wavefront6targetE0EEEvSP_.num_named_barrier, 0
	.set _ZN7rocprim17ROCPRIM_400000_NS6detail17trampoline_kernelINS0_14default_configENS1_32segmented_reduce_config_selectorIfEEZNS1_21segmented_reduce_implIS3_PKfPfPKifN6hipcub16HIPCUB_304000_NS6detail27convert_result_type_wrapperIS8_S9_N2at6native12_GLOBAL__N_19CustomMinEEEEE10hipError_tPvRmT0_T1_jT2_SQ_T4_T3_P12ihipStream_tbEUlT_E_NS1_11comp_targetILNS1_3genE3ELNS1_11target_archE908ELNS1_3gpuE7ELNS1_3repE0EEENS1_30default_config_static_selectorELNS0_4arch9wavefront6targetE0EEEvSP_.private_seg_size, 0
	.set _ZN7rocprim17ROCPRIM_400000_NS6detail17trampoline_kernelINS0_14default_configENS1_32segmented_reduce_config_selectorIfEEZNS1_21segmented_reduce_implIS3_PKfPfPKifN6hipcub16HIPCUB_304000_NS6detail27convert_result_type_wrapperIS8_S9_N2at6native12_GLOBAL__N_19CustomMinEEEEE10hipError_tPvRmT0_T1_jT2_SQ_T4_T3_P12ihipStream_tbEUlT_E_NS1_11comp_targetILNS1_3genE3ELNS1_11target_archE908ELNS1_3gpuE7ELNS1_3repE0EEENS1_30default_config_static_selectorELNS0_4arch9wavefront6targetE0EEEvSP_.uses_vcc, 0
	.set _ZN7rocprim17ROCPRIM_400000_NS6detail17trampoline_kernelINS0_14default_configENS1_32segmented_reduce_config_selectorIfEEZNS1_21segmented_reduce_implIS3_PKfPfPKifN6hipcub16HIPCUB_304000_NS6detail27convert_result_type_wrapperIS8_S9_N2at6native12_GLOBAL__N_19CustomMinEEEEE10hipError_tPvRmT0_T1_jT2_SQ_T4_T3_P12ihipStream_tbEUlT_E_NS1_11comp_targetILNS1_3genE3ELNS1_11target_archE908ELNS1_3gpuE7ELNS1_3repE0EEENS1_30default_config_static_selectorELNS0_4arch9wavefront6targetE0EEEvSP_.uses_flat_scratch, 0
	.set _ZN7rocprim17ROCPRIM_400000_NS6detail17trampoline_kernelINS0_14default_configENS1_32segmented_reduce_config_selectorIfEEZNS1_21segmented_reduce_implIS3_PKfPfPKifN6hipcub16HIPCUB_304000_NS6detail27convert_result_type_wrapperIS8_S9_N2at6native12_GLOBAL__N_19CustomMinEEEEE10hipError_tPvRmT0_T1_jT2_SQ_T4_T3_P12ihipStream_tbEUlT_E_NS1_11comp_targetILNS1_3genE3ELNS1_11target_archE908ELNS1_3gpuE7ELNS1_3repE0EEENS1_30default_config_static_selectorELNS0_4arch9wavefront6targetE0EEEvSP_.has_dyn_sized_stack, 0
	.set _ZN7rocprim17ROCPRIM_400000_NS6detail17trampoline_kernelINS0_14default_configENS1_32segmented_reduce_config_selectorIfEEZNS1_21segmented_reduce_implIS3_PKfPfPKifN6hipcub16HIPCUB_304000_NS6detail27convert_result_type_wrapperIS8_S9_N2at6native12_GLOBAL__N_19CustomMinEEEEE10hipError_tPvRmT0_T1_jT2_SQ_T4_T3_P12ihipStream_tbEUlT_E_NS1_11comp_targetILNS1_3genE3ELNS1_11target_archE908ELNS1_3gpuE7ELNS1_3repE0EEENS1_30default_config_static_selectorELNS0_4arch9wavefront6targetE0EEEvSP_.has_recursion, 0
	.set _ZN7rocprim17ROCPRIM_400000_NS6detail17trampoline_kernelINS0_14default_configENS1_32segmented_reduce_config_selectorIfEEZNS1_21segmented_reduce_implIS3_PKfPfPKifN6hipcub16HIPCUB_304000_NS6detail27convert_result_type_wrapperIS8_S9_N2at6native12_GLOBAL__N_19CustomMinEEEEE10hipError_tPvRmT0_T1_jT2_SQ_T4_T3_P12ihipStream_tbEUlT_E_NS1_11comp_targetILNS1_3genE3ELNS1_11target_archE908ELNS1_3gpuE7ELNS1_3repE0EEENS1_30default_config_static_selectorELNS0_4arch9wavefront6targetE0EEEvSP_.has_indirect_call, 0
	.section	.AMDGPU.csdata,"",@progbits
; Kernel info:
; codeLenInByte = 0
; TotalNumSgprs: 0
; NumVgprs: 0
; ScratchSize: 0
; MemoryBound: 0
; FloatMode: 240
; IeeeMode: 1
; LDSByteSize: 0 bytes/workgroup (compile time only)
; SGPRBlocks: 0
; VGPRBlocks: 0
; NumSGPRsForWavesPerEU: 1
; NumVGPRsForWavesPerEU: 1
; Occupancy: 16
; WaveLimiterHint : 0
; COMPUTE_PGM_RSRC2:SCRATCH_EN: 0
; COMPUTE_PGM_RSRC2:USER_SGPR: 6
; COMPUTE_PGM_RSRC2:TRAP_HANDLER: 0
; COMPUTE_PGM_RSRC2:TGID_X_EN: 1
; COMPUTE_PGM_RSRC2:TGID_Y_EN: 0
; COMPUTE_PGM_RSRC2:TGID_Z_EN: 0
; COMPUTE_PGM_RSRC2:TIDIG_COMP_CNT: 0
	.section	.text._ZN7rocprim17ROCPRIM_400000_NS6detail17trampoline_kernelINS0_14default_configENS1_32segmented_reduce_config_selectorIfEEZNS1_21segmented_reduce_implIS3_PKfPfPKifN6hipcub16HIPCUB_304000_NS6detail27convert_result_type_wrapperIS8_S9_N2at6native12_GLOBAL__N_19CustomMinEEEEE10hipError_tPvRmT0_T1_jT2_SQ_T4_T3_P12ihipStream_tbEUlT_E_NS1_11comp_targetILNS1_3genE2ELNS1_11target_archE906ELNS1_3gpuE6ELNS1_3repE0EEENS1_30default_config_static_selectorELNS0_4arch9wavefront6targetE0EEEvSP_,"axG",@progbits,_ZN7rocprim17ROCPRIM_400000_NS6detail17trampoline_kernelINS0_14default_configENS1_32segmented_reduce_config_selectorIfEEZNS1_21segmented_reduce_implIS3_PKfPfPKifN6hipcub16HIPCUB_304000_NS6detail27convert_result_type_wrapperIS8_S9_N2at6native12_GLOBAL__N_19CustomMinEEEEE10hipError_tPvRmT0_T1_jT2_SQ_T4_T3_P12ihipStream_tbEUlT_E_NS1_11comp_targetILNS1_3genE2ELNS1_11target_archE906ELNS1_3gpuE6ELNS1_3repE0EEENS1_30default_config_static_selectorELNS0_4arch9wavefront6targetE0EEEvSP_,comdat
	.globl	_ZN7rocprim17ROCPRIM_400000_NS6detail17trampoline_kernelINS0_14default_configENS1_32segmented_reduce_config_selectorIfEEZNS1_21segmented_reduce_implIS3_PKfPfPKifN6hipcub16HIPCUB_304000_NS6detail27convert_result_type_wrapperIS8_S9_N2at6native12_GLOBAL__N_19CustomMinEEEEE10hipError_tPvRmT0_T1_jT2_SQ_T4_T3_P12ihipStream_tbEUlT_E_NS1_11comp_targetILNS1_3genE2ELNS1_11target_archE906ELNS1_3gpuE6ELNS1_3repE0EEENS1_30default_config_static_selectorELNS0_4arch9wavefront6targetE0EEEvSP_ ; -- Begin function _ZN7rocprim17ROCPRIM_400000_NS6detail17trampoline_kernelINS0_14default_configENS1_32segmented_reduce_config_selectorIfEEZNS1_21segmented_reduce_implIS3_PKfPfPKifN6hipcub16HIPCUB_304000_NS6detail27convert_result_type_wrapperIS8_S9_N2at6native12_GLOBAL__N_19CustomMinEEEEE10hipError_tPvRmT0_T1_jT2_SQ_T4_T3_P12ihipStream_tbEUlT_E_NS1_11comp_targetILNS1_3genE2ELNS1_11target_archE906ELNS1_3gpuE6ELNS1_3repE0EEENS1_30default_config_static_selectorELNS0_4arch9wavefront6targetE0EEEvSP_
	.p2align	8
	.type	_ZN7rocprim17ROCPRIM_400000_NS6detail17trampoline_kernelINS0_14default_configENS1_32segmented_reduce_config_selectorIfEEZNS1_21segmented_reduce_implIS3_PKfPfPKifN6hipcub16HIPCUB_304000_NS6detail27convert_result_type_wrapperIS8_S9_N2at6native12_GLOBAL__N_19CustomMinEEEEE10hipError_tPvRmT0_T1_jT2_SQ_T4_T3_P12ihipStream_tbEUlT_E_NS1_11comp_targetILNS1_3genE2ELNS1_11target_archE906ELNS1_3gpuE6ELNS1_3repE0EEENS1_30default_config_static_selectorELNS0_4arch9wavefront6targetE0EEEvSP_,@function
_ZN7rocprim17ROCPRIM_400000_NS6detail17trampoline_kernelINS0_14default_configENS1_32segmented_reduce_config_selectorIfEEZNS1_21segmented_reduce_implIS3_PKfPfPKifN6hipcub16HIPCUB_304000_NS6detail27convert_result_type_wrapperIS8_S9_N2at6native12_GLOBAL__N_19CustomMinEEEEE10hipError_tPvRmT0_T1_jT2_SQ_T4_T3_P12ihipStream_tbEUlT_E_NS1_11comp_targetILNS1_3genE2ELNS1_11target_archE906ELNS1_3gpuE6ELNS1_3repE0EEENS1_30default_config_static_selectorELNS0_4arch9wavefront6targetE0EEEvSP_: ; @_ZN7rocprim17ROCPRIM_400000_NS6detail17trampoline_kernelINS0_14default_configENS1_32segmented_reduce_config_selectorIfEEZNS1_21segmented_reduce_implIS3_PKfPfPKifN6hipcub16HIPCUB_304000_NS6detail27convert_result_type_wrapperIS8_S9_N2at6native12_GLOBAL__N_19CustomMinEEEEE10hipError_tPvRmT0_T1_jT2_SQ_T4_T3_P12ihipStream_tbEUlT_E_NS1_11comp_targetILNS1_3genE2ELNS1_11target_archE906ELNS1_3gpuE6ELNS1_3repE0EEENS1_30default_config_static_selectorELNS0_4arch9wavefront6targetE0EEEvSP_
; %bb.0:
	.section	.rodata,"a",@progbits
	.p2align	6, 0x0
	.amdhsa_kernel _ZN7rocprim17ROCPRIM_400000_NS6detail17trampoline_kernelINS0_14default_configENS1_32segmented_reduce_config_selectorIfEEZNS1_21segmented_reduce_implIS3_PKfPfPKifN6hipcub16HIPCUB_304000_NS6detail27convert_result_type_wrapperIS8_S9_N2at6native12_GLOBAL__N_19CustomMinEEEEE10hipError_tPvRmT0_T1_jT2_SQ_T4_T3_P12ihipStream_tbEUlT_E_NS1_11comp_targetILNS1_3genE2ELNS1_11target_archE906ELNS1_3gpuE6ELNS1_3repE0EEENS1_30default_config_static_selectorELNS0_4arch9wavefront6targetE0EEEvSP_
		.amdhsa_group_segment_fixed_size 0
		.amdhsa_private_segment_fixed_size 0
		.amdhsa_kernarg_size 48
		.amdhsa_user_sgpr_count 6
		.amdhsa_user_sgpr_private_segment_buffer 1
		.amdhsa_user_sgpr_dispatch_ptr 0
		.amdhsa_user_sgpr_queue_ptr 0
		.amdhsa_user_sgpr_kernarg_segment_ptr 1
		.amdhsa_user_sgpr_dispatch_id 0
		.amdhsa_user_sgpr_flat_scratch_init 0
		.amdhsa_user_sgpr_private_segment_size 0
		.amdhsa_wavefront_size32 1
		.amdhsa_uses_dynamic_stack 0
		.amdhsa_system_sgpr_private_segment_wavefront_offset 0
		.amdhsa_system_sgpr_workgroup_id_x 1
		.amdhsa_system_sgpr_workgroup_id_y 0
		.amdhsa_system_sgpr_workgroup_id_z 0
		.amdhsa_system_sgpr_workgroup_info 0
		.amdhsa_system_vgpr_workitem_id 0
		.amdhsa_next_free_vgpr 1
		.amdhsa_next_free_sgpr 1
		.amdhsa_reserve_vcc 0
		.amdhsa_reserve_flat_scratch 0
		.amdhsa_float_round_mode_32 0
		.amdhsa_float_round_mode_16_64 0
		.amdhsa_float_denorm_mode_32 3
		.amdhsa_float_denorm_mode_16_64 3
		.amdhsa_dx10_clamp 1
		.amdhsa_ieee_mode 1
		.amdhsa_fp16_overflow 0
		.amdhsa_workgroup_processor_mode 1
		.amdhsa_memory_ordered 1
		.amdhsa_forward_progress 1
		.amdhsa_shared_vgpr_count 0
		.amdhsa_exception_fp_ieee_invalid_op 0
		.amdhsa_exception_fp_denorm_src 0
		.amdhsa_exception_fp_ieee_div_zero 0
		.amdhsa_exception_fp_ieee_overflow 0
		.amdhsa_exception_fp_ieee_underflow 0
		.amdhsa_exception_fp_ieee_inexact 0
		.amdhsa_exception_int_div_zero 0
	.end_amdhsa_kernel
	.section	.text._ZN7rocprim17ROCPRIM_400000_NS6detail17trampoline_kernelINS0_14default_configENS1_32segmented_reduce_config_selectorIfEEZNS1_21segmented_reduce_implIS3_PKfPfPKifN6hipcub16HIPCUB_304000_NS6detail27convert_result_type_wrapperIS8_S9_N2at6native12_GLOBAL__N_19CustomMinEEEEE10hipError_tPvRmT0_T1_jT2_SQ_T4_T3_P12ihipStream_tbEUlT_E_NS1_11comp_targetILNS1_3genE2ELNS1_11target_archE906ELNS1_3gpuE6ELNS1_3repE0EEENS1_30default_config_static_selectorELNS0_4arch9wavefront6targetE0EEEvSP_,"axG",@progbits,_ZN7rocprim17ROCPRIM_400000_NS6detail17trampoline_kernelINS0_14default_configENS1_32segmented_reduce_config_selectorIfEEZNS1_21segmented_reduce_implIS3_PKfPfPKifN6hipcub16HIPCUB_304000_NS6detail27convert_result_type_wrapperIS8_S9_N2at6native12_GLOBAL__N_19CustomMinEEEEE10hipError_tPvRmT0_T1_jT2_SQ_T4_T3_P12ihipStream_tbEUlT_E_NS1_11comp_targetILNS1_3genE2ELNS1_11target_archE906ELNS1_3gpuE6ELNS1_3repE0EEENS1_30default_config_static_selectorELNS0_4arch9wavefront6targetE0EEEvSP_,comdat
.Lfunc_end65:
	.size	_ZN7rocprim17ROCPRIM_400000_NS6detail17trampoline_kernelINS0_14default_configENS1_32segmented_reduce_config_selectorIfEEZNS1_21segmented_reduce_implIS3_PKfPfPKifN6hipcub16HIPCUB_304000_NS6detail27convert_result_type_wrapperIS8_S9_N2at6native12_GLOBAL__N_19CustomMinEEEEE10hipError_tPvRmT0_T1_jT2_SQ_T4_T3_P12ihipStream_tbEUlT_E_NS1_11comp_targetILNS1_3genE2ELNS1_11target_archE906ELNS1_3gpuE6ELNS1_3repE0EEENS1_30default_config_static_selectorELNS0_4arch9wavefront6targetE0EEEvSP_, .Lfunc_end65-_ZN7rocprim17ROCPRIM_400000_NS6detail17trampoline_kernelINS0_14default_configENS1_32segmented_reduce_config_selectorIfEEZNS1_21segmented_reduce_implIS3_PKfPfPKifN6hipcub16HIPCUB_304000_NS6detail27convert_result_type_wrapperIS8_S9_N2at6native12_GLOBAL__N_19CustomMinEEEEE10hipError_tPvRmT0_T1_jT2_SQ_T4_T3_P12ihipStream_tbEUlT_E_NS1_11comp_targetILNS1_3genE2ELNS1_11target_archE906ELNS1_3gpuE6ELNS1_3repE0EEENS1_30default_config_static_selectorELNS0_4arch9wavefront6targetE0EEEvSP_
                                        ; -- End function
	.set _ZN7rocprim17ROCPRIM_400000_NS6detail17trampoline_kernelINS0_14default_configENS1_32segmented_reduce_config_selectorIfEEZNS1_21segmented_reduce_implIS3_PKfPfPKifN6hipcub16HIPCUB_304000_NS6detail27convert_result_type_wrapperIS8_S9_N2at6native12_GLOBAL__N_19CustomMinEEEEE10hipError_tPvRmT0_T1_jT2_SQ_T4_T3_P12ihipStream_tbEUlT_E_NS1_11comp_targetILNS1_3genE2ELNS1_11target_archE906ELNS1_3gpuE6ELNS1_3repE0EEENS1_30default_config_static_selectorELNS0_4arch9wavefront6targetE0EEEvSP_.num_vgpr, 0
	.set _ZN7rocprim17ROCPRIM_400000_NS6detail17trampoline_kernelINS0_14default_configENS1_32segmented_reduce_config_selectorIfEEZNS1_21segmented_reduce_implIS3_PKfPfPKifN6hipcub16HIPCUB_304000_NS6detail27convert_result_type_wrapperIS8_S9_N2at6native12_GLOBAL__N_19CustomMinEEEEE10hipError_tPvRmT0_T1_jT2_SQ_T4_T3_P12ihipStream_tbEUlT_E_NS1_11comp_targetILNS1_3genE2ELNS1_11target_archE906ELNS1_3gpuE6ELNS1_3repE0EEENS1_30default_config_static_selectorELNS0_4arch9wavefront6targetE0EEEvSP_.num_agpr, 0
	.set _ZN7rocprim17ROCPRIM_400000_NS6detail17trampoline_kernelINS0_14default_configENS1_32segmented_reduce_config_selectorIfEEZNS1_21segmented_reduce_implIS3_PKfPfPKifN6hipcub16HIPCUB_304000_NS6detail27convert_result_type_wrapperIS8_S9_N2at6native12_GLOBAL__N_19CustomMinEEEEE10hipError_tPvRmT0_T1_jT2_SQ_T4_T3_P12ihipStream_tbEUlT_E_NS1_11comp_targetILNS1_3genE2ELNS1_11target_archE906ELNS1_3gpuE6ELNS1_3repE0EEENS1_30default_config_static_selectorELNS0_4arch9wavefront6targetE0EEEvSP_.numbered_sgpr, 0
	.set _ZN7rocprim17ROCPRIM_400000_NS6detail17trampoline_kernelINS0_14default_configENS1_32segmented_reduce_config_selectorIfEEZNS1_21segmented_reduce_implIS3_PKfPfPKifN6hipcub16HIPCUB_304000_NS6detail27convert_result_type_wrapperIS8_S9_N2at6native12_GLOBAL__N_19CustomMinEEEEE10hipError_tPvRmT0_T1_jT2_SQ_T4_T3_P12ihipStream_tbEUlT_E_NS1_11comp_targetILNS1_3genE2ELNS1_11target_archE906ELNS1_3gpuE6ELNS1_3repE0EEENS1_30default_config_static_selectorELNS0_4arch9wavefront6targetE0EEEvSP_.num_named_barrier, 0
	.set _ZN7rocprim17ROCPRIM_400000_NS6detail17trampoline_kernelINS0_14default_configENS1_32segmented_reduce_config_selectorIfEEZNS1_21segmented_reduce_implIS3_PKfPfPKifN6hipcub16HIPCUB_304000_NS6detail27convert_result_type_wrapperIS8_S9_N2at6native12_GLOBAL__N_19CustomMinEEEEE10hipError_tPvRmT0_T1_jT2_SQ_T4_T3_P12ihipStream_tbEUlT_E_NS1_11comp_targetILNS1_3genE2ELNS1_11target_archE906ELNS1_3gpuE6ELNS1_3repE0EEENS1_30default_config_static_selectorELNS0_4arch9wavefront6targetE0EEEvSP_.private_seg_size, 0
	.set _ZN7rocprim17ROCPRIM_400000_NS6detail17trampoline_kernelINS0_14default_configENS1_32segmented_reduce_config_selectorIfEEZNS1_21segmented_reduce_implIS3_PKfPfPKifN6hipcub16HIPCUB_304000_NS6detail27convert_result_type_wrapperIS8_S9_N2at6native12_GLOBAL__N_19CustomMinEEEEE10hipError_tPvRmT0_T1_jT2_SQ_T4_T3_P12ihipStream_tbEUlT_E_NS1_11comp_targetILNS1_3genE2ELNS1_11target_archE906ELNS1_3gpuE6ELNS1_3repE0EEENS1_30default_config_static_selectorELNS0_4arch9wavefront6targetE0EEEvSP_.uses_vcc, 0
	.set _ZN7rocprim17ROCPRIM_400000_NS6detail17trampoline_kernelINS0_14default_configENS1_32segmented_reduce_config_selectorIfEEZNS1_21segmented_reduce_implIS3_PKfPfPKifN6hipcub16HIPCUB_304000_NS6detail27convert_result_type_wrapperIS8_S9_N2at6native12_GLOBAL__N_19CustomMinEEEEE10hipError_tPvRmT0_T1_jT2_SQ_T4_T3_P12ihipStream_tbEUlT_E_NS1_11comp_targetILNS1_3genE2ELNS1_11target_archE906ELNS1_3gpuE6ELNS1_3repE0EEENS1_30default_config_static_selectorELNS0_4arch9wavefront6targetE0EEEvSP_.uses_flat_scratch, 0
	.set _ZN7rocprim17ROCPRIM_400000_NS6detail17trampoline_kernelINS0_14default_configENS1_32segmented_reduce_config_selectorIfEEZNS1_21segmented_reduce_implIS3_PKfPfPKifN6hipcub16HIPCUB_304000_NS6detail27convert_result_type_wrapperIS8_S9_N2at6native12_GLOBAL__N_19CustomMinEEEEE10hipError_tPvRmT0_T1_jT2_SQ_T4_T3_P12ihipStream_tbEUlT_E_NS1_11comp_targetILNS1_3genE2ELNS1_11target_archE906ELNS1_3gpuE6ELNS1_3repE0EEENS1_30default_config_static_selectorELNS0_4arch9wavefront6targetE0EEEvSP_.has_dyn_sized_stack, 0
	.set _ZN7rocprim17ROCPRIM_400000_NS6detail17trampoline_kernelINS0_14default_configENS1_32segmented_reduce_config_selectorIfEEZNS1_21segmented_reduce_implIS3_PKfPfPKifN6hipcub16HIPCUB_304000_NS6detail27convert_result_type_wrapperIS8_S9_N2at6native12_GLOBAL__N_19CustomMinEEEEE10hipError_tPvRmT0_T1_jT2_SQ_T4_T3_P12ihipStream_tbEUlT_E_NS1_11comp_targetILNS1_3genE2ELNS1_11target_archE906ELNS1_3gpuE6ELNS1_3repE0EEENS1_30default_config_static_selectorELNS0_4arch9wavefront6targetE0EEEvSP_.has_recursion, 0
	.set _ZN7rocprim17ROCPRIM_400000_NS6detail17trampoline_kernelINS0_14default_configENS1_32segmented_reduce_config_selectorIfEEZNS1_21segmented_reduce_implIS3_PKfPfPKifN6hipcub16HIPCUB_304000_NS6detail27convert_result_type_wrapperIS8_S9_N2at6native12_GLOBAL__N_19CustomMinEEEEE10hipError_tPvRmT0_T1_jT2_SQ_T4_T3_P12ihipStream_tbEUlT_E_NS1_11comp_targetILNS1_3genE2ELNS1_11target_archE906ELNS1_3gpuE6ELNS1_3repE0EEENS1_30default_config_static_selectorELNS0_4arch9wavefront6targetE0EEEvSP_.has_indirect_call, 0
	.section	.AMDGPU.csdata,"",@progbits
; Kernel info:
; codeLenInByte = 0
; TotalNumSgprs: 0
; NumVgprs: 0
; ScratchSize: 0
; MemoryBound: 0
; FloatMode: 240
; IeeeMode: 1
; LDSByteSize: 0 bytes/workgroup (compile time only)
; SGPRBlocks: 0
; VGPRBlocks: 0
; NumSGPRsForWavesPerEU: 1
; NumVGPRsForWavesPerEU: 1
; Occupancy: 16
; WaveLimiterHint : 0
; COMPUTE_PGM_RSRC2:SCRATCH_EN: 0
; COMPUTE_PGM_RSRC2:USER_SGPR: 6
; COMPUTE_PGM_RSRC2:TRAP_HANDLER: 0
; COMPUTE_PGM_RSRC2:TGID_X_EN: 1
; COMPUTE_PGM_RSRC2:TGID_Y_EN: 0
; COMPUTE_PGM_RSRC2:TGID_Z_EN: 0
; COMPUTE_PGM_RSRC2:TIDIG_COMP_CNT: 0
	.section	.text._ZN7rocprim17ROCPRIM_400000_NS6detail17trampoline_kernelINS0_14default_configENS1_32segmented_reduce_config_selectorIfEEZNS1_21segmented_reduce_implIS3_PKfPfPKifN6hipcub16HIPCUB_304000_NS6detail27convert_result_type_wrapperIS8_S9_N2at6native12_GLOBAL__N_19CustomMinEEEEE10hipError_tPvRmT0_T1_jT2_SQ_T4_T3_P12ihipStream_tbEUlT_E_NS1_11comp_targetILNS1_3genE9ELNS1_11target_archE1100ELNS1_3gpuE3ELNS1_3repE0EEENS1_30default_config_static_selectorELNS0_4arch9wavefront6targetE0EEEvSP_,"axG",@progbits,_ZN7rocprim17ROCPRIM_400000_NS6detail17trampoline_kernelINS0_14default_configENS1_32segmented_reduce_config_selectorIfEEZNS1_21segmented_reduce_implIS3_PKfPfPKifN6hipcub16HIPCUB_304000_NS6detail27convert_result_type_wrapperIS8_S9_N2at6native12_GLOBAL__N_19CustomMinEEEEE10hipError_tPvRmT0_T1_jT2_SQ_T4_T3_P12ihipStream_tbEUlT_E_NS1_11comp_targetILNS1_3genE9ELNS1_11target_archE1100ELNS1_3gpuE3ELNS1_3repE0EEENS1_30default_config_static_selectorELNS0_4arch9wavefront6targetE0EEEvSP_,comdat
	.globl	_ZN7rocprim17ROCPRIM_400000_NS6detail17trampoline_kernelINS0_14default_configENS1_32segmented_reduce_config_selectorIfEEZNS1_21segmented_reduce_implIS3_PKfPfPKifN6hipcub16HIPCUB_304000_NS6detail27convert_result_type_wrapperIS8_S9_N2at6native12_GLOBAL__N_19CustomMinEEEEE10hipError_tPvRmT0_T1_jT2_SQ_T4_T3_P12ihipStream_tbEUlT_E_NS1_11comp_targetILNS1_3genE9ELNS1_11target_archE1100ELNS1_3gpuE3ELNS1_3repE0EEENS1_30default_config_static_selectorELNS0_4arch9wavefront6targetE0EEEvSP_ ; -- Begin function _ZN7rocprim17ROCPRIM_400000_NS6detail17trampoline_kernelINS0_14default_configENS1_32segmented_reduce_config_selectorIfEEZNS1_21segmented_reduce_implIS3_PKfPfPKifN6hipcub16HIPCUB_304000_NS6detail27convert_result_type_wrapperIS8_S9_N2at6native12_GLOBAL__N_19CustomMinEEEEE10hipError_tPvRmT0_T1_jT2_SQ_T4_T3_P12ihipStream_tbEUlT_E_NS1_11comp_targetILNS1_3genE9ELNS1_11target_archE1100ELNS1_3gpuE3ELNS1_3repE0EEENS1_30default_config_static_selectorELNS0_4arch9wavefront6targetE0EEEvSP_
	.p2align	8
	.type	_ZN7rocprim17ROCPRIM_400000_NS6detail17trampoline_kernelINS0_14default_configENS1_32segmented_reduce_config_selectorIfEEZNS1_21segmented_reduce_implIS3_PKfPfPKifN6hipcub16HIPCUB_304000_NS6detail27convert_result_type_wrapperIS8_S9_N2at6native12_GLOBAL__N_19CustomMinEEEEE10hipError_tPvRmT0_T1_jT2_SQ_T4_T3_P12ihipStream_tbEUlT_E_NS1_11comp_targetILNS1_3genE9ELNS1_11target_archE1100ELNS1_3gpuE3ELNS1_3repE0EEENS1_30default_config_static_selectorELNS0_4arch9wavefront6targetE0EEEvSP_,@function
_ZN7rocprim17ROCPRIM_400000_NS6detail17trampoline_kernelINS0_14default_configENS1_32segmented_reduce_config_selectorIfEEZNS1_21segmented_reduce_implIS3_PKfPfPKifN6hipcub16HIPCUB_304000_NS6detail27convert_result_type_wrapperIS8_S9_N2at6native12_GLOBAL__N_19CustomMinEEEEE10hipError_tPvRmT0_T1_jT2_SQ_T4_T3_P12ihipStream_tbEUlT_E_NS1_11comp_targetILNS1_3genE9ELNS1_11target_archE1100ELNS1_3gpuE3ELNS1_3repE0EEENS1_30default_config_static_selectorELNS0_4arch9wavefront6targetE0EEEvSP_: ; @_ZN7rocprim17ROCPRIM_400000_NS6detail17trampoline_kernelINS0_14default_configENS1_32segmented_reduce_config_selectorIfEEZNS1_21segmented_reduce_implIS3_PKfPfPKifN6hipcub16HIPCUB_304000_NS6detail27convert_result_type_wrapperIS8_S9_N2at6native12_GLOBAL__N_19CustomMinEEEEE10hipError_tPvRmT0_T1_jT2_SQ_T4_T3_P12ihipStream_tbEUlT_E_NS1_11comp_targetILNS1_3genE9ELNS1_11target_archE1100ELNS1_3gpuE3ELNS1_3repE0EEENS1_30default_config_static_selectorELNS0_4arch9wavefront6targetE0EEEvSP_
; %bb.0:
	.section	.rodata,"a",@progbits
	.p2align	6, 0x0
	.amdhsa_kernel _ZN7rocprim17ROCPRIM_400000_NS6detail17trampoline_kernelINS0_14default_configENS1_32segmented_reduce_config_selectorIfEEZNS1_21segmented_reduce_implIS3_PKfPfPKifN6hipcub16HIPCUB_304000_NS6detail27convert_result_type_wrapperIS8_S9_N2at6native12_GLOBAL__N_19CustomMinEEEEE10hipError_tPvRmT0_T1_jT2_SQ_T4_T3_P12ihipStream_tbEUlT_E_NS1_11comp_targetILNS1_3genE9ELNS1_11target_archE1100ELNS1_3gpuE3ELNS1_3repE0EEENS1_30default_config_static_selectorELNS0_4arch9wavefront6targetE0EEEvSP_
		.amdhsa_group_segment_fixed_size 0
		.amdhsa_private_segment_fixed_size 0
		.amdhsa_kernarg_size 48
		.amdhsa_user_sgpr_count 6
		.amdhsa_user_sgpr_private_segment_buffer 1
		.amdhsa_user_sgpr_dispatch_ptr 0
		.amdhsa_user_sgpr_queue_ptr 0
		.amdhsa_user_sgpr_kernarg_segment_ptr 1
		.amdhsa_user_sgpr_dispatch_id 0
		.amdhsa_user_sgpr_flat_scratch_init 0
		.amdhsa_user_sgpr_private_segment_size 0
		.amdhsa_wavefront_size32 1
		.amdhsa_uses_dynamic_stack 0
		.amdhsa_system_sgpr_private_segment_wavefront_offset 0
		.amdhsa_system_sgpr_workgroup_id_x 1
		.amdhsa_system_sgpr_workgroup_id_y 0
		.amdhsa_system_sgpr_workgroup_id_z 0
		.amdhsa_system_sgpr_workgroup_info 0
		.amdhsa_system_vgpr_workitem_id 0
		.amdhsa_next_free_vgpr 1
		.amdhsa_next_free_sgpr 1
		.amdhsa_reserve_vcc 0
		.amdhsa_reserve_flat_scratch 0
		.amdhsa_float_round_mode_32 0
		.amdhsa_float_round_mode_16_64 0
		.amdhsa_float_denorm_mode_32 3
		.amdhsa_float_denorm_mode_16_64 3
		.amdhsa_dx10_clamp 1
		.amdhsa_ieee_mode 1
		.amdhsa_fp16_overflow 0
		.amdhsa_workgroup_processor_mode 1
		.amdhsa_memory_ordered 1
		.amdhsa_forward_progress 1
		.amdhsa_shared_vgpr_count 0
		.amdhsa_exception_fp_ieee_invalid_op 0
		.amdhsa_exception_fp_denorm_src 0
		.amdhsa_exception_fp_ieee_div_zero 0
		.amdhsa_exception_fp_ieee_overflow 0
		.amdhsa_exception_fp_ieee_underflow 0
		.amdhsa_exception_fp_ieee_inexact 0
		.amdhsa_exception_int_div_zero 0
	.end_amdhsa_kernel
	.section	.text._ZN7rocprim17ROCPRIM_400000_NS6detail17trampoline_kernelINS0_14default_configENS1_32segmented_reduce_config_selectorIfEEZNS1_21segmented_reduce_implIS3_PKfPfPKifN6hipcub16HIPCUB_304000_NS6detail27convert_result_type_wrapperIS8_S9_N2at6native12_GLOBAL__N_19CustomMinEEEEE10hipError_tPvRmT0_T1_jT2_SQ_T4_T3_P12ihipStream_tbEUlT_E_NS1_11comp_targetILNS1_3genE9ELNS1_11target_archE1100ELNS1_3gpuE3ELNS1_3repE0EEENS1_30default_config_static_selectorELNS0_4arch9wavefront6targetE0EEEvSP_,"axG",@progbits,_ZN7rocprim17ROCPRIM_400000_NS6detail17trampoline_kernelINS0_14default_configENS1_32segmented_reduce_config_selectorIfEEZNS1_21segmented_reduce_implIS3_PKfPfPKifN6hipcub16HIPCUB_304000_NS6detail27convert_result_type_wrapperIS8_S9_N2at6native12_GLOBAL__N_19CustomMinEEEEE10hipError_tPvRmT0_T1_jT2_SQ_T4_T3_P12ihipStream_tbEUlT_E_NS1_11comp_targetILNS1_3genE9ELNS1_11target_archE1100ELNS1_3gpuE3ELNS1_3repE0EEENS1_30default_config_static_selectorELNS0_4arch9wavefront6targetE0EEEvSP_,comdat
.Lfunc_end66:
	.size	_ZN7rocprim17ROCPRIM_400000_NS6detail17trampoline_kernelINS0_14default_configENS1_32segmented_reduce_config_selectorIfEEZNS1_21segmented_reduce_implIS3_PKfPfPKifN6hipcub16HIPCUB_304000_NS6detail27convert_result_type_wrapperIS8_S9_N2at6native12_GLOBAL__N_19CustomMinEEEEE10hipError_tPvRmT0_T1_jT2_SQ_T4_T3_P12ihipStream_tbEUlT_E_NS1_11comp_targetILNS1_3genE9ELNS1_11target_archE1100ELNS1_3gpuE3ELNS1_3repE0EEENS1_30default_config_static_selectorELNS0_4arch9wavefront6targetE0EEEvSP_, .Lfunc_end66-_ZN7rocprim17ROCPRIM_400000_NS6detail17trampoline_kernelINS0_14default_configENS1_32segmented_reduce_config_selectorIfEEZNS1_21segmented_reduce_implIS3_PKfPfPKifN6hipcub16HIPCUB_304000_NS6detail27convert_result_type_wrapperIS8_S9_N2at6native12_GLOBAL__N_19CustomMinEEEEE10hipError_tPvRmT0_T1_jT2_SQ_T4_T3_P12ihipStream_tbEUlT_E_NS1_11comp_targetILNS1_3genE9ELNS1_11target_archE1100ELNS1_3gpuE3ELNS1_3repE0EEENS1_30default_config_static_selectorELNS0_4arch9wavefront6targetE0EEEvSP_
                                        ; -- End function
	.set _ZN7rocprim17ROCPRIM_400000_NS6detail17trampoline_kernelINS0_14default_configENS1_32segmented_reduce_config_selectorIfEEZNS1_21segmented_reduce_implIS3_PKfPfPKifN6hipcub16HIPCUB_304000_NS6detail27convert_result_type_wrapperIS8_S9_N2at6native12_GLOBAL__N_19CustomMinEEEEE10hipError_tPvRmT0_T1_jT2_SQ_T4_T3_P12ihipStream_tbEUlT_E_NS1_11comp_targetILNS1_3genE9ELNS1_11target_archE1100ELNS1_3gpuE3ELNS1_3repE0EEENS1_30default_config_static_selectorELNS0_4arch9wavefront6targetE0EEEvSP_.num_vgpr, 0
	.set _ZN7rocprim17ROCPRIM_400000_NS6detail17trampoline_kernelINS0_14default_configENS1_32segmented_reduce_config_selectorIfEEZNS1_21segmented_reduce_implIS3_PKfPfPKifN6hipcub16HIPCUB_304000_NS6detail27convert_result_type_wrapperIS8_S9_N2at6native12_GLOBAL__N_19CustomMinEEEEE10hipError_tPvRmT0_T1_jT2_SQ_T4_T3_P12ihipStream_tbEUlT_E_NS1_11comp_targetILNS1_3genE9ELNS1_11target_archE1100ELNS1_3gpuE3ELNS1_3repE0EEENS1_30default_config_static_selectorELNS0_4arch9wavefront6targetE0EEEvSP_.num_agpr, 0
	.set _ZN7rocprim17ROCPRIM_400000_NS6detail17trampoline_kernelINS0_14default_configENS1_32segmented_reduce_config_selectorIfEEZNS1_21segmented_reduce_implIS3_PKfPfPKifN6hipcub16HIPCUB_304000_NS6detail27convert_result_type_wrapperIS8_S9_N2at6native12_GLOBAL__N_19CustomMinEEEEE10hipError_tPvRmT0_T1_jT2_SQ_T4_T3_P12ihipStream_tbEUlT_E_NS1_11comp_targetILNS1_3genE9ELNS1_11target_archE1100ELNS1_3gpuE3ELNS1_3repE0EEENS1_30default_config_static_selectorELNS0_4arch9wavefront6targetE0EEEvSP_.numbered_sgpr, 0
	.set _ZN7rocprim17ROCPRIM_400000_NS6detail17trampoline_kernelINS0_14default_configENS1_32segmented_reduce_config_selectorIfEEZNS1_21segmented_reduce_implIS3_PKfPfPKifN6hipcub16HIPCUB_304000_NS6detail27convert_result_type_wrapperIS8_S9_N2at6native12_GLOBAL__N_19CustomMinEEEEE10hipError_tPvRmT0_T1_jT2_SQ_T4_T3_P12ihipStream_tbEUlT_E_NS1_11comp_targetILNS1_3genE9ELNS1_11target_archE1100ELNS1_3gpuE3ELNS1_3repE0EEENS1_30default_config_static_selectorELNS0_4arch9wavefront6targetE0EEEvSP_.num_named_barrier, 0
	.set _ZN7rocprim17ROCPRIM_400000_NS6detail17trampoline_kernelINS0_14default_configENS1_32segmented_reduce_config_selectorIfEEZNS1_21segmented_reduce_implIS3_PKfPfPKifN6hipcub16HIPCUB_304000_NS6detail27convert_result_type_wrapperIS8_S9_N2at6native12_GLOBAL__N_19CustomMinEEEEE10hipError_tPvRmT0_T1_jT2_SQ_T4_T3_P12ihipStream_tbEUlT_E_NS1_11comp_targetILNS1_3genE9ELNS1_11target_archE1100ELNS1_3gpuE3ELNS1_3repE0EEENS1_30default_config_static_selectorELNS0_4arch9wavefront6targetE0EEEvSP_.private_seg_size, 0
	.set _ZN7rocprim17ROCPRIM_400000_NS6detail17trampoline_kernelINS0_14default_configENS1_32segmented_reduce_config_selectorIfEEZNS1_21segmented_reduce_implIS3_PKfPfPKifN6hipcub16HIPCUB_304000_NS6detail27convert_result_type_wrapperIS8_S9_N2at6native12_GLOBAL__N_19CustomMinEEEEE10hipError_tPvRmT0_T1_jT2_SQ_T4_T3_P12ihipStream_tbEUlT_E_NS1_11comp_targetILNS1_3genE9ELNS1_11target_archE1100ELNS1_3gpuE3ELNS1_3repE0EEENS1_30default_config_static_selectorELNS0_4arch9wavefront6targetE0EEEvSP_.uses_vcc, 0
	.set _ZN7rocprim17ROCPRIM_400000_NS6detail17trampoline_kernelINS0_14default_configENS1_32segmented_reduce_config_selectorIfEEZNS1_21segmented_reduce_implIS3_PKfPfPKifN6hipcub16HIPCUB_304000_NS6detail27convert_result_type_wrapperIS8_S9_N2at6native12_GLOBAL__N_19CustomMinEEEEE10hipError_tPvRmT0_T1_jT2_SQ_T4_T3_P12ihipStream_tbEUlT_E_NS1_11comp_targetILNS1_3genE9ELNS1_11target_archE1100ELNS1_3gpuE3ELNS1_3repE0EEENS1_30default_config_static_selectorELNS0_4arch9wavefront6targetE0EEEvSP_.uses_flat_scratch, 0
	.set _ZN7rocprim17ROCPRIM_400000_NS6detail17trampoline_kernelINS0_14default_configENS1_32segmented_reduce_config_selectorIfEEZNS1_21segmented_reduce_implIS3_PKfPfPKifN6hipcub16HIPCUB_304000_NS6detail27convert_result_type_wrapperIS8_S9_N2at6native12_GLOBAL__N_19CustomMinEEEEE10hipError_tPvRmT0_T1_jT2_SQ_T4_T3_P12ihipStream_tbEUlT_E_NS1_11comp_targetILNS1_3genE9ELNS1_11target_archE1100ELNS1_3gpuE3ELNS1_3repE0EEENS1_30default_config_static_selectorELNS0_4arch9wavefront6targetE0EEEvSP_.has_dyn_sized_stack, 0
	.set _ZN7rocprim17ROCPRIM_400000_NS6detail17trampoline_kernelINS0_14default_configENS1_32segmented_reduce_config_selectorIfEEZNS1_21segmented_reduce_implIS3_PKfPfPKifN6hipcub16HIPCUB_304000_NS6detail27convert_result_type_wrapperIS8_S9_N2at6native12_GLOBAL__N_19CustomMinEEEEE10hipError_tPvRmT0_T1_jT2_SQ_T4_T3_P12ihipStream_tbEUlT_E_NS1_11comp_targetILNS1_3genE9ELNS1_11target_archE1100ELNS1_3gpuE3ELNS1_3repE0EEENS1_30default_config_static_selectorELNS0_4arch9wavefront6targetE0EEEvSP_.has_recursion, 0
	.set _ZN7rocprim17ROCPRIM_400000_NS6detail17trampoline_kernelINS0_14default_configENS1_32segmented_reduce_config_selectorIfEEZNS1_21segmented_reduce_implIS3_PKfPfPKifN6hipcub16HIPCUB_304000_NS6detail27convert_result_type_wrapperIS8_S9_N2at6native12_GLOBAL__N_19CustomMinEEEEE10hipError_tPvRmT0_T1_jT2_SQ_T4_T3_P12ihipStream_tbEUlT_E_NS1_11comp_targetILNS1_3genE9ELNS1_11target_archE1100ELNS1_3gpuE3ELNS1_3repE0EEENS1_30default_config_static_selectorELNS0_4arch9wavefront6targetE0EEEvSP_.has_indirect_call, 0
	.section	.AMDGPU.csdata,"",@progbits
; Kernel info:
; codeLenInByte = 0
; TotalNumSgprs: 0
; NumVgprs: 0
; ScratchSize: 0
; MemoryBound: 0
; FloatMode: 240
; IeeeMode: 1
; LDSByteSize: 0 bytes/workgroup (compile time only)
; SGPRBlocks: 0
; VGPRBlocks: 0
; NumSGPRsForWavesPerEU: 1
; NumVGPRsForWavesPerEU: 1
; Occupancy: 16
; WaveLimiterHint : 0
; COMPUTE_PGM_RSRC2:SCRATCH_EN: 0
; COMPUTE_PGM_RSRC2:USER_SGPR: 6
; COMPUTE_PGM_RSRC2:TRAP_HANDLER: 0
; COMPUTE_PGM_RSRC2:TGID_X_EN: 1
; COMPUTE_PGM_RSRC2:TGID_Y_EN: 0
; COMPUTE_PGM_RSRC2:TGID_Z_EN: 0
; COMPUTE_PGM_RSRC2:TIDIG_COMP_CNT: 0
	.section	.text._ZN7rocprim17ROCPRIM_400000_NS6detail17trampoline_kernelINS0_14default_configENS1_32segmented_reduce_config_selectorIfEEZNS1_21segmented_reduce_implIS3_PKfPfPKifN6hipcub16HIPCUB_304000_NS6detail27convert_result_type_wrapperIS8_S9_N2at6native12_GLOBAL__N_19CustomMinEEEEE10hipError_tPvRmT0_T1_jT2_SQ_T4_T3_P12ihipStream_tbEUlT_E_NS1_11comp_targetILNS1_3genE8ELNS1_11target_archE1030ELNS1_3gpuE2ELNS1_3repE0EEENS1_30default_config_static_selectorELNS0_4arch9wavefront6targetE0EEEvSP_,"axG",@progbits,_ZN7rocprim17ROCPRIM_400000_NS6detail17trampoline_kernelINS0_14default_configENS1_32segmented_reduce_config_selectorIfEEZNS1_21segmented_reduce_implIS3_PKfPfPKifN6hipcub16HIPCUB_304000_NS6detail27convert_result_type_wrapperIS8_S9_N2at6native12_GLOBAL__N_19CustomMinEEEEE10hipError_tPvRmT0_T1_jT2_SQ_T4_T3_P12ihipStream_tbEUlT_E_NS1_11comp_targetILNS1_3genE8ELNS1_11target_archE1030ELNS1_3gpuE2ELNS1_3repE0EEENS1_30default_config_static_selectorELNS0_4arch9wavefront6targetE0EEEvSP_,comdat
	.globl	_ZN7rocprim17ROCPRIM_400000_NS6detail17trampoline_kernelINS0_14default_configENS1_32segmented_reduce_config_selectorIfEEZNS1_21segmented_reduce_implIS3_PKfPfPKifN6hipcub16HIPCUB_304000_NS6detail27convert_result_type_wrapperIS8_S9_N2at6native12_GLOBAL__N_19CustomMinEEEEE10hipError_tPvRmT0_T1_jT2_SQ_T4_T3_P12ihipStream_tbEUlT_E_NS1_11comp_targetILNS1_3genE8ELNS1_11target_archE1030ELNS1_3gpuE2ELNS1_3repE0EEENS1_30default_config_static_selectorELNS0_4arch9wavefront6targetE0EEEvSP_ ; -- Begin function _ZN7rocprim17ROCPRIM_400000_NS6detail17trampoline_kernelINS0_14default_configENS1_32segmented_reduce_config_selectorIfEEZNS1_21segmented_reduce_implIS3_PKfPfPKifN6hipcub16HIPCUB_304000_NS6detail27convert_result_type_wrapperIS8_S9_N2at6native12_GLOBAL__N_19CustomMinEEEEE10hipError_tPvRmT0_T1_jT2_SQ_T4_T3_P12ihipStream_tbEUlT_E_NS1_11comp_targetILNS1_3genE8ELNS1_11target_archE1030ELNS1_3gpuE2ELNS1_3repE0EEENS1_30default_config_static_selectorELNS0_4arch9wavefront6targetE0EEEvSP_
	.p2align	8
	.type	_ZN7rocprim17ROCPRIM_400000_NS6detail17trampoline_kernelINS0_14default_configENS1_32segmented_reduce_config_selectorIfEEZNS1_21segmented_reduce_implIS3_PKfPfPKifN6hipcub16HIPCUB_304000_NS6detail27convert_result_type_wrapperIS8_S9_N2at6native12_GLOBAL__N_19CustomMinEEEEE10hipError_tPvRmT0_T1_jT2_SQ_T4_T3_P12ihipStream_tbEUlT_E_NS1_11comp_targetILNS1_3genE8ELNS1_11target_archE1030ELNS1_3gpuE2ELNS1_3repE0EEENS1_30default_config_static_selectorELNS0_4arch9wavefront6targetE0EEEvSP_,@function
_ZN7rocprim17ROCPRIM_400000_NS6detail17trampoline_kernelINS0_14default_configENS1_32segmented_reduce_config_selectorIfEEZNS1_21segmented_reduce_implIS3_PKfPfPKifN6hipcub16HIPCUB_304000_NS6detail27convert_result_type_wrapperIS8_S9_N2at6native12_GLOBAL__N_19CustomMinEEEEE10hipError_tPvRmT0_T1_jT2_SQ_T4_T3_P12ihipStream_tbEUlT_E_NS1_11comp_targetILNS1_3genE8ELNS1_11target_archE1030ELNS1_3gpuE2ELNS1_3repE0EEENS1_30default_config_static_selectorELNS0_4arch9wavefront6targetE0EEEvSP_: ; @_ZN7rocprim17ROCPRIM_400000_NS6detail17trampoline_kernelINS0_14default_configENS1_32segmented_reduce_config_selectorIfEEZNS1_21segmented_reduce_implIS3_PKfPfPKifN6hipcub16HIPCUB_304000_NS6detail27convert_result_type_wrapperIS8_S9_N2at6native12_GLOBAL__N_19CustomMinEEEEE10hipError_tPvRmT0_T1_jT2_SQ_T4_T3_P12ihipStream_tbEUlT_E_NS1_11comp_targetILNS1_3genE8ELNS1_11target_archE1030ELNS1_3gpuE2ELNS1_3repE0EEENS1_30default_config_static_selectorELNS0_4arch9wavefront6targetE0EEEvSP_
; %bb.0:
	s_clause 0x1
	s_load_dwordx8 s[8:15], s[4:5], 0x0
	s_load_dwordx2 s[0:1], s[4:5], 0x20
	s_mov_b32 s7, 0
	s_load_dword s16, s[4:5], 0x2c
	v_cmp_eq_u32_e32 vcc_lo, 0, v0
	s_waitcnt lgkmcnt(0)
	s_lshl_b64 s[2:3], s[12:13], 2
	s_add_u32 s12, s14, s2
	s_addc_u32 s13, s15, s3
	s_add_u32 s14, s0, s2
	s_addc_u32 s15, s1, s3
	s_lshl_b64 s[4:5], s[6:7], 2
	s_add_u32 s0, s12, s4
	s_addc_u32 s1, s13, s5
	s_add_u32 s14, s14, s4
	s_addc_u32 s15, s15, s5
	s_load_dword s12, s[0:1], 0x0
	s_load_dword s6, s[14:15], 0x0
	s_mov_b32 s0, -1
	s_waitcnt lgkmcnt(0)
	s_cmp_gt_i32 s6, s12
	s_cbranch_scc1 .LBB67_2
; %bb.1:
	s_mov_b32 s0, 0
	s_and_b32 s7, vcc_lo, exec_lo
.LBB67_2:
	s_andn2_b32 vcc_lo, exec_lo, s0
	s_cbranch_vccnz .LBB67_131
; %bb.3:
	s_add_i32 s0, s12, 0x1000
	s_cmp_le_i32 s0, s6
	s_cbranch_scc0 .LBB67_132
; %bb.4:
	s_ashr_i32 s13, s12, 31
	v_lshlrev_b32_e32 v18, 2, v0
	s_lshl_b64 s[14:15], s[12:13], 2
	s_add_u32 s14, s8, s14
	s_addc_u32 s15, s9, s15
	v_add_co_u32 v11, s1, s14, v18
	v_add_co_ci_u32_e64 v13, null, s15, 0, s1
	s_mov_b32 s1, exec_lo
	v_add_co_u32 v1, vcc_lo, 0x800, v11
	v_add_co_ci_u32_e64 v2, null, 0, v13, vcc_lo
	v_add_co_u32 v6, vcc_lo, v11, 0x1000
	v_add_co_ci_u32_e64 v7, null, 0, v13, vcc_lo
	;; [unrolled: 2-line block ×9, first 2 shown]
	s_clause 0x7
	global_load_dword v17, v18, s[14:15]
	global_load_dword v16, v18, s[14:15] offset:1024
	global_load_dword v14, v[1:2], off offset:1024
	global_load_dword v12, v[3:4], off offset:1024
	;; [unrolled: 1-line block ×6, first 2 shown]
	v_add_co_u32 v21, vcc_lo, 0x3800, v11
	v_add_co_ci_u32_e64 v22, null, 0, v13, vcc_lo
	s_clause 0x7
	global_load_dword v15, v[6:7], off offset:-2048
	global_load_dword v13, v[6:7], off
	global_load_dword v11, v[19:20], off offset:-2048
	global_load_dword v9, v[19:20], off
	global_load_dword v7, v[25:26], off offset:-2048
	global_load_dword v4, v[25:26], off
	global_load_dword v2, v[21:22], off
	global_load_dword v1, v[21:22], off offset:1024
	s_waitcnt vmcnt(15)
	v_mov_b32_e32 v6, v17
	v_cmpx_o_f32_e32 v17, v17
	s_cbranch_execz .LBB67_8
; %bb.5:
	s_waitcnt vmcnt(14)
	v_mov_b32_e32 v6, v16
	s_mov_b32 s13, exec_lo
	v_cmpx_o_f32_e32 v16, v16
; %bb.6:
	v_cmp_lt_f32_e32 vcc_lo, v16, v17
	v_cndmask_b32_e32 v6, v17, v16, vcc_lo
; %bb.7:
	s_or_b32 exec_lo, exec_lo, s13
.LBB67_8:
	s_or_b32 exec_lo, exec_lo, s1
	s_mov_b32 s1, exec_lo
	v_cmpx_o_f32_e32 v6, v6
	s_cbranch_execz .LBB67_12
; %bb.9:
	s_waitcnt vmcnt(7)
	v_mov_b32_e32 v19, v15
	s_mov_b32 s13, exec_lo
	v_cmpx_o_f32_e32 v15, v15
; %bb.10:
	v_cmp_lt_f32_e32 vcc_lo, v15, v6
	v_cndmask_b32_e32 v19, v6, v15, vcc_lo
; %bb.11:
	s_or_b32 exec_lo, exec_lo, s13
	v_mov_b32_e32 v6, v19
.LBB67_12:
	s_or_b32 exec_lo, exec_lo, s1
	s_mov_b32 s1, exec_lo
	v_cmpx_o_f32_e32 v6, v6
	s_cbranch_execz .LBB67_16
; %bb.13:
	s_waitcnt vmcnt(13)
	v_mov_b32_e32 v19, v14
	s_mov_b32 s13, exec_lo
	v_cmpx_o_f32_e32 v14, v14
; %bb.14:
	v_cmp_lt_f32_e32 vcc_lo, v14, v6
	v_cndmask_b32_e32 v19, v6, v14, vcc_lo
; %bb.15:
	s_or_b32 exec_lo, exec_lo, s13
	v_mov_b32_e32 v6, v19
.LBB67_16:
	;; [unrolled: 16-line block ×14, first 2 shown]
	s_or_b32 exec_lo, exec_lo, s1
	s_add_i32 s1, s12, 0x2000
	s_cmp_ge_i32 s1, s6
	s_cbranch_scc1 .LBB67_133
; %bb.65:
	v_add_co_u32 v19, s1, s8, v18
	v_add_co_ci_u32_e64 v20, null, s9, 0, s1
	s_branch .LBB67_68
.LBB67_66:                              ;   in Loop: Header=BB67_68 Depth=1
	s_or_b32 exec_lo, exec_lo, s13
	v_mov_b32_e32 v6, v21
.LBB67_67:                              ;   in Loop: Header=BB67_68 Depth=1
	s_or_b32 exec_lo, exec_lo, s1
	s_add_i32 s1, s0, 0x2000
	s_addk_i32 s0, 0x1000
	s_cmp_lt_i32 s1, s6
	s_cbranch_scc0 .LBB67_133
.LBB67_68:                              ; =>This Inner Loop Header: Depth=1
	s_ashr_i32 s1, s0, 31
	s_lshl_b64 s[14:15], s[0:1], 2
	s_mov_b32 s1, exec_lo
	s_waitcnt vmcnt(0)
	v_add_co_u32 v1, vcc_lo, v19, s14
	v_add_co_ci_u32_e64 v2, null, s15, v20, vcc_lo
	v_add_co_u32 v3, vcc_lo, 0x800, v1
	v_add_co_ci_u32_e64 v4, null, 0, v2, vcc_lo
	;; [unrolled: 2-line block ×10, first 2 shown]
	s_clause 0x7
	global_load_dword v17, v[1:2], off
	global_load_dword v16, v[1:2], off offset:1024
	global_load_dword v14, v[3:4], off offset:1024
	global_load_dword v12, v[7:8], off offset:1024
	global_load_dword v10, v[9:10], off offset:1024
	global_load_dword v8, v[25:26], off offset:1024
	global_load_dword v5, v[27:28], off offset:1024
	global_load_dword v3, v[31:32], off offset:1024
	v_add_co_u32 v25, vcc_lo, 0x3800, v1
	v_add_co_ci_u32_e64 v26, null, 0, v2, vcc_lo
	s_clause 0x7
	global_load_dword v15, v[21:22], off offset:-2048
	global_load_dword v13, v[21:22], off
	global_load_dword v11, v[23:24], off offset:-2048
	global_load_dword v9, v[23:24], off
	;; [unrolled: 2-line block ×3, first 2 shown]
	global_load_dword v2, v[25:26], off
	global_load_dword v1, v[25:26], off offset:1024
	v_cmpx_o_f32_e32 v6, v6
	s_cbranch_execz .LBB67_72
; %bb.69:                               ;   in Loop: Header=BB67_68 Depth=1
	s_waitcnt vmcnt(15)
	v_mov_b32_e32 v21, v17
	s_mov_b32 s13, exec_lo
	v_cmpx_o_f32_e32 v17, v17
; %bb.70:                               ;   in Loop: Header=BB67_68 Depth=1
	v_cmp_lt_f32_e32 vcc_lo, v17, v6
	v_cndmask_b32_e32 v21, v6, v17, vcc_lo
; %bb.71:                               ;   in Loop: Header=BB67_68 Depth=1
	s_or_b32 exec_lo, exec_lo, s13
	v_mov_b32_e32 v6, v21
.LBB67_72:                              ;   in Loop: Header=BB67_68 Depth=1
	s_or_b32 exec_lo, exec_lo, s1
	s_mov_b32 s1, exec_lo
	v_cmpx_o_f32_e32 v6, v6
	s_cbranch_execz .LBB67_76
; %bb.73:                               ;   in Loop: Header=BB67_68 Depth=1
	s_waitcnt vmcnt(14)
	v_mov_b32_e32 v21, v16
	s_mov_b32 s13, exec_lo
	v_cmpx_o_f32_e32 v16, v16
; %bb.74:                               ;   in Loop: Header=BB67_68 Depth=1
	v_cmp_lt_f32_e32 vcc_lo, v16, v6
	v_cndmask_b32_e32 v21, v6, v16, vcc_lo
; %bb.75:                               ;   in Loop: Header=BB67_68 Depth=1
	s_or_b32 exec_lo, exec_lo, s13
	v_mov_b32_e32 v6, v21
.LBB67_76:                              ;   in Loop: Header=BB67_68 Depth=1
	s_or_b32 exec_lo, exec_lo, s1
	s_mov_b32 s1, exec_lo
	;; [unrolled: 16-line block ×7, first 2 shown]
	v_cmpx_o_f32_e32 v6, v6
	s_cbranch_execz .LBB67_100
; %bb.97:                               ;   in Loop: Header=BB67_68 Depth=1
	s_waitcnt vmcnt(11)
	v_mov_b32_e32 v21, v10
	s_mov_b32 s13, exec_lo
	v_cmpx_o_f32_e32 v10, v10
; %bb.98:                               ;   in Loop: Header=BB67_68 Depth=1
	v_cmp_lt_f32_e32 vcc_lo, v10, v6
	v_cndmask_b32_e32 v21, v6, v10, vcc_lo
; %bb.99:                               ;   in Loop: Header=BB67_68 Depth=1
	s_or_b32 exec_lo, exec_lo, s13
	v_mov_b32_e32 v6, v21
.LBB67_100:                             ;   in Loop: Header=BB67_68 Depth=1
	s_or_b32 exec_lo, exec_lo, s1
	s_mov_b32 s1, exec_lo
	v_cmpx_o_f32_e32 v6, v6
	s_cbranch_execz .LBB67_104
; %bb.101:                              ;   in Loop: Header=BB67_68 Depth=1
	s_waitcnt vmcnt(4)
	v_mov_b32_e32 v21, v9
	s_mov_b32 s13, exec_lo
	v_cmpx_o_f32_e32 v9, v9
; %bb.102:                              ;   in Loop: Header=BB67_68 Depth=1
	v_cmp_lt_f32_e32 vcc_lo, v9, v6
	v_cndmask_b32_e32 v21, v6, v9, vcc_lo
; %bb.103:                              ;   in Loop: Header=BB67_68 Depth=1
	s_or_b32 exec_lo, exec_lo, s13
	v_mov_b32_e32 v6, v21
.LBB67_104:                             ;   in Loop: Header=BB67_68 Depth=1
	s_or_b32 exec_lo, exec_lo, s1
	s_mov_b32 s1, exec_lo
	v_cmpx_o_f32_e32 v6, v6
	s_cbranch_execz .LBB67_108
; %bb.105:                              ;   in Loop: Header=BB67_68 Depth=1
	s_waitcnt vmcnt(10)
	v_mov_b32_e32 v21, v8
	s_mov_b32 s13, exec_lo
	v_cmpx_o_f32_e32 v8, v8
; %bb.106:                              ;   in Loop: Header=BB67_68 Depth=1
	v_cmp_lt_f32_e32 vcc_lo, v8, v6
	v_cndmask_b32_e32 v21, v6, v8, vcc_lo
; %bb.107:                              ;   in Loop: Header=BB67_68 Depth=1
	s_or_b32 exec_lo, exec_lo, s13
	v_mov_b32_e32 v6, v21
.LBB67_108:                             ;   in Loop: Header=BB67_68 Depth=1
	;; [unrolled: 16-line block ×7, first 2 shown]
	s_or_b32 exec_lo, exec_lo, s1
	s_mov_b32 s1, exec_lo
	v_cmpx_o_f32_e32 v6, v6
	s_cbranch_execz .LBB67_67
; %bb.129:                              ;   in Loop: Header=BB67_68 Depth=1
	s_waitcnt vmcnt(0)
	v_mov_b32_e32 v21, v1
	s_mov_b32 s13, exec_lo
	v_cmpx_o_f32_e32 v1, v1
	s_cbranch_execz .LBB67_66
; %bb.130:                              ;   in Loop: Header=BB67_68 Depth=1
	v_cmp_lt_f32_e32 vcc_lo, v1, v6
	v_cndmask_b32_e32 v21, v6, v1, vcc_lo
	s_branch .LBB67_66
.LBB67_131:
	v_mov_b32_e32 v2, s16
	s_and_saveexec_b32 s0, s7
	s_cbranch_execnz .LBB67_371
	s_branch .LBB67_372
.LBB67_132:
                                        ; implicit-def: $vgpr1
	s_cbranch_execnz .LBB67_266
	s_branch .LBB67_364
.LBB67_133:
	s_ashr_i32 s1, s0, 31
	s_sub_i32 s13, s6, s0
	s_lshl_b64 s[0:1], s[0:1], 2
	s_mov_b32 s14, exec_lo
	s_add_u32 s0, s8, s0
	s_addc_u32 s1, s9, s1
	v_cmpx_gt_u32_e64 s13, v0
	s_cbranch_execz .LBB67_135
; %bb.134:
	global_load_dword v17, v18, s[0:1]
.LBB67_135:
	s_or_b32 exec_lo, exec_lo, s14
	v_or_b32_e32 v32, 0x100, v0
	s_mov_b32 s14, exec_lo
	v_cmpx_gt_u32_e64 s13, v32
	s_cbranch_execz .LBB67_137
; %bb.136:
	global_load_dword v16, v18, s[0:1] offset:1024
.LBB67_137:
	s_or_b32 exec_lo, exec_lo, s14
	v_or_b32_e32 v31, 0x200, v0
	s_mov_b32 s14, exec_lo
	v_cmpx_gt_u32_e64 s13, v31
	s_cbranch_execz .LBB67_139
; %bb.138:
	s_waitcnt vmcnt(7)
	v_lshlrev_b32_e32 v15, 2, v31
	global_load_dword v15, v15, s[0:1]
.LBB67_139:
	s_or_b32 exec_lo, exec_lo, s14
	v_or_b32_e32 v30, 0x300, v0
	s_mov_b32 s14, exec_lo
	v_cmpx_gt_u32_e64 s13, v30
	s_cbranch_execz .LBB67_141
; %bb.140:
	s_waitcnt vmcnt(13)
	v_lshlrev_b32_e32 v14, 2, v30
	global_load_dword v14, v14, s[0:1]
.LBB67_141:
	;; [unrolled: 10-line block ×14, first 2 shown]
	s_or_b32 exec_lo, exec_lo, s14
	v_cmp_gt_u32_e32 vcc_lo, s13, v0
	v_cmp_o_f32_e64 s0, v6, v6
	s_and_b32 s1, vcc_lo, s0
	s_and_saveexec_b32 s0, s1
	s_cbranch_execz .LBB67_169
; %bb.166:
	s_mov_b32 s1, exec_lo
	s_waitcnt vmcnt(0)
	v_cmpx_o_f32_e32 v17, v17
; %bb.167:
	v_cmp_lt_f32_e32 vcc_lo, v17, v6
	v_cndmask_b32_e32 v17, v6, v17, vcc_lo
; %bb.168:
	s_or_b32 exec_lo, exec_lo, s1
	v_mov_b32_e32 v6, v17
.LBB67_169:
	s_or_b32 exec_lo, exec_lo, s0
	v_cmp_gt_u32_e32 vcc_lo, s13, v32
	v_cmp_o_f32_e64 s0, v6, v6
	s_and_b32 s1, vcc_lo, s0
	s_and_saveexec_b32 s0, s1
	s_cbranch_execz .LBB67_173
; %bb.170:
	s_mov_b32 s1, exec_lo
	s_waitcnt vmcnt(0)
	v_cmpx_o_f32_e32 v16, v16
; %bb.171:
	v_cmp_lt_f32_e32 vcc_lo, v16, v6
	v_cndmask_b32_e32 v16, v6, v16, vcc_lo
; %bb.172:
	s_or_b32 exec_lo, exec_lo, s1
	v_mov_b32_e32 v6, v16
.LBB67_173:
	;; [unrolled: 17-line block ×16, first 2 shown]
	s_or_b32 exec_lo, exec_lo, s0
	s_waitcnt vmcnt(0)
	v_mov_b32_dpp v1, v6 quad_perm:[1,0,3,2] row_mask:0xf bank_mask:0xf
	s_mov_b32 s0, exec_lo
	v_cmpx_o_f32_e32 v1, v1
	s_xor_b32 s0, exec_lo, s0
	s_cbranch_execz .LBB67_233
; %bb.230:
	s_mov_b32 s1, exec_lo
	v_cmpx_o_f32_e32 v6, v6
; %bb.231:
	v_cmp_lt_f32_e32 vcc_lo, v6, v1
	v_cndmask_b32_e32 v6, v1, v6, vcc_lo
; %bb.232:
	s_or_b32 exec_lo, exec_lo, s1
	v_mov_b32_e32 v1, v6
.LBB67_233:
	s_or_b32 exec_lo, exec_lo, s0
	v_mov_b32_dpp v2, v1 quad_perm:[2,3,0,1] row_mask:0xf bank_mask:0xf
	s_mov_b32 s0, exec_lo
	v_cmpx_o_f32_e32 v2, v2
	s_cbranch_execz .LBB67_237
; %bb.234:
	s_mov_b32 s1, exec_lo
	v_cmpx_o_f32_e32 v1, v1
; %bb.235:
	v_cmp_lt_f32_e32 vcc_lo, v1, v2
	v_cndmask_b32_e32 v1, v2, v1, vcc_lo
; %bb.236:
	s_or_b32 exec_lo, exec_lo, s1
	v_mov_b32_e32 v2, v1
.LBB67_237:
	s_or_b32 exec_lo, exec_lo, s0
	v_mov_b32_dpp v1, v2 row_ror:4 row_mask:0xf bank_mask:0xf
	s_mov_b32 s0, exec_lo
	v_cmpx_o_f32_e32 v1, v1
	s_cbranch_execz .LBB67_241
; %bb.238:
	s_mov_b32 s1, exec_lo
	v_cmpx_o_f32_e32 v2, v2
; %bb.239:
	v_cmp_lt_f32_e32 vcc_lo, v2, v1
	v_cndmask_b32_e32 v2, v1, v2, vcc_lo
; %bb.240:
	s_or_b32 exec_lo, exec_lo, s1
	v_mov_b32_e32 v1, v2
.LBB67_241:
	s_or_b32 exec_lo, exec_lo, s0
	v_mov_b32_dpp v2, v1 row_ror:8 row_mask:0xf bank_mask:0xf
	s_mov_b32 s0, exec_lo
	v_cmpx_o_f32_e32 v2, v2
	s_cbranch_execz .LBB67_245
; %bb.242:
	s_mov_b32 s1, exec_lo
	v_cmpx_o_f32_e32 v1, v1
; %bb.243:
	v_cmp_lt_f32_e32 vcc_lo, v1, v2
	v_cndmask_b32_e32 v1, v2, v1, vcc_lo
; %bb.244:
	s_or_b32 exec_lo, exec_lo, s1
	v_mov_b32_e32 v2, v1
.LBB67_245:
	s_or_b32 exec_lo, exec_lo, s0
	ds_swizzle_b32 v1, v2 offset:swizzle(BROADCAST,32,15)
	s_mov_b32 s0, exec_lo
	s_waitcnt lgkmcnt(0)
	v_cmpx_o_f32_e32 v1, v1
	s_cbranch_execz .LBB67_249
; %bb.246:
	s_mov_b32 s1, exec_lo
	v_cmpx_o_f32_e32 v2, v2
; %bb.247:
	v_cmp_lt_f32_e32 vcc_lo, v2, v1
	v_cndmask_b32_e32 v2, v1, v2, vcc_lo
; %bb.248:
	s_or_b32 exec_lo, exec_lo, s1
	v_mov_b32_e32 v1, v2
.LBB67_249:
	s_or_b32 exec_lo, exec_lo, s0
	v_mov_b32_e32 v2, 0
	s_mov_b32 s0, exec_lo
	ds_bpermute_b32 v1, v2, v1 offset:124
	v_mbcnt_lo_u32_b32 v2, -1, 0
	v_cmpx_eq_u32_e32 0, v2
	s_cbranch_execz .LBB67_251
; %bb.250:
	v_lshrrev_b32_e32 v3, 3, v0
	v_and_b32_e32 v3, 28, v3
	s_waitcnt lgkmcnt(0)
	ds_write_b32 v3, v1
.LBB67_251:
	s_or_b32 exec_lo, exec_lo, s0
	s_mov_b32 s0, exec_lo
	s_waitcnt lgkmcnt(0)
	s_barrier
	buffer_gl0_inv
	v_cmpx_gt_u32_e32 32, v0
	s_cbranch_execz .LBB67_265
; %bb.252:
	v_and_b32_e32 v3, 7, v2
	s_mov_b32 s1, exec_lo
	v_lshlrev_b32_e32 v1, 2, v3
	v_cmp_ne_u32_e32 vcc_lo, 7, v3
	ds_read_b32 v1, v1
	v_add_co_ci_u32_e64 v4, null, 0, v2, vcc_lo
	v_lshlrev_b32_e32 v4, 2, v4
	s_waitcnt lgkmcnt(0)
	ds_bpermute_b32 v4, v4, v1
	v_cmpx_o_f32_e32 v1, v1
	s_cbranch_execz .LBB67_256
; %bb.253:
	s_mov_b32 s13, exec_lo
	s_waitcnt lgkmcnt(0)
	v_cmpx_o_f32_e32 v4, v4
; %bb.254:
	v_cmp_gt_f32_e32 vcc_lo, v1, v4
	v_cndmask_b32_e32 v4, v1, v4, vcc_lo
; %bb.255:
	s_or_b32 exec_lo, exec_lo, s13
	v_mov_b32_e32 v1, v4
.LBB67_256:
	s_or_b32 exec_lo, exec_lo, s1
	v_cmp_gt_u32_e32 vcc_lo, 6, v3
	s_mov_b32 s1, exec_lo
	v_cndmask_b32_e64 v3, 0, 2, vcc_lo
	v_add_lshl_u32 v3, v3, v2, 2
	v_lshlrev_b32_e32 v2, 2, v2
	ds_bpermute_b32 v3, v3, v1
	v_cmpx_o_f32_e32 v1, v1
	s_cbranch_execz .LBB67_260
; %bb.257:
	s_mov_b32 s13, exec_lo
	s_waitcnt lgkmcnt(0)
	v_cmpx_o_f32_e32 v3, v3
; %bb.258:
	v_cmp_gt_f32_e32 vcc_lo, v1, v3
	v_cndmask_b32_e32 v3, v1, v3, vcc_lo
; %bb.259:
	s_or_b32 exec_lo, exec_lo, s13
	v_mov_b32_e32 v1, v3
.LBB67_260:
	s_or_b32 exec_lo, exec_lo, s1
	v_or_b32_e32 v2, 16, v2
	s_mov_b32 s1, exec_lo
	ds_bpermute_b32 v2, v2, v1
	v_cmpx_o_f32_e32 v1, v1
	s_cbranch_execz .LBB67_264
; %bb.261:
	s_mov_b32 s13, exec_lo
	s_waitcnt lgkmcnt(0)
	v_cmpx_o_f32_e32 v2, v2
; %bb.262:
	v_cmp_gt_f32_e32 vcc_lo, v1, v2
	v_cndmask_b32_e32 v2, v1, v2, vcc_lo
; %bb.263:
	s_or_b32 exec_lo, exec_lo, s13
	v_mov_b32_e32 v1, v2
.LBB67_264:
	s_or_b32 exec_lo, exec_lo, s1
.LBB67_265:
	s_or_b32 exec_lo, exec_lo, s0
	s_branch .LBB67_364
.LBB67_266:
	s_sub_i32 s1, s6, s12
	s_mov_b32 s0, exec_lo
                                        ; implicit-def: $vgpr4
	v_cmpx_gt_u32_e64 s1, v0
	s_cbranch_execz .LBB67_276
; %bb.267:
	v_add_nc_u32_e32 v1, s12, v0
	s_mov_b32 s12, exec_lo
	s_waitcnt lgkmcnt(0)
	v_ashrrev_i32_e32 v2, 31, v1
	v_lshlrev_b64 v[2:3], 2, v[1:2]
	v_add_nc_u32_e32 v1, 0x100, v1
	v_add_co_u32 v2, vcc_lo, s8, v2
	v_add_co_ci_u32_e64 v3, null, s9, v3, vcc_lo
	global_load_dword v4, v[2:3], off
	v_cmpx_gt_i32_e64 s6, v1
	s_cbranch_execz .LBB67_275
; %bb.268:
	s_mov_b32 s13, 0
	s_inst_prefetch 0x1
	s_branch .LBB67_271
	.p2align	6
.LBB67_269:                             ;   in Loop: Header=BB67_271 Depth=1
	s_or_b32 exec_lo, exec_lo, s15
	v_mov_b32_e32 v4, v2
.LBB67_270:                             ;   in Loop: Header=BB67_271 Depth=1
	s_or_b32 exec_lo, exec_lo, s14
	v_add_nc_u32_e32 v1, 0x100, v1
	v_cmp_le_i32_e32 vcc_lo, s6, v1
	s_or_b32 s13, vcc_lo, s13
	s_andn2_b32 exec_lo, exec_lo, s13
	s_cbranch_execz .LBB67_274
.LBB67_271:                             ; =>This Inner Loop Header: Depth=1
	s_mov_b32 s14, exec_lo
	s_waitcnt vmcnt(0)
	v_cmpx_o_f32_e32 v4, v4
	s_cbranch_execz .LBB67_270
; %bb.272:                              ;   in Loop: Header=BB67_271 Depth=1
	v_ashrrev_i32_e32 v2, 31, v1
	s_mov_b32 s15, exec_lo
	v_lshlrev_b64 v[2:3], 2, v[1:2]
	v_add_co_u32 v2, vcc_lo, s8, v2
	v_add_co_ci_u32_e64 v3, null, s9, v3, vcc_lo
	global_load_dword v2, v[2:3], off
	s_waitcnt vmcnt(0)
	v_cmpx_o_f32_e32 v2, v2
	s_cbranch_execz .LBB67_269
; %bb.273:                              ;   in Loop: Header=BB67_271 Depth=1
	v_cmp_lt_f32_e32 vcc_lo, v2, v4
	v_cndmask_b32_e32 v2, v4, v2, vcc_lo
	s_branch .LBB67_269
.LBB67_274:
	s_inst_prefetch 0x2
	s_or_b32 exec_lo, exec_lo, s13
.LBB67_275:
	s_or_b32 exec_lo, exec_lo, s12
.LBB67_276:
	s_or_b32 exec_lo, exec_lo, s0
	s_waitcnt lgkmcnt(1)
	v_lshrrev_b32_e32 v3, 5, v0
	s_waitcnt lgkmcnt(0)
	v_mbcnt_lo_u32_b32 v2, -1, 0
	s_cmpk_lt_u32 s1, 0x100
	s_mov_b32 s0, -1
                                        ; implicit-def: $vgpr1
	s_cbranch_scc0 .LBB67_326
; %bb.277:
	v_cmp_ne_u32_e32 vcc_lo, 31, v2
	v_add_co_ci_u32_e64 v1, null, 0, v2, vcc_lo
	v_lshlrev_b32_e32 v1, 2, v1
	s_waitcnt vmcnt(0)
	ds_bpermute_b32 v6, v1, v4
	v_and_b32_e32 v1, 0xe0, v0
	v_sub_nc_u32_e64 v5, s1, v1 clamp
	v_add_nc_u32_e32 v1, 1, v2
	v_cmp_lt_u32_e32 vcc_lo, v1, v5
	v_mov_b32_e32 v1, v4
	s_and_saveexec_b32 s0, vcc_lo
	s_cbranch_execz .LBB67_283
; %bb.278:
	v_mov_b32_e32 v1, v4
	s_mov_b32 s6, exec_lo
	v_cmpx_o_f32_e32 v4, v4
	s_cbranch_execz .LBB67_282
; %bb.279:
	s_mov_b32 s8, exec_lo
	s_waitcnt lgkmcnt(0)
	v_cmpx_o_f32_e32 v6, v6
; %bb.280:
	v_cmp_gt_f32_e32 vcc_lo, v4, v6
	v_cndmask_b32_e32 v6, v4, v6, vcc_lo
; %bb.281:
	s_or_b32 exec_lo, exec_lo, s8
	v_mov_b32_e32 v1, v6
.LBB67_282:
	s_or_b32 exec_lo, exec_lo, s6
.LBB67_283:
	s_or_b32 exec_lo, exec_lo, s0
	v_cmp_gt_u32_e32 vcc_lo, 30, v2
	v_add_nc_u32_e32 v7, 2, v2
	s_mov_b32 s0, exec_lo
	s_waitcnt lgkmcnt(0)
	v_cndmask_b32_e64 v6, 0, 2, vcc_lo
	v_add_lshl_u32 v6, v6, v2, 2
	ds_bpermute_b32 v6, v6, v1
	v_cmpx_lt_u32_e64 v7, v5
	s_cbranch_execz .LBB67_289
; %bb.284:
	s_mov_b32 s6, exec_lo
	v_cmpx_o_f32_e32 v1, v1
	s_cbranch_execz .LBB67_288
; %bb.285:
	s_mov_b32 s8, exec_lo
	s_waitcnt lgkmcnt(0)
	v_cmpx_o_f32_e32 v6, v6
; %bb.286:
	v_cmp_gt_f32_e32 vcc_lo, v1, v6
	v_cndmask_b32_e32 v6, v1, v6, vcc_lo
; %bb.287:
	s_or_b32 exec_lo, exec_lo, s8
	v_mov_b32_e32 v1, v6
.LBB67_288:
	s_or_b32 exec_lo, exec_lo, s6
.LBB67_289:
	s_or_b32 exec_lo, exec_lo, s0
	v_cmp_gt_u32_e32 vcc_lo, 28, v2
	v_add_nc_u32_e32 v7, 4, v2
	s_mov_b32 s0, exec_lo
	s_waitcnt lgkmcnt(0)
	v_cndmask_b32_e64 v6, 0, 4, vcc_lo
	v_add_lshl_u32 v6, v6, v2, 2
	ds_bpermute_b32 v6, v6, v1
	v_cmpx_lt_u32_e64 v7, v5
	s_cbranch_execz .LBB67_295
; %bb.290:
	s_mov_b32 s6, exec_lo
	v_cmpx_o_f32_e32 v1, v1
	s_cbranch_execz .LBB67_294
; %bb.291:
	s_mov_b32 s8, exec_lo
	s_waitcnt lgkmcnt(0)
	v_cmpx_o_f32_e32 v6, v6
; %bb.292:
	v_cmp_gt_f32_e32 vcc_lo, v1, v6
	v_cndmask_b32_e32 v6, v1, v6, vcc_lo
; %bb.293:
	s_or_b32 exec_lo, exec_lo, s8
	v_mov_b32_e32 v1, v6
.LBB67_294:
	s_or_b32 exec_lo, exec_lo, s6
.LBB67_295:
	;; [unrolled: 27-line block ×3, first 2 shown]
	s_or_b32 exec_lo, exec_lo, s0
	s_waitcnt lgkmcnt(0)
	v_lshlrev_b32_e32 v6, 2, v2
	v_add_nc_u32_e32 v8, 16, v2
	v_cmp_o_f32_e64 s0, v1, v1
	v_or_b32_e32 v7, 64, v6
	v_cmp_lt_u32_e32 vcc_lo, v8, v5
	ds_bpermute_b32 v7, v7, v1
	s_and_b32 s6, vcc_lo, s0
	s_and_saveexec_b32 s0, s6
	s_cbranch_execz .LBB67_305
; %bb.302:
	s_mov_b32 s6, exec_lo
	s_waitcnt lgkmcnt(0)
	v_cmpx_o_f32_e32 v7, v7
; %bb.303:
	v_cmp_gt_f32_e32 vcc_lo, v1, v7
	v_cndmask_b32_e32 v7, v1, v7, vcc_lo
; %bb.304:
	s_or_b32 exec_lo, exec_lo, s6
	v_mov_b32_e32 v1, v7
.LBB67_305:
	s_or_b32 exec_lo, exec_lo, s0
	s_mov_b32 s0, exec_lo
	v_cmpx_eq_u32_e32 0, v2
; %bb.306:
	v_lshlrev_b32_e32 v5, 2, v3
	ds_write_b32 v5, v1
; %bb.307:
	s_or_b32 exec_lo, exec_lo, s0
	s_mov_b32 s6, exec_lo
	s_waitcnt lgkmcnt(0)
	s_barrier
	buffer_gl0_inv
	v_cmpx_gt_u32_e32 8, v0
	s_cbranch_execz .LBB67_325
; %bb.308:
	ds_read_b32 v1, v6
	v_and_b32_e32 v5, 7, v2
	s_add_i32 s1, s1, 31
	s_lshr_b32 s0, s1, 5
	s_mov_b32 s1, exec_lo
	v_cmp_ne_u32_e32 vcc_lo, 7, v5
	v_add_nc_u32_e32 v8, 1, v5
	v_add_co_ci_u32_e64 v7, null, 0, v2, vcc_lo
	v_lshlrev_b32_e32 v7, 2, v7
	s_waitcnt lgkmcnt(0)
	ds_bpermute_b32 v7, v7, v1
	v_cmpx_gt_u32_e64 s0, v8
	s_cbranch_execz .LBB67_314
; %bb.309:
	s_mov_b32 s8, exec_lo
	v_cmpx_o_f32_e32 v1, v1
	s_cbranch_execz .LBB67_313
; %bb.310:
	s_mov_b32 s9, exec_lo
	s_waitcnt lgkmcnt(0)
	v_cmpx_o_f32_e32 v7, v7
; %bb.311:
	v_cmp_gt_f32_e32 vcc_lo, v1, v7
	v_cndmask_b32_e32 v7, v1, v7, vcc_lo
; %bb.312:
	s_or_b32 exec_lo, exec_lo, s9
	v_mov_b32_e32 v1, v7
.LBB67_313:
	s_or_b32 exec_lo, exec_lo, s8
.LBB67_314:
	s_or_b32 exec_lo, exec_lo, s1
	v_cmp_gt_u32_e32 vcc_lo, 6, v5
	v_add_nc_u32_e32 v8, 2, v5
	s_mov_b32 s1, exec_lo
	s_waitcnt lgkmcnt(0)
	v_cndmask_b32_e64 v7, 0, 2, vcc_lo
	v_add_lshl_u32 v7, v7, v2, 2
	ds_bpermute_b32 v7, v7, v1
	v_cmpx_gt_u32_e64 s0, v8
	s_cbranch_execz .LBB67_320
; %bb.315:
	s_mov_b32 s8, exec_lo
	v_cmpx_o_f32_e32 v1, v1
	s_cbranch_execz .LBB67_319
; %bb.316:
	s_mov_b32 s9, exec_lo
	s_waitcnt lgkmcnt(0)
	v_cmpx_o_f32_e32 v7, v7
; %bb.317:
	v_cmp_gt_f32_e32 vcc_lo, v1, v7
	v_cndmask_b32_e32 v7, v1, v7, vcc_lo
; %bb.318:
	s_or_b32 exec_lo, exec_lo, s9
	v_mov_b32_e32 v1, v7
.LBB67_319:
	s_or_b32 exec_lo, exec_lo, s8
.LBB67_320:
	s_or_b32 exec_lo, exec_lo, s1
	v_or_b32_e32 v6, 16, v6
	v_add_nc_u32_e32 v5, 4, v5
	ds_bpermute_b32 v6, v6, v1
	v_cmp_gt_u32_e32 vcc_lo, s0, v5
	v_cmp_o_f32_e64 s0, v1, v1
	s_and_b32 s1, vcc_lo, s0
	s_and_saveexec_b32 s0, s1
	s_cbranch_execz .LBB67_324
; %bb.321:
	s_mov_b32 s1, exec_lo
	s_waitcnt lgkmcnt(0)
	v_cmpx_o_f32_e32 v6, v6
; %bb.322:
	v_cmp_gt_f32_e32 vcc_lo, v1, v6
	v_cndmask_b32_e32 v6, v1, v6, vcc_lo
; %bb.323:
	s_or_b32 exec_lo, exec_lo, s1
	v_mov_b32_e32 v1, v6
.LBB67_324:
	s_or_b32 exec_lo, exec_lo, s0
.LBB67_325:
	s_or_b32 exec_lo, exec_lo, s6
	s_mov_b32 s0, 0
.LBB67_326:
	s_and_b32 vcc_lo, exec_lo, s0
	s_cbranch_vccz .LBB67_364
; %bb.327:
	s_waitcnt vmcnt(0)
	v_mov_b32_dpp v1, v4 quad_perm:[1,0,3,2] row_mask:0xf bank_mask:0xf
	s_mov_b32 s0, exec_lo
	v_cmpx_o_f32_e32 v1, v1
	s_cbranch_execz .LBB67_331
; %bb.328:
	s_mov_b32 s1, exec_lo
	v_cmpx_o_f32_e32 v4, v4
; %bb.329:
	v_cmp_lt_f32_e32 vcc_lo, v4, v1
	v_cndmask_b32_e32 v4, v1, v4, vcc_lo
; %bb.330:
	s_or_b32 exec_lo, exec_lo, s1
	v_mov_b32_e32 v1, v4
.LBB67_331:
	s_or_b32 exec_lo, exec_lo, s0
	v_mov_b32_dpp v4, v1 quad_perm:[2,3,0,1] row_mask:0xf bank_mask:0xf
	s_mov_b32 s0, exec_lo
	v_cmpx_o_f32_e32 v4, v4
	s_cbranch_execz .LBB67_335
; %bb.332:
	s_mov_b32 s1, exec_lo
	v_cmpx_o_f32_e32 v1, v1
; %bb.333:
	v_cmp_lt_f32_e32 vcc_lo, v1, v4
	v_cndmask_b32_e32 v1, v4, v1, vcc_lo
; %bb.334:
	s_or_b32 exec_lo, exec_lo, s1
	v_mov_b32_e32 v4, v1
.LBB67_335:
	s_or_b32 exec_lo, exec_lo, s0
	v_mov_b32_dpp v1, v4 row_ror:4 row_mask:0xf bank_mask:0xf
	s_mov_b32 s0, exec_lo
	v_cmpx_o_f32_e32 v1, v1
	s_cbranch_execz .LBB67_339
; %bb.336:
	s_mov_b32 s1, exec_lo
	v_cmpx_o_f32_e32 v4, v4
; %bb.337:
	v_cmp_lt_f32_e32 vcc_lo, v4, v1
	v_cndmask_b32_e32 v4, v1, v4, vcc_lo
; %bb.338:
	s_or_b32 exec_lo, exec_lo, s1
	v_mov_b32_e32 v1, v4
.LBB67_339:
	s_or_b32 exec_lo, exec_lo, s0
	v_mov_b32_dpp v4, v1 row_ror:8 row_mask:0xf bank_mask:0xf
	s_mov_b32 s0, exec_lo
	v_cmpx_o_f32_e32 v4, v4
	s_cbranch_execz .LBB67_343
; %bb.340:
	s_mov_b32 s1, exec_lo
	v_cmpx_o_f32_e32 v1, v1
; %bb.341:
	v_cmp_lt_f32_e32 vcc_lo, v1, v4
	v_cndmask_b32_e32 v1, v4, v1, vcc_lo
; %bb.342:
	s_or_b32 exec_lo, exec_lo, s1
	v_mov_b32_e32 v4, v1
.LBB67_343:
	s_or_b32 exec_lo, exec_lo, s0
	ds_swizzle_b32 v1, v4 offset:swizzle(BROADCAST,32,15)
	s_mov_b32 s0, exec_lo
	s_waitcnt lgkmcnt(0)
	v_cmpx_o_f32_e32 v1, v1
	s_cbranch_execz .LBB67_347
; %bb.344:
	s_mov_b32 s1, exec_lo
	v_cmpx_o_f32_e32 v4, v4
; %bb.345:
	v_cmp_lt_f32_e32 vcc_lo, v4, v1
	v_cndmask_b32_e32 v4, v1, v4, vcc_lo
; %bb.346:
	s_or_b32 exec_lo, exec_lo, s1
	v_mov_b32_e32 v1, v4
.LBB67_347:
	s_or_b32 exec_lo, exec_lo, s0
	v_mov_b32_e32 v4, 0
	s_mov_b32 s0, exec_lo
	ds_bpermute_b32 v1, v4, v1 offset:124
	v_cmpx_eq_u32_e32 0, v2
	s_cbranch_execz .LBB67_349
; %bb.348:
	v_lshlrev_b32_e32 v3, 2, v3
	s_waitcnt lgkmcnt(0)
	ds_write_b32 v3, v1
.LBB67_349:
	s_or_b32 exec_lo, exec_lo, s0
	s_mov_b32 s0, exec_lo
	s_waitcnt lgkmcnt(0)
	s_barrier
	buffer_gl0_inv
	v_cmpx_gt_u32_e32 32, v0
	s_cbranch_execz .LBB67_363
; %bb.350:
	v_and_b32_e32 v3, 7, v2
	s_mov_b32 s1, exec_lo
	v_lshlrev_b32_e32 v1, 2, v3
	v_cmp_ne_u32_e32 vcc_lo, 7, v3
	ds_read_b32 v1, v1
	v_add_co_ci_u32_e64 v4, null, 0, v2, vcc_lo
	v_lshlrev_b32_e32 v4, 2, v4
	s_waitcnt lgkmcnt(0)
	ds_bpermute_b32 v4, v4, v1
	v_cmpx_o_f32_e32 v1, v1
	s_cbranch_execz .LBB67_354
; %bb.351:
	s_mov_b32 s6, exec_lo
	s_waitcnt lgkmcnt(0)
	v_cmpx_o_f32_e32 v4, v4
; %bb.352:
	v_cmp_gt_f32_e32 vcc_lo, v1, v4
	v_cndmask_b32_e32 v4, v1, v4, vcc_lo
; %bb.353:
	s_or_b32 exec_lo, exec_lo, s6
	v_mov_b32_e32 v1, v4
.LBB67_354:
	s_or_b32 exec_lo, exec_lo, s1
	v_cmp_gt_u32_e32 vcc_lo, 6, v3
	s_mov_b32 s1, exec_lo
	v_cndmask_b32_e64 v3, 0, 2, vcc_lo
	v_add_lshl_u32 v3, v3, v2, 2
	v_lshlrev_b32_e32 v2, 2, v2
	ds_bpermute_b32 v3, v3, v1
	v_cmpx_o_f32_e32 v1, v1
	s_cbranch_execz .LBB67_358
; %bb.355:
	s_mov_b32 s6, exec_lo
	s_waitcnt lgkmcnt(0)
	v_cmpx_o_f32_e32 v3, v3
; %bb.356:
	v_cmp_gt_f32_e32 vcc_lo, v1, v3
	v_cndmask_b32_e32 v3, v1, v3, vcc_lo
; %bb.357:
	s_or_b32 exec_lo, exec_lo, s6
	v_mov_b32_e32 v1, v3
.LBB67_358:
	s_or_b32 exec_lo, exec_lo, s1
	v_or_b32_e32 v2, 16, v2
	s_mov_b32 s1, exec_lo
	ds_bpermute_b32 v2, v2, v1
	v_cmpx_o_f32_e32 v1, v1
	s_cbranch_execz .LBB67_362
; %bb.359:
	s_mov_b32 s6, exec_lo
	s_waitcnt lgkmcnt(0)
	v_cmpx_o_f32_e32 v2, v2
; %bb.360:
	v_cmp_gt_f32_e32 vcc_lo, v1, v2
	v_cndmask_b32_e32 v2, v1, v2, vcc_lo
; %bb.361:
	s_or_b32 exec_lo, exec_lo, s6
	v_mov_b32_e32 v1, v2
.LBB67_362:
	s_or_b32 exec_lo, exec_lo, s1
.LBB67_363:
	s_or_b32 exec_lo, exec_lo, s0
.LBB67_364:
	s_mov_b32 s0, exec_lo
                                        ; implicit-def: $vgpr2
	v_cmpx_eq_u32_e32 0, v0
	s_cbranch_execz .LBB67_370
; %bb.365:
	v_cmp_u_f32_e64 s1, s16, s16
	s_waitcnt lgkmcnt(0)
	v_mov_b32_e32 v2, s16
	s_and_b32 vcc_lo, exec_lo, s1
	s_cbranch_vccnz .LBB67_369
; %bb.366:
	s_mov_b32 s1, exec_lo
	v_cmpx_o_f32_e32 v1, v1
; %bb.367:
	v_cmp_gt_f32_e32 vcc_lo, s16, v1
	v_cndmask_b32_e32 v1, s16, v1, vcc_lo
; %bb.368:
	s_or_b32 exec_lo, exec_lo, s1
	v_mov_b32_e32 v2, v1
.LBB67_369:
	s_or_b32 s7, s7, exec_lo
.LBB67_370:
	s_or_b32 exec_lo, exec_lo, s0
	s_and_saveexec_b32 s0, s7
	s_cbranch_execz .LBB67_372
.LBB67_371:
	s_add_u32 s0, s10, s2
	v_mov_b32_e32 v0, 0
	s_addc_u32 s1, s11, s3
	s_add_u32 s0, s0, s4
	s_addc_u32 s1, s1, s5
	s_waitcnt lgkmcnt(0)
	global_store_dword v0, v2, s[0:1]
.LBB67_372:
	s_endpgm
	.section	.rodata,"a",@progbits
	.p2align	6, 0x0
	.amdhsa_kernel _ZN7rocprim17ROCPRIM_400000_NS6detail17trampoline_kernelINS0_14default_configENS1_32segmented_reduce_config_selectorIfEEZNS1_21segmented_reduce_implIS3_PKfPfPKifN6hipcub16HIPCUB_304000_NS6detail27convert_result_type_wrapperIS8_S9_N2at6native12_GLOBAL__N_19CustomMinEEEEE10hipError_tPvRmT0_T1_jT2_SQ_T4_T3_P12ihipStream_tbEUlT_E_NS1_11comp_targetILNS1_3genE8ELNS1_11target_archE1030ELNS1_3gpuE2ELNS1_3repE0EEENS1_30default_config_static_selectorELNS0_4arch9wavefront6targetE0EEEvSP_
		.amdhsa_group_segment_fixed_size 32
		.amdhsa_private_segment_fixed_size 0
		.amdhsa_kernarg_size 48
		.amdhsa_user_sgpr_count 6
		.amdhsa_user_sgpr_private_segment_buffer 1
		.amdhsa_user_sgpr_dispatch_ptr 0
		.amdhsa_user_sgpr_queue_ptr 0
		.amdhsa_user_sgpr_kernarg_segment_ptr 1
		.amdhsa_user_sgpr_dispatch_id 0
		.amdhsa_user_sgpr_flat_scratch_init 0
		.amdhsa_user_sgpr_private_segment_size 0
		.amdhsa_wavefront_size32 1
		.amdhsa_uses_dynamic_stack 0
		.amdhsa_system_sgpr_private_segment_wavefront_offset 0
		.amdhsa_system_sgpr_workgroup_id_x 1
		.amdhsa_system_sgpr_workgroup_id_y 0
		.amdhsa_system_sgpr_workgroup_id_z 0
		.amdhsa_system_sgpr_workgroup_info 0
		.amdhsa_system_vgpr_workitem_id 0
		.amdhsa_next_free_vgpr 33
		.amdhsa_next_free_sgpr 17
		.amdhsa_reserve_vcc 1
		.amdhsa_reserve_flat_scratch 0
		.amdhsa_float_round_mode_32 0
		.amdhsa_float_round_mode_16_64 0
		.amdhsa_float_denorm_mode_32 3
		.amdhsa_float_denorm_mode_16_64 3
		.amdhsa_dx10_clamp 1
		.amdhsa_ieee_mode 1
		.amdhsa_fp16_overflow 0
		.amdhsa_workgroup_processor_mode 1
		.amdhsa_memory_ordered 1
		.amdhsa_forward_progress 1
		.amdhsa_shared_vgpr_count 0
		.amdhsa_exception_fp_ieee_invalid_op 0
		.amdhsa_exception_fp_denorm_src 0
		.amdhsa_exception_fp_ieee_div_zero 0
		.amdhsa_exception_fp_ieee_overflow 0
		.amdhsa_exception_fp_ieee_underflow 0
		.amdhsa_exception_fp_ieee_inexact 0
		.amdhsa_exception_int_div_zero 0
	.end_amdhsa_kernel
	.section	.text._ZN7rocprim17ROCPRIM_400000_NS6detail17trampoline_kernelINS0_14default_configENS1_32segmented_reduce_config_selectorIfEEZNS1_21segmented_reduce_implIS3_PKfPfPKifN6hipcub16HIPCUB_304000_NS6detail27convert_result_type_wrapperIS8_S9_N2at6native12_GLOBAL__N_19CustomMinEEEEE10hipError_tPvRmT0_T1_jT2_SQ_T4_T3_P12ihipStream_tbEUlT_E_NS1_11comp_targetILNS1_3genE8ELNS1_11target_archE1030ELNS1_3gpuE2ELNS1_3repE0EEENS1_30default_config_static_selectorELNS0_4arch9wavefront6targetE0EEEvSP_,"axG",@progbits,_ZN7rocprim17ROCPRIM_400000_NS6detail17trampoline_kernelINS0_14default_configENS1_32segmented_reduce_config_selectorIfEEZNS1_21segmented_reduce_implIS3_PKfPfPKifN6hipcub16HIPCUB_304000_NS6detail27convert_result_type_wrapperIS8_S9_N2at6native12_GLOBAL__N_19CustomMinEEEEE10hipError_tPvRmT0_T1_jT2_SQ_T4_T3_P12ihipStream_tbEUlT_E_NS1_11comp_targetILNS1_3genE8ELNS1_11target_archE1030ELNS1_3gpuE2ELNS1_3repE0EEENS1_30default_config_static_selectorELNS0_4arch9wavefront6targetE0EEEvSP_,comdat
.Lfunc_end67:
	.size	_ZN7rocprim17ROCPRIM_400000_NS6detail17trampoline_kernelINS0_14default_configENS1_32segmented_reduce_config_selectorIfEEZNS1_21segmented_reduce_implIS3_PKfPfPKifN6hipcub16HIPCUB_304000_NS6detail27convert_result_type_wrapperIS8_S9_N2at6native12_GLOBAL__N_19CustomMinEEEEE10hipError_tPvRmT0_T1_jT2_SQ_T4_T3_P12ihipStream_tbEUlT_E_NS1_11comp_targetILNS1_3genE8ELNS1_11target_archE1030ELNS1_3gpuE2ELNS1_3repE0EEENS1_30default_config_static_selectorELNS0_4arch9wavefront6targetE0EEEvSP_, .Lfunc_end67-_ZN7rocprim17ROCPRIM_400000_NS6detail17trampoline_kernelINS0_14default_configENS1_32segmented_reduce_config_selectorIfEEZNS1_21segmented_reduce_implIS3_PKfPfPKifN6hipcub16HIPCUB_304000_NS6detail27convert_result_type_wrapperIS8_S9_N2at6native12_GLOBAL__N_19CustomMinEEEEE10hipError_tPvRmT0_T1_jT2_SQ_T4_T3_P12ihipStream_tbEUlT_E_NS1_11comp_targetILNS1_3genE8ELNS1_11target_archE1030ELNS1_3gpuE2ELNS1_3repE0EEENS1_30default_config_static_selectorELNS0_4arch9wavefront6targetE0EEEvSP_
                                        ; -- End function
	.set _ZN7rocprim17ROCPRIM_400000_NS6detail17trampoline_kernelINS0_14default_configENS1_32segmented_reduce_config_selectorIfEEZNS1_21segmented_reduce_implIS3_PKfPfPKifN6hipcub16HIPCUB_304000_NS6detail27convert_result_type_wrapperIS8_S9_N2at6native12_GLOBAL__N_19CustomMinEEEEE10hipError_tPvRmT0_T1_jT2_SQ_T4_T3_P12ihipStream_tbEUlT_E_NS1_11comp_targetILNS1_3genE8ELNS1_11target_archE1030ELNS1_3gpuE2ELNS1_3repE0EEENS1_30default_config_static_selectorELNS0_4arch9wavefront6targetE0EEEvSP_.num_vgpr, 33
	.set _ZN7rocprim17ROCPRIM_400000_NS6detail17trampoline_kernelINS0_14default_configENS1_32segmented_reduce_config_selectorIfEEZNS1_21segmented_reduce_implIS3_PKfPfPKifN6hipcub16HIPCUB_304000_NS6detail27convert_result_type_wrapperIS8_S9_N2at6native12_GLOBAL__N_19CustomMinEEEEE10hipError_tPvRmT0_T1_jT2_SQ_T4_T3_P12ihipStream_tbEUlT_E_NS1_11comp_targetILNS1_3genE8ELNS1_11target_archE1030ELNS1_3gpuE2ELNS1_3repE0EEENS1_30default_config_static_selectorELNS0_4arch9wavefront6targetE0EEEvSP_.num_agpr, 0
	.set _ZN7rocprim17ROCPRIM_400000_NS6detail17trampoline_kernelINS0_14default_configENS1_32segmented_reduce_config_selectorIfEEZNS1_21segmented_reduce_implIS3_PKfPfPKifN6hipcub16HIPCUB_304000_NS6detail27convert_result_type_wrapperIS8_S9_N2at6native12_GLOBAL__N_19CustomMinEEEEE10hipError_tPvRmT0_T1_jT2_SQ_T4_T3_P12ihipStream_tbEUlT_E_NS1_11comp_targetILNS1_3genE8ELNS1_11target_archE1030ELNS1_3gpuE2ELNS1_3repE0EEENS1_30default_config_static_selectorELNS0_4arch9wavefront6targetE0EEEvSP_.numbered_sgpr, 17
	.set _ZN7rocprim17ROCPRIM_400000_NS6detail17trampoline_kernelINS0_14default_configENS1_32segmented_reduce_config_selectorIfEEZNS1_21segmented_reduce_implIS3_PKfPfPKifN6hipcub16HIPCUB_304000_NS6detail27convert_result_type_wrapperIS8_S9_N2at6native12_GLOBAL__N_19CustomMinEEEEE10hipError_tPvRmT0_T1_jT2_SQ_T4_T3_P12ihipStream_tbEUlT_E_NS1_11comp_targetILNS1_3genE8ELNS1_11target_archE1030ELNS1_3gpuE2ELNS1_3repE0EEENS1_30default_config_static_selectorELNS0_4arch9wavefront6targetE0EEEvSP_.num_named_barrier, 0
	.set _ZN7rocprim17ROCPRIM_400000_NS6detail17trampoline_kernelINS0_14default_configENS1_32segmented_reduce_config_selectorIfEEZNS1_21segmented_reduce_implIS3_PKfPfPKifN6hipcub16HIPCUB_304000_NS6detail27convert_result_type_wrapperIS8_S9_N2at6native12_GLOBAL__N_19CustomMinEEEEE10hipError_tPvRmT0_T1_jT2_SQ_T4_T3_P12ihipStream_tbEUlT_E_NS1_11comp_targetILNS1_3genE8ELNS1_11target_archE1030ELNS1_3gpuE2ELNS1_3repE0EEENS1_30default_config_static_selectorELNS0_4arch9wavefront6targetE0EEEvSP_.private_seg_size, 0
	.set _ZN7rocprim17ROCPRIM_400000_NS6detail17trampoline_kernelINS0_14default_configENS1_32segmented_reduce_config_selectorIfEEZNS1_21segmented_reduce_implIS3_PKfPfPKifN6hipcub16HIPCUB_304000_NS6detail27convert_result_type_wrapperIS8_S9_N2at6native12_GLOBAL__N_19CustomMinEEEEE10hipError_tPvRmT0_T1_jT2_SQ_T4_T3_P12ihipStream_tbEUlT_E_NS1_11comp_targetILNS1_3genE8ELNS1_11target_archE1030ELNS1_3gpuE2ELNS1_3repE0EEENS1_30default_config_static_selectorELNS0_4arch9wavefront6targetE0EEEvSP_.uses_vcc, 1
	.set _ZN7rocprim17ROCPRIM_400000_NS6detail17trampoline_kernelINS0_14default_configENS1_32segmented_reduce_config_selectorIfEEZNS1_21segmented_reduce_implIS3_PKfPfPKifN6hipcub16HIPCUB_304000_NS6detail27convert_result_type_wrapperIS8_S9_N2at6native12_GLOBAL__N_19CustomMinEEEEE10hipError_tPvRmT0_T1_jT2_SQ_T4_T3_P12ihipStream_tbEUlT_E_NS1_11comp_targetILNS1_3genE8ELNS1_11target_archE1030ELNS1_3gpuE2ELNS1_3repE0EEENS1_30default_config_static_selectorELNS0_4arch9wavefront6targetE0EEEvSP_.uses_flat_scratch, 0
	.set _ZN7rocprim17ROCPRIM_400000_NS6detail17trampoline_kernelINS0_14default_configENS1_32segmented_reduce_config_selectorIfEEZNS1_21segmented_reduce_implIS3_PKfPfPKifN6hipcub16HIPCUB_304000_NS6detail27convert_result_type_wrapperIS8_S9_N2at6native12_GLOBAL__N_19CustomMinEEEEE10hipError_tPvRmT0_T1_jT2_SQ_T4_T3_P12ihipStream_tbEUlT_E_NS1_11comp_targetILNS1_3genE8ELNS1_11target_archE1030ELNS1_3gpuE2ELNS1_3repE0EEENS1_30default_config_static_selectorELNS0_4arch9wavefront6targetE0EEEvSP_.has_dyn_sized_stack, 0
	.set _ZN7rocprim17ROCPRIM_400000_NS6detail17trampoline_kernelINS0_14default_configENS1_32segmented_reduce_config_selectorIfEEZNS1_21segmented_reduce_implIS3_PKfPfPKifN6hipcub16HIPCUB_304000_NS6detail27convert_result_type_wrapperIS8_S9_N2at6native12_GLOBAL__N_19CustomMinEEEEE10hipError_tPvRmT0_T1_jT2_SQ_T4_T3_P12ihipStream_tbEUlT_E_NS1_11comp_targetILNS1_3genE8ELNS1_11target_archE1030ELNS1_3gpuE2ELNS1_3repE0EEENS1_30default_config_static_selectorELNS0_4arch9wavefront6targetE0EEEvSP_.has_recursion, 0
	.set _ZN7rocprim17ROCPRIM_400000_NS6detail17trampoline_kernelINS0_14default_configENS1_32segmented_reduce_config_selectorIfEEZNS1_21segmented_reduce_implIS3_PKfPfPKifN6hipcub16HIPCUB_304000_NS6detail27convert_result_type_wrapperIS8_S9_N2at6native12_GLOBAL__N_19CustomMinEEEEE10hipError_tPvRmT0_T1_jT2_SQ_T4_T3_P12ihipStream_tbEUlT_E_NS1_11comp_targetILNS1_3genE8ELNS1_11target_archE1030ELNS1_3gpuE2ELNS1_3repE0EEENS1_30default_config_static_selectorELNS0_4arch9wavefront6targetE0EEEvSP_.has_indirect_call, 0
	.section	.AMDGPU.csdata,"",@progbits
; Kernel info:
; codeLenInByte = 6408
; TotalNumSgprs: 19
; NumVgprs: 33
; ScratchSize: 0
; MemoryBound: 0
; FloatMode: 240
; IeeeMode: 1
; LDSByteSize: 32 bytes/workgroup (compile time only)
; SGPRBlocks: 0
; VGPRBlocks: 4
; NumSGPRsForWavesPerEU: 19
; NumVGPRsForWavesPerEU: 33
; Occupancy: 16
; WaveLimiterHint : 1
; COMPUTE_PGM_RSRC2:SCRATCH_EN: 0
; COMPUTE_PGM_RSRC2:USER_SGPR: 6
; COMPUTE_PGM_RSRC2:TRAP_HANDLER: 0
; COMPUTE_PGM_RSRC2:TGID_X_EN: 1
; COMPUTE_PGM_RSRC2:TGID_Y_EN: 0
; COMPUTE_PGM_RSRC2:TGID_Z_EN: 0
; COMPUTE_PGM_RSRC2:TIDIG_COMP_CNT: 0
	.section	.text._ZN7rocprim17ROCPRIM_400000_NS6detail17trampoline_kernelINS0_14default_configENS1_32segmented_reduce_config_selectorIfEEZNS1_21segmented_reduce_implIS3_PKfPfPKifN6hipcub16HIPCUB_304000_NS6detail27convert_result_type_wrapperIS8_S9_N2at6native12_GLOBAL__N_110CustomProdEEEEE10hipError_tPvRmT0_T1_jT2_SQ_T4_T3_P12ihipStream_tbEUlT_E_NS1_11comp_targetILNS1_3genE0ELNS1_11target_archE4294967295ELNS1_3gpuE0ELNS1_3repE0EEENS1_30default_config_static_selectorELNS0_4arch9wavefront6targetE0EEEvSP_,"axG",@progbits,_ZN7rocprim17ROCPRIM_400000_NS6detail17trampoline_kernelINS0_14default_configENS1_32segmented_reduce_config_selectorIfEEZNS1_21segmented_reduce_implIS3_PKfPfPKifN6hipcub16HIPCUB_304000_NS6detail27convert_result_type_wrapperIS8_S9_N2at6native12_GLOBAL__N_110CustomProdEEEEE10hipError_tPvRmT0_T1_jT2_SQ_T4_T3_P12ihipStream_tbEUlT_E_NS1_11comp_targetILNS1_3genE0ELNS1_11target_archE4294967295ELNS1_3gpuE0ELNS1_3repE0EEENS1_30default_config_static_selectorELNS0_4arch9wavefront6targetE0EEEvSP_,comdat
	.globl	_ZN7rocprim17ROCPRIM_400000_NS6detail17trampoline_kernelINS0_14default_configENS1_32segmented_reduce_config_selectorIfEEZNS1_21segmented_reduce_implIS3_PKfPfPKifN6hipcub16HIPCUB_304000_NS6detail27convert_result_type_wrapperIS8_S9_N2at6native12_GLOBAL__N_110CustomProdEEEEE10hipError_tPvRmT0_T1_jT2_SQ_T4_T3_P12ihipStream_tbEUlT_E_NS1_11comp_targetILNS1_3genE0ELNS1_11target_archE4294967295ELNS1_3gpuE0ELNS1_3repE0EEENS1_30default_config_static_selectorELNS0_4arch9wavefront6targetE0EEEvSP_ ; -- Begin function _ZN7rocprim17ROCPRIM_400000_NS6detail17trampoline_kernelINS0_14default_configENS1_32segmented_reduce_config_selectorIfEEZNS1_21segmented_reduce_implIS3_PKfPfPKifN6hipcub16HIPCUB_304000_NS6detail27convert_result_type_wrapperIS8_S9_N2at6native12_GLOBAL__N_110CustomProdEEEEE10hipError_tPvRmT0_T1_jT2_SQ_T4_T3_P12ihipStream_tbEUlT_E_NS1_11comp_targetILNS1_3genE0ELNS1_11target_archE4294967295ELNS1_3gpuE0ELNS1_3repE0EEENS1_30default_config_static_selectorELNS0_4arch9wavefront6targetE0EEEvSP_
	.p2align	8
	.type	_ZN7rocprim17ROCPRIM_400000_NS6detail17trampoline_kernelINS0_14default_configENS1_32segmented_reduce_config_selectorIfEEZNS1_21segmented_reduce_implIS3_PKfPfPKifN6hipcub16HIPCUB_304000_NS6detail27convert_result_type_wrapperIS8_S9_N2at6native12_GLOBAL__N_110CustomProdEEEEE10hipError_tPvRmT0_T1_jT2_SQ_T4_T3_P12ihipStream_tbEUlT_E_NS1_11comp_targetILNS1_3genE0ELNS1_11target_archE4294967295ELNS1_3gpuE0ELNS1_3repE0EEENS1_30default_config_static_selectorELNS0_4arch9wavefront6targetE0EEEvSP_,@function
_ZN7rocprim17ROCPRIM_400000_NS6detail17trampoline_kernelINS0_14default_configENS1_32segmented_reduce_config_selectorIfEEZNS1_21segmented_reduce_implIS3_PKfPfPKifN6hipcub16HIPCUB_304000_NS6detail27convert_result_type_wrapperIS8_S9_N2at6native12_GLOBAL__N_110CustomProdEEEEE10hipError_tPvRmT0_T1_jT2_SQ_T4_T3_P12ihipStream_tbEUlT_E_NS1_11comp_targetILNS1_3genE0ELNS1_11target_archE4294967295ELNS1_3gpuE0ELNS1_3repE0EEENS1_30default_config_static_selectorELNS0_4arch9wavefront6targetE0EEEvSP_: ; @_ZN7rocprim17ROCPRIM_400000_NS6detail17trampoline_kernelINS0_14default_configENS1_32segmented_reduce_config_selectorIfEEZNS1_21segmented_reduce_implIS3_PKfPfPKifN6hipcub16HIPCUB_304000_NS6detail27convert_result_type_wrapperIS8_S9_N2at6native12_GLOBAL__N_110CustomProdEEEEE10hipError_tPvRmT0_T1_jT2_SQ_T4_T3_P12ihipStream_tbEUlT_E_NS1_11comp_targetILNS1_3genE0ELNS1_11target_archE4294967295ELNS1_3gpuE0ELNS1_3repE0EEENS1_30default_config_static_selectorELNS0_4arch9wavefront6targetE0EEEvSP_
; %bb.0:
	.section	.rodata,"a",@progbits
	.p2align	6, 0x0
	.amdhsa_kernel _ZN7rocprim17ROCPRIM_400000_NS6detail17trampoline_kernelINS0_14default_configENS1_32segmented_reduce_config_selectorIfEEZNS1_21segmented_reduce_implIS3_PKfPfPKifN6hipcub16HIPCUB_304000_NS6detail27convert_result_type_wrapperIS8_S9_N2at6native12_GLOBAL__N_110CustomProdEEEEE10hipError_tPvRmT0_T1_jT2_SQ_T4_T3_P12ihipStream_tbEUlT_E_NS1_11comp_targetILNS1_3genE0ELNS1_11target_archE4294967295ELNS1_3gpuE0ELNS1_3repE0EEENS1_30default_config_static_selectorELNS0_4arch9wavefront6targetE0EEEvSP_
		.amdhsa_group_segment_fixed_size 0
		.amdhsa_private_segment_fixed_size 0
		.amdhsa_kernarg_size 48
		.amdhsa_user_sgpr_count 6
		.amdhsa_user_sgpr_private_segment_buffer 1
		.amdhsa_user_sgpr_dispatch_ptr 0
		.amdhsa_user_sgpr_queue_ptr 0
		.amdhsa_user_sgpr_kernarg_segment_ptr 1
		.amdhsa_user_sgpr_dispatch_id 0
		.amdhsa_user_sgpr_flat_scratch_init 0
		.amdhsa_user_sgpr_private_segment_size 0
		.amdhsa_wavefront_size32 1
		.amdhsa_uses_dynamic_stack 0
		.amdhsa_system_sgpr_private_segment_wavefront_offset 0
		.amdhsa_system_sgpr_workgroup_id_x 1
		.amdhsa_system_sgpr_workgroup_id_y 0
		.amdhsa_system_sgpr_workgroup_id_z 0
		.amdhsa_system_sgpr_workgroup_info 0
		.amdhsa_system_vgpr_workitem_id 0
		.amdhsa_next_free_vgpr 1
		.amdhsa_next_free_sgpr 1
		.amdhsa_reserve_vcc 0
		.amdhsa_reserve_flat_scratch 0
		.amdhsa_float_round_mode_32 0
		.amdhsa_float_round_mode_16_64 0
		.amdhsa_float_denorm_mode_32 3
		.amdhsa_float_denorm_mode_16_64 3
		.amdhsa_dx10_clamp 1
		.amdhsa_ieee_mode 1
		.amdhsa_fp16_overflow 0
		.amdhsa_workgroup_processor_mode 1
		.amdhsa_memory_ordered 1
		.amdhsa_forward_progress 1
		.amdhsa_shared_vgpr_count 0
		.amdhsa_exception_fp_ieee_invalid_op 0
		.amdhsa_exception_fp_denorm_src 0
		.amdhsa_exception_fp_ieee_div_zero 0
		.amdhsa_exception_fp_ieee_overflow 0
		.amdhsa_exception_fp_ieee_underflow 0
		.amdhsa_exception_fp_ieee_inexact 0
		.amdhsa_exception_int_div_zero 0
	.end_amdhsa_kernel
	.section	.text._ZN7rocprim17ROCPRIM_400000_NS6detail17trampoline_kernelINS0_14default_configENS1_32segmented_reduce_config_selectorIfEEZNS1_21segmented_reduce_implIS3_PKfPfPKifN6hipcub16HIPCUB_304000_NS6detail27convert_result_type_wrapperIS8_S9_N2at6native12_GLOBAL__N_110CustomProdEEEEE10hipError_tPvRmT0_T1_jT2_SQ_T4_T3_P12ihipStream_tbEUlT_E_NS1_11comp_targetILNS1_3genE0ELNS1_11target_archE4294967295ELNS1_3gpuE0ELNS1_3repE0EEENS1_30default_config_static_selectorELNS0_4arch9wavefront6targetE0EEEvSP_,"axG",@progbits,_ZN7rocprim17ROCPRIM_400000_NS6detail17trampoline_kernelINS0_14default_configENS1_32segmented_reduce_config_selectorIfEEZNS1_21segmented_reduce_implIS3_PKfPfPKifN6hipcub16HIPCUB_304000_NS6detail27convert_result_type_wrapperIS8_S9_N2at6native12_GLOBAL__N_110CustomProdEEEEE10hipError_tPvRmT0_T1_jT2_SQ_T4_T3_P12ihipStream_tbEUlT_E_NS1_11comp_targetILNS1_3genE0ELNS1_11target_archE4294967295ELNS1_3gpuE0ELNS1_3repE0EEENS1_30default_config_static_selectorELNS0_4arch9wavefront6targetE0EEEvSP_,comdat
.Lfunc_end68:
	.size	_ZN7rocprim17ROCPRIM_400000_NS6detail17trampoline_kernelINS0_14default_configENS1_32segmented_reduce_config_selectorIfEEZNS1_21segmented_reduce_implIS3_PKfPfPKifN6hipcub16HIPCUB_304000_NS6detail27convert_result_type_wrapperIS8_S9_N2at6native12_GLOBAL__N_110CustomProdEEEEE10hipError_tPvRmT0_T1_jT2_SQ_T4_T3_P12ihipStream_tbEUlT_E_NS1_11comp_targetILNS1_3genE0ELNS1_11target_archE4294967295ELNS1_3gpuE0ELNS1_3repE0EEENS1_30default_config_static_selectorELNS0_4arch9wavefront6targetE0EEEvSP_, .Lfunc_end68-_ZN7rocprim17ROCPRIM_400000_NS6detail17trampoline_kernelINS0_14default_configENS1_32segmented_reduce_config_selectorIfEEZNS1_21segmented_reduce_implIS3_PKfPfPKifN6hipcub16HIPCUB_304000_NS6detail27convert_result_type_wrapperIS8_S9_N2at6native12_GLOBAL__N_110CustomProdEEEEE10hipError_tPvRmT0_T1_jT2_SQ_T4_T3_P12ihipStream_tbEUlT_E_NS1_11comp_targetILNS1_3genE0ELNS1_11target_archE4294967295ELNS1_3gpuE0ELNS1_3repE0EEENS1_30default_config_static_selectorELNS0_4arch9wavefront6targetE0EEEvSP_
                                        ; -- End function
	.set _ZN7rocprim17ROCPRIM_400000_NS6detail17trampoline_kernelINS0_14default_configENS1_32segmented_reduce_config_selectorIfEEZNS1_21segmented_reduce_implIS3_PKfPfPKifN6hipcub16HIPCUB_304000_NS6detail27convert_result_type_wrapperIS8_S9_N2at6native12_GLOBAL__N_110CustomProdEEEEE10hipError_tPvRmT0_T1_jT2_SQ_T4_T3_P12ihipStream_tbEUlT_E_NS1_11comp_targetILNS1_3genE0ELNS1_11target_archE4294967295ELNS1_3gpuE0ELNS1_3repE0EEENS1_30default_config_static_selectorELNS0_4arch9wavefront6targetE0EEEvSP_.num_vgpr, 0
	.set _ZN7rocprim17ROCPRIM_400000_NS6detail17trampoline_kernelINS0_14default_configENS1_32segmented_reduce_config_selectorIfEEZNS1_21segmented_reduce_implIS3_PKfPfPKifN6hipcub16HIPCUB_304000_NS6detail27convert_result_type_wrapperIS8_S9_N2at6native12_GLOBAL__N_110CustomProdEEEEE10hipError_tPvRmT0_T1_jT2_SQ_T4_T3_P12ihipStream_tbEUlT_E_NS1_11comp_targetILNS1_3genE0ELNS1_11target_archE4294967295ELNS1_3gpuE0ELNS1_3repE0EEENS1_30default_config_static_selectorELNS0_4arch9wavefront6targetE0EEEvSP_.num_agpr, 0
	.set _ZN7rocprim17ROCPRIM_400000_NS6detail17trampoline_kernelINS0_14default_configENS1_32segmented_reduce_config_selectorIfEEZNS1_21segmented_reduce_implIS3_PKfPfPKifN6hipcub16HIPCUB_304000_NS6detail27convert_result_type_wrapperIS8_S9_N2at6native12_GLOBAL__N_110CustomProdEEEEE10hipError_tPvRmT0_T1_jT2_SQ_T4_T3_P12ihipStream_tbEUlT_E_NS1_11comp_targetILNS1_3genE0ELNS1_11target_archE4294967295ELNS1_3gpuE0ELNS1_3repE0EEENS1_30default_config_static_selectorELNS0_4arch9wavefront6targetE0EEEvSP_.numbered_sgpr, 0
	.set _ZN7rocprim17ROCPRIM_400000_NS6detail17trampoline_kernelINS0_14default_configENS1_32segmented_reduce_config_selectorIfEEZNS1_21segmented_reduce_implIS3_PKfPfPKifN6hipcub16HIPCUB_304000_NS6detail27convert_result_type_wrapperIS8_S9_N2at6native12_GLOBAL__N_110CustomProdEEEEE10hipError_tPvRmT0_T1_jT2_SQ_T4_T3_P12ihipStream_tbEUlT_E_NS1_11comp_targetILNS1_3genE0ELNS1_11target_archE4294967295ELNS1_3gpuE0ELNS1_3repE0EEENS1_30default_config_static_selectorELNS0_4arch9wavefront6targetE0EEEvSP_.num_named_barrier, 0
	.set _ZN7rocprim17ROCPRIM_400000_NS6detail17trampoline_kernelINS0_14default_configENS1_32segmented_reduce_config_selectorIfEEZNS1_21segmented_reduce_implIS3_PKfPfPKifN6hipcub16HIPCUB_304000_NS6detail27convert_result_type_wrapperIS8_S9_N2at6native12_GLOBAL__N_110CustomProdEEEEE10hipError_tPvRmT0_T1_jT2_SQ_T4_T3_P12ihipStream_tbEUlT_E_NS1_11comp_targetILNS1_3genE0ELNS1_11target_archE4294967295ELNS1_3gpuE0ELNS1_3repE0EEENS1_30default_config_static_selectorELNS0_4arch9wavefront6targetE0EEEvSP_.private_seg_size, 0
	.set _ZN7rocprim17ROCPRIM_400000_NS6detail17trampoline_kernelINS0_14default_configENS1_32segmented_reduce_config_selectorIfEEZNS1_21segmented_reduce_implIS3_PKfPfPKifN6hipcub16HIPCUB_304000_NS6detail27convert_result_type_wrapperIS8_S9_N2at6native12_GLOBAL__N_110CustomProdEEEEE10hipError_tPvRmT0_T1_jT2_SQ_T4_T3_P12ihipStream_tbEUlT_E_NS1_11comp_targetILNS1_3genE0ELNS1_11target_archE4294967295ELNS1_3gpuE0ELNS1_3repE0EEENS1_30default_config_static_selectorELNS0_4arch9wavefront6targetE0EEEvSP_.uses_vcc, 0
	.set _ZN7rocprim17ROCPRIM_400000_NS6detail17trampoline_kernelINS0_14default_configENS1_32segmented_reduce_config_selectorIfEEZNS1_21segmented_reduce_implIS3_PKfPfPKifN6hipcub16HIPCUB_304000_NS6detail27convert_result_type_wrapperIS8_S9_N2at6native12_GLOBAL__N_110CustomProdEEEEE10hipError_tPvRmT0_T1_jT2_SQ_T4_T3_P12ihipStream_tbEUlT_E_NS1_11comp_targetILNS1_3genE0ELNS1_11target_archE4294967295ELNS1_3gpuE0ELNS1_3repE0EEENS1_30default_config_static_selectorELNS0_4arch9wavefront6targetE0EEEvSP_.uses_flat_scratch, 0
	.set _ZN7rocprim17ROCPRIM_400000_NS6detail17trampoline_kernelINS0_14default_configENS1_32segmented_reduce_config_selectorIfEEZNS1_21segmented_reduce_implIS3_PKfPfPKifN6hipcub16HIPCUB_304000_NS6detail27convert_result_type_wrapperIS8_S9_N2at6native12_GLOBAL__N_110CustomProdEEEEE10hipError_tPvRmT0_T1_jT2_SQ_T4_T3_P12ihipStream_tbEUlT_E_NS1_11comp_targetILNS1_3genE0ELNS1_11target_archE4294967295ELNS1_3gpuE0ELNS1_3repE0EEENS1_30default_config_static_selectorELNS0_4arch9wavefront6targetE0EEEvSP_.has_dyn_sized_stack, 0
	.set _ZN7rocprim17ROCPRIM_400000_NS6detail17trampoline_kernelINS0_14default_configENS1_32segmented_reduce_config_selectorIfEEZNS1_21segmented_reduce_implIS3_PKfPfPKifN6hipcub16HIPCUB_304000_NS6detail27convert_result_type_wrapperIS8_S9_N2at6native12_GLOBAL__N_110CustomProdEEEEE10hipError_tPvRmT0_T1_jT2_SQ_T4_T3_P12ihipStream_tbEUlT_E_NS1_11comp_targetILNS1_3genE0ELNS1_11target_archE4294967295ELNS1_3gpuE0ELNS1_3repE0EEENS1_30default_config_static_selectorELNS0_4arch9wavefront6targetE0EEEvSP_.has_recursion, 0
	.set _ZN7rocprim17ROCPRIM_400000_NS6detail17trampoline_kernelINS0_14default_configENS1_32segmented_reduce_config_selectorIfEEZNS1_21segmented_reduce_implIS3_PKfPfPKifN6hipcub16HIPCUB_304000_NS6detail27convert_result_type_wrapperIS8_S9_N2at6native12_GLOBAL__N_110CustomProdEEEEE10hipError_tPvRmT0_T1_jT2_SQ_T4_T3_P12ihipStream_tbEUlT_E_NS1_11comp_targetILNS1_3genE0ELNS1_11target_archE4294967295ELNS1_3gpuE0ELNS1_3repE0EEENS1_30default_config_static_selectorELNS0_4arch9wavefront6targetE0EEEvSP_.has_indirect_call, 0
	.section	.AMDGPU.csdata,"",@progbits
; Kernel info:
; codeLenInByte = 0
; TotalNumSgprs: 0
; NumVgprs: 0
; ScratchSize: 0
; MemoryBound: 0
; FloatMode: 240
; IeeeMode: 1
; LDSByteSize: 0 bytes/workgroup (compile time only)
; SGPRBlocks: 0
; VGPRBlocks: 0
; NumSGPRsForWavesPerEU: 1
; NumVGPRsForWavesPerEU: 1
; Occupancy: 16
; WaveLimiterHint : 0
; COMPUTE_PGM_RSRC2:SCRATCH_EN: 0
; COMPUTE_PGM_RSRC2:USER_SGPR: 6
; COMPUTE_PGM_RSRC2:TRAP_HANDLER: 0
; COMPUTE_PGM_RSRC2:TGID_X_EN: 1
; COMPUTE_PGM_RSRC2:TGID_Y_EN: 0
; COMPUTE_PGM_RSRC2:TGID_Z_EN: 0
; COMPUTE_PGM_RSRC2:TIDIG_COMP_CNT: 0
	.section	.text._ZN7rocprim17ROCPRIM_400000_NS6detail17trampoline_kernelINS0_14default_configENS1_32segmented_reduce_config_selectorIfEEZNS1_21segmented_reduce_implIS3_PKfPfPKifN6hipcub16HIPCUB_304000_NS6detail27convert_result_type_wrapperIS8_S9_N2at6native12_GLOBAL__N_110CustomProdEEEEE10hipError_tPvRmT0_T1_jT2_SQ_T4_T3_P12ihipStream_tbEUlT_E_NS1_11comp_targetILNS1_3genE5ELNS1_11target_archE942ELNS1_3gpuE9ELNS1_3repE0EEENS1_30default_config_static_selectorELNS0_4arch9wavefront6targetE0EEEvSP_,"axG",@progbits,_ZN7rocprim17ROCPRIM_400000_NS6detail17trampoline_kernelINS0_14default_configENS1_32segmented_reduce_config_selectorIfEEZNS1_21segmented_reduce_implIS3_PKfPfPKifN6hipcub16HIPCUB_304000_NS6detail27convert_result_type_wrapperIS8_S9_N2at6native12_GLOBAL__N_110CustomProdEEEEE10hipError_tPvRmT0_T1_jT2_SQ_T4_T3_P12ihipStream_tbEUlT_E_NS1_11comp_targetILNS1_3genE5ELNS1_11target_archE942ELNS1_3gpuE9ELNS1_3repE0EEENS1_30default_config_static_selectorELNS0_4arch9wavefront6targetE0EEEvSP_,comdat
	.globl	_ZN7rocprim17ROCPRIM_400000_NS6detail17trampoline_kernelINS0_14default_configENS1_32segmented_reduce_config_selectorIfEEZNS1_21segmented_reduce_implIS3_PKfPfPKifN6hipcub16HIPCUB_304000_NS6detail27convert_result_type_wrapperIS8_S9_N2at6native12_GLOBAL__N_110CustomProdEEEEE10hipError_tPvRmT0_T1_jT2_SQ_T4_T3_P12ihipStream_tbEUlT_E_NS1_11comp_targetILNS1_3genE5ELNS1_11target_archE942ELNS1_3gpuE9ELNS1_3repE0EEENS1_30default_config_static_selectorELNS0_4arch9wavefront6targetE0EEEvSP_ ; -- Begin function _ZN7rocprim17ROCPRIM_400000_NS6detail17trampoline_kernelINS0_14default_configENS1_32segmented_reduce_config_selectorIfEEZNS1_21segmented_reduce_implIS3_PKfPfPKifN6hipcub16HIPCUB_304000_NS6detail27convert_result_type_wrapperIS8_S9_N2at6native12_GLOBAL__N_110CustomProdEEEEE10hipError_tPvRmT0_T1_jT2_SQ_T4_T3_P12ihipStream_tbEUlT_E_NS1_11comp_targetILNS1_3genE5ELNS1_11target_archE942ELNS1_3gpuE9ELNS1_3repE0EEENS1_30default_config_static_selectorELNS0_4arch9wavefront6targetE0EEEvSP_
	.p2align	8
	.type	_ZN7rocprim17ROCPRIM_400000_NS6detail17trampoline_kernelINS0_14default_configENS1_32segmented_reduce_config_selectorIfEEZNS1_21segmented_reduce_implIS3_PKfPfPKifN6hipcub16HIPCUB_304000_NS6detail27convert_result_type_wrapperIS8_S9_N2at6native12_GLOBAL__N_110CustomProdEEEEE10hipError_tPvRmT0_T1_jT2_SQ_T4_T3_P12ihipStream_tbEUlT_E_NS1_11comp_targetILNS1_3genE5ELNS1_11target_archE942ELNS1_3gpuE9ELNS1_3repE0EEENS1_30default_config_static_selectorELNS0_4arch9wavefront6targetE0EEEvSP_,@function
_ZN7rocprim17ROCPRIM_400000_NS6detail17trampoline_kernelINS0_14default_configENS1_32segmented_reduce_config_selectorIfEEZNS1_21segmented_reduce_implIS3_PKfPfPKifN6hipcub16HIPCUB_304000_NS6detail27convert_result_type_wrapperIS8_S9_N2at6native12_GLOBAL__N_110CustomProdEEEEE10hipError_tPvRmT0_T1_jT2_SQ_T4_T3_P12ihipStream_tbEUlT_E_NS1_11comp_targetILNS1_3genE5ELNS1_11target_archE942ELNS1_3gpuE9ELNS1_3repE0EEENS1_30default_config_static_selectorELNS0_4arch9wavefront6targetE0EEEvSP_: ; @_ZN7rocprim17ROCPRIM_400000_NS6detail17trampoline_kernelINS0_14default_configENS1_32segmented_reduce_config_selectorIfEEZNS1_21segmented_reduce_implIS3_PKfPfPKifN6hipcub16HIPCUB_304000_NS6detail27convert_result_type_wrapperIS8_S9_N2at6native12_GLOBAL__N_110CustomProdEEEEE10hipError_tPvRmT0_T1_jT2_SQ_T4_T3_P12ihipStream_tbEUlT_E_NS1_11comp_targetILNS1_3genE5ELNS1_11target_archE942ELNS1_3gpuE9ELNS1_3repE0EEENS1_30default_config_static_selectorELNS0_4arch9wavefront6targetE0EEEvSP_
; %bb.0:
	.section	.rodata,"a",@progbits
	.p2align	6, 0x0
	.amdhsa_kernel _ZN7rocprim17ROCPRIM_400000_NS6detail17trampoline_kernelINS0_14default_configENS1_32segmented_reduce_config_selectorIfEEZNS1_21segmented_reduce_implIS3_PKfPfPKifN6hipcub16HIPCUB_304000_NS6detail27convert_result_type_wrapperIS8_S9_N2at6native12_GLOBAL__N_110CustomProdEEEEE10hipError_tPvRmT0_T1_jT2_SQ_T4_T3_P12ihipStream_tbEUlT_E_NS1_11comp_targetILNS1_3genE5ELNS1_11target_archE942ELNS1_3gpuE9ELNS1_3repE0EEENS1_30default_config_static_selectorELNS0_4arch9wavefront6targetE0EEEvSP_
		.amdhsa_group_segment_fixed_size 0
		.amdhsa_private_segment_fixed_size 0
		.amdhsa_kernarg_size 48
		.amdhsa_user_sgpr_count 6
		.amdhsa_user_sgpr_private_segment_buffer 1
		.amdhsa_user_sgpr_dispatch_ptr 0
		.amdhsa_user_sgpr_queue_ptr 0
		.amdhsa_user_sgpr_kernarg_segment_ptr 1
		.amdhsa_user_sgpr_dispatch_id 0
		.amdhsa_user_sgpr_flat_scratch_init 0
		.amdhsa_user_sgpr_private_segment_size 0
		.amdhsa_wavefront_size32 1
		.amdhsa_uses_dynamic_stack 0
		.amdhsa_system_sgpr_private_segment_wavefront_offset 0
		.amdhsa_system_sgpr_workgroup_id_x 1
		.amdhsa_system_sgpr_workgroup_id_y 0
		.amdhsa_system_sgpr_workgroup_id_z 0
		.amdhsa_system_sgpr_workgroup_info 0
		.amdhsa_system_vgpr_workitem_id 0
		.amdhsa_next_free_vgpr 1
		.amdhsa_next_free_sgpr 1
		.amdhsa_reserve_vcc 0
		.amdhsa_reserve_flat_scratch 0
		.amdhsa_float_round_mode_32 0
		.amdhsa_float_round_mode_16_64 0
		.amdhsa_float_denorm_mode_32 3
		.amdhsa_float_denorm_mode_16_64 3
		.amdhsa_dx10_clamp 1
		.amdhsa_ieee_mode 1
		.amdhsa_fp16_overflow 0
		.amdhsa_workgroup_processor_mode 1
		.amdhsa_memory_ordered 1
		.amdhsa_forward_progress 1
		.amdhsa_shared_vgpr_count 0
		.amdhsa_exception_fp_ieee_invalid_op 0
		.amdhsa_exception_fp_denorm_src 0
		.amdhsa_exception_fp_ieee_div_zero 0
		.amdhsa_exception_fp_ieee_overflow 0
		.amdhsa_exception_fp_ieee_underflow 0
		.amdhsa_exception_fp_ieee_inexact 0
		.amdhsa_exception_int_div_zero 0
	.end_amdhsa_kernel
	.section	.text._ZN7rocprim17ROCPRIM_400000_NS6detail17trampoline_kernelINS0_14default_configENS1_32segmented_reduce_config_selectorIfEEZNS1_21segmented_reduce_implIS3_PKfPfPKifN6hipcub16HIPCUB_304000_NS6detail27convert_result_type_wrapperIS8_S9_N2at6native12_GLOBAL__N_110CustomProdEEEEE10hipError_tPvRmT0_T1_jT2_SQ_T4_T3_P12ihipStream_tbEUlT_E_NS1_11comp_targetILNS1_3genE5ELNS1_11target_archE942ELNS1_3gpuE9ELNS1_3repE0EEENS1_30default_config_static_selectorELNS0_4arch9wavefront6targetE0EEEvSP_,"axG",@progbits,_ZN7rocprim17ROCPRIM_400000_NS6detail17trampoline_kernelINS0_14default_configENS1_32segmented_reduce_config_selectorIfEEZNS1_21segmented_reduce_implIS3_PKfPfPKifN6hipcub16HIPCUB_304000_NS6detail27convert_result_type_wrapperIS8_S9_N2at6native12_GLOBAL__N_110CustomProdEEEEE10hipError_tPvRmT0_T1_jT2_SQ_T4_T3_P12ihipStream_tbEUlT_E_NS1_11comp_targetILNS1_3genE5ELNS1_11target_archE942ELNS1_3gpuE9ELNS1_3repE0EEENS1_30default_config_static_selectorELNS0_4arch9wavefront6targetE0EEEvSP_,comdat
.Lfunc_end69:
	.size	_ZN7rocprim17ROCPRIM_400000_NS6detail17trampoline_kernelINS0_14default_configENS1_32segmented_reduce_config_selectorIfEEZNS1_21segmented_reduce_implIS3_PKfPfPKifN6hipcub16HIPCUB_304000_NS6detail27convert_result_type_wrapperIS8_S9_N2at6native12_GLOBAL__N_110CustomProdEEEEE10hipError_tPvRmT0_T1_jT2_SQ_T4_T3_P12ihipStream_tbEUlT_E_NS1_11comp_targetILNS1_3genE5ELNS1_11target_archE942ELNS1_3gpuE9ELNS1_3repE0EEENS1_30default_config_static_selectorELNS0_4arch9wavefront6targetE0EEEvSP_, .Lfunc_end69-_ZN7rocprim17ROCPRIM_400000_NS6detail17trampoline_kernelINS0_14default_configENS1_32segmented_reduce_config_selectorIfEEZNS1_21segmented_reduce_implIS3_PKfPfPKifN6hipcub16HIPCUB_304000_NS6detail27convert_result_type_wrapperIS8_S9_N2at6native12_GLOBAL__N_110CustomProdEEEEE10hipError_tPvRmT0_T1_jT2_SQ_T4_T3_P12ihipStream_tbEUlT_E_NS1_11comp_targetILNS1_3genE5ELNS1_11target_archE942ELNS1_3gpuE9ELNS1_3repE0EEENS1_30default_config_static_selectorELNS0_4arch9wavefront6targetE0EEEvSP_
                                        ; -- End function
	.set _ZN7rocprim17ROCPRIM_400000_NS6detail17trampoline_kernelINS0_14default_configENS1_32segmented_reduce_config_selectorIfEEZNS1_21segmented_reduce_implIS3_PKfPfPKifN6hipcub16HIPCUB_304000_NS6detail27convert_result_type_wrapperIS8_S9_N2at6native12_GLOBAL__N_110CustomProdEEEEE10hipError_tPvRmT0_T1_jT2_SQ_T4_T3_P12ihipStream_tbEUlT_E_NS1_11comp_targetILNS1_3genE5ELNS1_11target_archE942ELNS1_3gpuE9ELNS1_3repE0EEENS1_30default_config_static_selectorELNS0_4arch9wavefront6targetE0EEEvSP_.num_vgpr, 0
	.set _ZN7rocprim17ROCPRIM_400000_NS6detail17trampoline_kernelINS0_14default_configENS1_32segmented_reduce_config_selectorIfEEZNS1_21segmented_reduce_implIS3_PKfPfPKifN6hipcub16HIPCUB_304000_NS6detail27convert_result_type_wrapperIS8_S9_N2at6native12_GLOBAL__N_110CustomProdEEEEE10hipError_tPvRmT0_T1_jT2_SQ_T4_T3_P12ihipStream_tbEUlT_E_NS1_11comp_targetILNS1_3genE5ELNS1_11target_archE942ELNS1_3gpuE9ELNS1_3repE0EEENS1_30default_config_static_selectorELNS0_4arch9wavefront6targetE0EEEvSP_.num_agpr, 0
	.set _ZN7rocprim17ROCPRIM_400000_NS6detail17trampoline_kernelINS0_14default_configENS1_32segmented_reduce_config_selectorIfEEZNS1_21segmented_reduce_implIS3_PKfPfPKifN6hipcub16HIPCUB_304000_NS6detail27convert_result_type_wrapperIS8_S9_N2at6native12_GLOBAL__N_110CustomProdEEEEE10hipError_tPvRmT0_T1_jT2_SQ_T4_T3_P12ihipStream_tbEUlT_E_NS1_11comp_targetILNS1_3genE5ELNS1_11target_archE942ELNS1_3gpuE9ELNS1_3repE0EEENS1_30default_config_static_selectorELNS0_4arch9wavefront6targetE0EEEvSP_.numbered_sgpr, 0
	.set _ZN7rocprim17ROCPRIM_400000_NS6detail17trampoline_kernelINS0_14default_configENS1_32segmented_reduce_config_selectorIfEEZNS1_21segmented_reduce_implIS3_PKfPfPKifN6hipcub16HIPCUB_304000_NS6detail27convert_result_type_wrapperIS8_S9_N2at6native12_GLOBAL__N_110CustomProdEEEEE10hipError_tPvRmT0_T1_jT2_SQ_T4_T3_P12ihipStream_tbEUlT_E_NS1_11comp_targetILNS1_3genE5ELNS1_11target_archE942ELNS1_3gpuE9ELNS1_3repE0EEENS1_30default_config_static_selectorELNS0_4arch9wavefront6targetE0EEEvSP_.num_named_barrier, 0
	.set _ZN7rocprim17ROCPRIM_400000_NS6detail17trampoline_kernelINS0_14default_configENS1_32segmented_reduce_config_selectorIfEEZNS1_21segmented_reduce_implIS3_PKfPfPKifN6hipcub16HIPCUB_304000_NS6detail27convert_result_type_wrapperIS8_S9_N2at6native12_GLOBAL__N_110CustomProdEEEEE10hipError_tPvRmT0_T1_jT2_SQ_T4_T3_P12ihipStream_tbEUlT_E_NS1_11comp_targetILNS1_3genE5ELNS1_11target_archE942ELNS1_3gpuE9ELNS1_3repE0EEENS1_30default_config_static_selectorELNS0_4arch9wavefront6targetE0EEEvSP_.private_seg_size, 0
	.set _ZN7rocprim17ROCPRIM_400000_NS6detail17trampoline_kernelINS0_14default_configENS1_32segmented_reduce_config_selectorIfEEZNS1_21segmented_reduce_implIS3_PKfPfPKifN6hipcub16HIPCUB_304000_NS6detail27convert_result_type_wrapperIS8_S9_N2at6native12_GLOBAL__N_110CustomProdEEEEE10hipError_tPvRmT0_T1_jT2_SQ_T4_T3_P12ihipStream_tbEUlT_E_NS1_11comp_targetILNS1_3genE5ELNS1_11target_archE942ELNS1_3gpuE9ELNS1_3repE0EEENS1_30default_config_static_selectorELNS0_4arch9wavefront6targetE0EEEvSP_.uses_vcc, 0
	.set _ZN7rocprim17ROCPRIM_400000_NS6detail17trampoline_kernelINS0_14default_configENS1_32segmented_reduce_config_selectorIfEEZNS1_21segmented_reduce_implIS3_PKfPfPKifN6hipcub16HIPCUB_304000_NS6detail27convert_result_type_wrapperIS8_S9_N2at6native12_GLOBAL__N_110CustomProdEEEEE10hipError_tPvRmT0_T1_jT2_SQ_T4_T3_P12ihipStream_tbEUlT_E_NS1_11comp_targetILNS1_3genE5ELNS1_11target_archE942ELNS1_3gpuE9ELNS1_3repE0EEENS1_30default_config_static_selectorELNS0_4arch9wavefront6targetE0EEEvSP_.uses_flat_scratch, 0
	.set _ZN7rocprim17ROCPRIM_400000_NS6detail17trampoline_kernelINS0_14default_configENS1_32segmented_reduce_config_selectorIfEEZNS1_21segmented_reduce_implIS3_PKfPfPKifN6hipcub16HIPCUB_304000_NS6detail27convert_result_type_wrapperIS8_S9_N2at6native12_GLOBAL__N_110CustomProdEEEEE10hipError_tPvRmT0_T1_jT2_SQ_T4_T3_P12ihipStream_tbEUlT_E_NS1_11comp_targetILNS1_3genE5ELNS1_11target_archE942ELNS1_3gpuE9ELNS1_3repE0EEENS1_30default_config_static_selectorELNS0_4arch9wavefront6targetE0EEEvSP_.has_dyn_sized_stack, 0
	.set _ZN7rocprim17ROCPRIM_400000_NS6detail17trampoline_kernelINS0_14default_configENS1_32segmented_reduce_config_selectorIfEEZNS1_21segmented_reduce_implIS3_PKfPfPKifN6hipcub16HIPCUB_304000_NS6detail27convert_result_type_wrapperIS8_S9_N2at6native12_GLOBAL__N_110CustomProdEEEEE10hipError_tPvRmT0_T1_jT2_SQ_T4_T3_P12ihipStream_tbEUlT_E_NS1_11comp_targetILNS1_3genE5ELNS1_11target_archE942ELNS1_3gpuE9ELNS1_3repE0EEENS1_30default_config_static_selectorELNS0_4arch9wavefront6targetE0EEEvSP_.has_recursion, 0
	.set _ZN7rocprim17ROCPRIM_400000_NS6detail17trampoline_kernelINS0_14default_configENS1_32segmented_reduce_config_selectorIfEEZNS1_21segmented_reduce_implIS3_PKfPfPKifN6hipcub16HIPCUB_304000_NS6detail27convert_result_type_wrapperIS8_S9_N2at6native12_GLOBAL__N_110CustomProdEEEEE10hipError_tPvRmT0_T1_jT2_SQ_T4_T3_P12ihipStream_tbEUlT_E_NS1_11comp_targetILNS1_3genE5ELNS1_11target_archE942ELNS1_3gpuE9ELNS1_3repE0EEENS1_30default_config_static_selectorELNS0_4arch9wavefront6targetE0EEEvSP_.has_indirect_call, 0
	.section	.AMDGPU.csdata,"",@progbits
; Kernel info:
; codeLenInByte = 0
; TotalNumSgprs: 0
; NumVgprs: 0
; ScratchSize: 0
; MemoryBound: 0
; FloatMode: 240
; IeeeMode: 1
; LDSByteSize: 0 bytes/workgroup (compile time only)
; SGPRBlocks: 0
; VGPRBlocks: 0
; NumSGPRsForWavesPerEU: 1
; NumVGPRsForWavesPerEU: 1
; Occupancy: 16
; WaveLimiterHint : 0
; COMPUTE_PGM_RSRC2:SCRATCH_EN: 0
; COMPUTE_PGM_RSRC2:USER_SGPR: 6
; COMPUTE_PGM_RSRC2:TRAP_HANDLER: 0
; COMPUTE_PGM_RSRC2:TGID_X_EN: 1
; COMPUTE_PGM_RSRC2:TGID_Y_EN: 0
; COMPUTE_PGM_RSRC2:TGID_Z_EN: 0
; COMPUTE_PGM_RSRC2:TIDIG_COMP_CNT: 0
	.section	.text._ZN7rocprim17ROCPRIM_400000_NS6detail17trampoline_kernelINS0_14default_configENS1_32segmented_reduce_config_selectorIfEEZNS1_21segmented_reduce_implIS3_PKfPfPKifN6hipcub16HIPCUB_304000_NS6detail27convert_result_type_wrapperIS8_S9_N2at6native12_GLOBAL__N_110CustomProdEEEEE10hipError_tPvRmT0_T1_jT2_SQ_T4_T3_P12ihipStream_tbEUlT_E_NS1_11comp_targetILNS1_3genE10ELNS1_11target_archE1201ELNS1_3gpuE5ELNS1_3repE0EEENS1_30default_config_static_selectorELNS0_4arch9wavefront6targetE0EEEvSP_,"axG",@progbits,_ZN7rocprim17ROCPRIM_400000_NS6detail17trampoline_kernelINS0_14default_configENS1_32segmented_reduce_config_selectorIfEEZNS1_21segmented_reduce_implIS3_PKfPfPKifN6hipcub16HIPCUB_304000_NS6detail27convert_result_type_wrapperIS8_S9_N2at6native12_GLOBAL__N_110CustomProdEEEEE10hipError_tPvRmT0_T1_jT2_SQ_T4_T3_P12ihipStream_tbEUlT_E_NS1_11comp_targetILNS1_3genE10ELNS1_11target_archE1201ELNS1_3gpuE5ELNS1_3repE0EEENS1_30default_config_static_selectorELNS0_4arch9wavefront6targetE0EEEvSP_,comdat
	.globl	_ZN7rocprim17ROCPRIM_400000_NS6detail17trampoline_kernelINS0_14default_configENS1_32segmented_reduce_config_selectorIfEEZNS1_21segmented_reduce_implIS3_PKfPfPKifN6hipcub16HIPCUB_304000_NS6detail27convert_result_type_wrapperIS8_S9_N2at6native12_GLOBAL__N_110CustomProdEEEEE10hipError_tPvRmT0_T1_jT2_SQ_T4_T3_P12ihipStream_tbEUlT_E_NS1_11comp_targetILNS1_3genE10ELNS1_11target_archE1201ELNS1_3gpuE5ELNS1_3repE0EEENS1_30default_config_static_selectorELNS0_4arch9wavefront6targetE0EEEvSP_ ; -- Begin function _ZN7rocprim17ROCPRIM_400000_NS6detail17trampoline_kernelINS0_14default_configENS1_32segmented_reduce_config_selectorIfEEZNS1_21segmented_reduce_implIS3_PKfPfPKifN6hipcub16HIPCUB_304000_NS6detail27convert_result_type_wrapperIS8_S9_N2at6native12_GLOBAL__N_110CustomProdEEEEE10hipError_tPvRmT0_T1_jT2_SQ_T4_T3_P12ihipStream_tbEUlT_E_NS1_11comp_targetILNS1_3genE10ELNS1_11target_archE1201ELNS1_3gpuE5ELNS1_3repE0EEENS1_30default_config_static_selectorELNS0_4arch9wavefront6targetE0EEEvSP_
	.p2align	8
	.type	_ZN7rocprim17ROCPRIM_400000_NS6detail17trampoline_kernelINS0_14default_configENS1_32segmented_reduce_config_selectorIfEEZNS1_21segmented_reduce_implIS3_PKfPfPKifN6hipcub16HIPCUB_304000_NS6detail27convert_result_type_wrapperIS8_S9_N2at6native12_GLOBAL__N_110CustomProdEEEEE10hipError_tPvRmT0_T1_jT2_SQ_T4_T3_P12ihipStream_tbEUlT_E_NS1_11comp_targetILNS1_3genE10ELNS1_11target_archE1201ELNS1_3gpuE5ELNS1_3repE0EEENS1_30default_config_static_selectorELNS0_4arch9wavefront6targetE0EEEvSP_,@function
_ZN7rocprim17ROCPRIM_400000_NS6detail17trampoline_kernelINS0_14default_configENS1_32segmented_reduce_config_selectorIfEEZNS1_21segmented_reduce_implIS3_PKfPfPKifN6hipcub16HIPCUB_304000_NS6detail27convert_result_type_wrapperIS8_S9_N2at6native12_GLOBAL__N_110CustomProdEEEEE10hipError_tPvRmT0_T1_jT2_SQ_T4_T3_P12ihipStream_tbEUlT_E_NS1_11comp_targetILNS1_3genE10ELNS1_11target_archE1201ELNS1_3gpuE5ELNS1_3repE0EEENS1_30default_config_static_selectorELNS0_4arch9wavefront6targetE0EEEvSP_: ; @_ZN7rocprim17ROCPRIM_400000_NS6detail17trampoline_kernelINS0_14default_configENS1_32segmented_reduce_config_selectorIfEEZNS1_21segmented_reduce_implIS3_PKfPfPKifN6hipcub16HIPCUB_304000_NS6detail27convert_result_type_wrapperIS8_S9_N2at6native12_GLOBAL__N_110CustomProdEEEEE10hipError_tPvRmT0_T1_jT2_SQ_T4_T3_P12ihipStream_tbEUlT_E_NS1_11comp_targetILNS1_3genE10ELNS1_11target_archE1201ELNS1_3gpuE5ELNS1_3repE0EEENS1_30default_config_static_selectorELNS0_4arch9wavefront6targetE0EEEvSP_
; %bb.0:
	.section	.rodata,"a",@progbits
	.p2align	6, 0x0
	.amdhsa_kernel _ZN7rocprim17ROCPRIM_400000_NS6detail17trampoline_kernelINS0_14default_configENS1_32segmented_reduce_config_selectorIfEEZNS1_21segmented_reduce_implIS3_PKfPfPKifN6hipcub16HIPCUB_304000_NS6detail27convert_result_type_wrapperIS8_S9_N2at6native12_GLOBAL__N_110CustomProdEEEEE10hipError_tPvRmT0_T1_jT2_SQ_T4_T3_P12ihipStream_tbEUlT_E_NS1_11comp_targetILNS1_3genE10ELNS1_11target_archE1201ELNS1_3gpuE5ELNS1_3repE0EEENS1_30default_config_static_selectorELNS0_4arch9wavefront6targetE0EEEvSP_
		.amdhsa_group_segment_fixed_size 0
		.amdhsa_private_segment_fixed_size 0
		.amdhsa_kernarg_size 48
		.amdhsa_user_sgpr_count 6
		.amdhsa_user_sgpr_private_segment_buffer 1
		.amdhsa_user_sgpr_dispatch_ptr 0
		.amdhsa_user_sgpr_queue_ptr 0
		.amdhsa_user_sgpr_kernarg_segment_ptr 1
		.amdhsa_user_sgpr_dispatch_id 0
		.amdhsa_user_sgpr_flat_scratch_init 0
		.amdhsa_user_sgpr_private_segment_size 0
		.amdhsa_wavefront_size32 1
		.amdhsa_uses_dynamic_stack 0
		.amdhsa_system_sgpr_private_segment_wavefront_offset 0
		.amdhsa_system_sgpr_workgroup_id_x 1
		.amdhsa_system_sgpr_workgroup_id_y 0
		.amdhsa_system_sgpr_workgroup_id_z 0
		.amdhsa_system_sgpr_workgroup_info 0
		.amdhsa_system_vgpr_workitem_id 0
		.amdhsa_next_free_vgpr 1
		.amdhsa_next_free_sgpr 1
		.amdhsa_reserve_vcc 0
		.amdhsa_reserve_flat_scratch 0
		.amdhsa_float_round_mode_32 0
		.amdhsa_float_round_mode_16_64 0
		.amdhsa_float_denorm_mode_32 3
		.amdhsa_float_denorm_mode_16_64 3
		.amdhsa_dx10_clamp 1
		.amdhsa_ieee_mode 1
		.amdhsa_fp16_overflow 0
		.amdhsa_workgroup_processor_mode 1
		.amdhsa_memory_ordered 1
		.amdhsa_forward_progress 1
		.amdhsa_shared_vgpr_count 0
		.amdhsa_exception_fp_ieee_invalid_op 0
		.amdhsa_exception_fp_denorm_src 0
		.amdhsa_exception_fp_ieee_div_zero 0
		.amdhsa_exception_fp_ieee_overflow 0
		.amdhsa_exception_fp_ieee_underflow 0
		.amdhsa_exception_fp_ieee_inexact 0
		.amdhsa_exception_int_div_zero 0
	.end_amdhsa_kernel
	.section	.text._ZN7rocprim17ROCPRIM_400000_NS6detail17trampoline_kernelINS0_14default_configENS1_32segmented_reduce_config_selectorIfEEZNS1_21segmented_reduce_implIS3_PKfPfPKifN6hipcub16HIPCUB_304000_NS6detail27convert_result_type_wrapperIS8_S9_N2at6native12_GLOBAL__N_110CustomProdEEEEE10hipError_tPvRmT0_T1_jT2_SQ_T4_T3_P12ihipStream_tbEUlT_E_NS1_11comp_targetILNS1_3genE10ELNS1_11target_archE1201ELNS1_3gpuE5ELNS1_3repE0EEENS1_30default_config_static_selectorELNS0_4arch9wavefront6targetE0EEEvSP_,"axG",@progbits,_ZN7rocprim17ROCPRIM_400000_NS6detail17trampoline_kernelINS0_14default_configENS1_32segmented_reduce_config_selectorIfEEZNS1_21segmented_reduce_implIS3_PKfPfPKifN6hipcub16HIPCUB_304000_NS6detail27convert_result_type_wrapperIS8_S9_N2at6native12_GLOBAL__N_110CustomProdEEEEE10hipError_tPvRmT0_T1_jT2_SQ_T4_T3_P12ihipStream_tbEUlT_E_NS1_11comp_targetILNS1_3genE10ELNS1_11target_archE1201ELNS1_3gpuE5ELNS1_3repE0EEENS1_30default_config_static_selectorELNS0_4arch9wavefront6targetE0EEEvSP_,comdat
.Lfunc_end70:
	.size	_ZN7rocprim17ROCPRIM_400000_NS6detail17trampoline_kernelINS0_14default_configENS1_32segmented_reduce_config_selectorIfEEZNS1_21segmented_reduce_implIS3_PKfPfPKifN6hipcub16HIPCUB_304000_NS6detail27convert_result_type_wrapperIS8_S9_N2at6native12_GLOBAL__N_110CustomProdEEEEE10hipError_tPvRmT0_T1_jT2_SQ_T4_T3_P12ihipStream_tbEUlT_E_NS1_11comp_targetILNS1_3genE10ELNS1_11target_archE1201ELNS1_3gpuE5ELNS1_3repE0EEENS1_30default_config_static_selectorELNS0_4arch9wavefront6targetE0EEEvSP_, .Lfunc_end70-_ZN7rocprim17ROCPRIM_400000_NS6detail17trampoline_kernelINS0_14default_configENS1_32segmented_reduce_config_selectorIfEEZNS1_21segmented_reduce_implIS3_PKfPfPKifN6hipcub16HIPCUB_304000_NS6detail27convert_result_type_wrapperIS8_S9_N2at6native12_GLOBAL__N_110CustomProdEEEEE10hipError_tPvRmT0_T1_jT2_SQ_T4_T3_P12ihipStream_tbEUlT_E_NS1_11comp_targetILNS1_3genE10ELNS1_11target_archE1201ELNS1_3gpuE5ELNS1_3repE0EEENS1_30default_config_static_selectorELNS0_4arch9wavefront6targetE0EEEvSP_
                                        ; -- End function
	.set _ZN7rocprim17ROCPRIM_400000_NS6detail17trampoline_kernelINS0_14default_configENS1_32segmented_reduce_config_selectorIfEEZNS1_21segmented_reduce_implIS3_PKfPfPKifN6hipcub16HIPCUB_304000_NS6detail27convert_result_type_wrapperIS8_S9_N2at6native12_GLOBAL__N_110CustomProdEEEEE10hipError_tPvRmT0_T1_jT2_SQ_T4_T3_P12ihipStream_tbEUlT_E_NS1_11comp_targetILNS1_3genE10ELNS1_11target_archE1201ELNS1_3gpuE5ELNS1_3repE0EEENS1_30default_config_static_selectorELNS0_4arch9wavefront6targetE0EEEvSP_.num_vgpr, 0
	.set _ZN7rocprim17ROCPRIM_400000_NS6detail17trampoline_kernelINS0_14default_configENS1_32segmented_reduce_config_selectorIfEEZNS1_21segmented_reduce_implIS3_PKfPfPKifN6hipcub16HIPCUB_304000_NS6detail27convert_result_type_wrapperIS8_S9_N2at6native12_GLOBAL__N_110CustomProdEEEEE10hipError_tPvRmT0_T1_jT2_SQ_T4_T3_P12ihipStream_tbEUlT_E_NS1_11comp_targetILNS1_3genE10ELNS1_11target_archE1201ELNS1_3gpuE5ELNS1_3repE0EEENS1_30default_config_static_selectorELNS0_4arch9wavefront6targetE0EEEvSP_.num_agpr, 0
	.set _ZN7rocprim17ROCPRIM_400000_NS6detail17trampoline_kernelINS0_14default_configENS1_32segmented_reduce_config_selectorIfEEZNS1_21segmented_reduce_implIS3_PKfPfPKifN6hipcub16HIPCUB_304000_NS6detail27convert_result_type_wrapperIS8_S9_N2at6native12_GLOBAL__N_110CustomProdEEEEE10hipError_tPvRmT0_T1_jT2_SQ_T4_T3_P12ihipStream_tbEUlT_E_NS1_11comp_targetILNS1_3genE10ELNS1_11target_archE1201ELNS1_3gpuE5ELNS1_3repE0EEENS1_30default_config_static_selectorELNS0_4arch9wavefront6targetE0EEEvSP_.numbered_sgpr, 0
	.set _ZN7rocprim17ROCPRIM_400000_NS6detail17trampoline_kernelINS0_14default_configENS1_32segmented_reduce_config_selectorIfEEZNS1_21segmented_reduce_implIS3_PKfPfPKifN6hipcub16HIPCUB_304000_NS6detail27convert_result_type_wrapperIS8_S9_N2at6native12_GLOBAL__N_110CustomProdEEEEE10hipError_tPvRmT0_T1_jT2_SQ_T4_T3_P12ihipStream_tbEUlT_E_NS1_11comp_targetILNS1_3genE10ELNS1_11target_archE1201ELNS1_3gpuE5ELNS1_3repE0EEENS1_30default_config_static_selectorELNS0_4arch9wavefront6targetE0EEEvSP_.num_named_barrier, 0
	.set _ZN7rocprim17ROCPRIM_400000_NS6detail17trampoline_kernelINS0_14default_configENS1_32segmented_reduce_config_selectorIfEEZNS1_21segmented_reduce_implIS3_PKfPfPKifN6hipcub16HIPCUB_304000_NS6detail27convert_result_type_wrapperIS8_S9_N2at6native12_GLOBAL__N_110CustomProdEEEEE10hipError_tPvRmT0_T1_jT2_SQ_T4_T3_P12ihipStream_tbEUlT_E_NS1_11comp_targetILNS1_3genE10ELNS1_11target_archE1201ELNS1_3gpuE5ELNS1_3repE0EEENS1_30default_config_static_selectorELNS0_4arch9wavefront6targetE0EEEvSP_.private_seg_size, 0
	.set _ZN7rocprim17ROCPRIM_400000_NS6detail17trampoline_kernelINS0_14default_configENS1_32segmented_reduce_config_selectorIfEEZNS1_21segmented_reduce_implIS3_PKfPfPKifN6hipcub16HIPCUB_304000_NS6detail27convert_result_type_wrapperIS8_S9_N2at6native12_GLOBAL__N_110CustomProdEEEEE10hipError_tPvRmT0_T1_jT2_SQ_T4_T3_P12ihipStream_tbEUlT_E_NS1_11comp_targetILNS1_3genE10ELNS1_11target_archE1201ELNS1_3gpuE5ELNS1_3repE0EEENS1_30default_config_static_selectorELNS0_4arch9wavefront6targetE0EEEvSP_.uses_vcc, 0
	.set _ZN7rocprim17ROCPRIM_400000_NS6detail17trampoline_kernelINS0_14default_configENS1_32segmented_reduce_config_selectorIfEEZNS1_21segmented_reduce_implIS3_PKfPfPKifN6hipcub16HIPCUB_304000_NS6detail27convert_result_type_wrapperIS8_S9_N2at6native12_GLOBAL__N_110CustomProdEEEEE10hipError_tPvRmT0_T1_jT2_SQ_T4_T3_P12ihipStream_tbEUlT_E_NS1_11comp_targetILNS1_3genE10ELNS1_11target_archE1201ELNS1_3gpuE5ELNS1_3repE0EEENS1_30default_config_static_selectorELNS0_4arch9wavefront6targetE0EEEvSP_.uses_flat_scratch, 0
	.set _ZN7rocprim17ROCPRIM_400000_NS6detail17trampoline_kernelINS0_14default_configENS1_32segmented_reduce_config_selectorIfEEZNS1_21segmented_reduce_implIS3_PKfPfPKifN6hipcub16HIPCUB_304000_NS6detail27convert_result_type_wrapperIS8_S9_N2at6native12_GLOBAL__N_110CustomProdEEEEE10hipError_tPvRmT0_T1_jT2_SQ_T4_T3_P12ihipStream_tbEUlT_E_NS1_11comp_targetILNS1_3genE10ELNS1_11target_archE1201ELNS1_3gpuE5ELNS1_3repE0EEENS1_30default_config_static_selectorELNS0_4arch9wavefront6targetE0EEEvSP_.has_dyn_sized_stack, 0
	.set _ZN7rocprim17ROCPRIM_400000_NS6detail17trampoline_kernelINS0_14default_configENS1_32segmented_reduce_config_selectorIfEEZNS1_21segmented_reduce_implIS3_PKfPfPKifN6hipcub16HIPCUB_304000_NS6detail27convert_result_type_wrapperIS8_S9_N2at6native12_GLOBAL__N_110CustomProdEEEEE10hipError_tPvRmT0_T1_jT2_SQ_T4_T3_P12ihipStream_tbEUlT_E_NS1_11comp_targetILNS1_3genE10ELNS1_11target_archE1201ELNS1_3gpuE5ELNS1_3repE0EEENS1_30default_config_static_selectorELNS0_4arch9wavefront6targetE0EEEvSP_.has_recursion, 0
	.set _ZN7rocprim17ROCPRIM_400000_NS6detail17trampoline_kernelINS0_14default_configENS1_32segmented_reduce_config_selectorIfEEZNS1_21segmented_reduce_implIS3_PKfPfPKifN6hipcub16HIPCUB_304000_NS6detail27convert_result_type_wrapperIS8_S9_N2at6native12_GLOBAL__N_110CustomProdEEEEE10hipError_tPvRmT0_T1_jT2_SQ_T4_T3_P12ihipStream_tbEUlT_E_NS1_11comp_targetILNS1_3genE10ELNS1_11target_archE1201ELNS1_3gpuE5ELNS1_3repE0EEENS1_30default_config_static_selectorELNS0_4arch9wavefront6targetE0EEEvSP_.has_indirect_call, 0
	.section	.AMDGPU.csdata,"",@progbits
; Kernel info:
; codeLenInByte = 0
; TotalNumSgprs: 0
; NumVgprs: 0
; ScratchSize: 0
; MemoryBound: 0
; FloatMode: 240
; IeeeMode: 1
; LDSByteSize: 0 bytes/workgroup (compile time only)
; SGPRBlocks: 0
; VGPRBlocks: 0
; NumSGPRsForWavesPerEU: 1
; NumVGPRsForWavesPerEU: 1
; Occupancy: 16
; WaveLimiterHint : 0
; COMPUTE_PGM_RSRC2:SCRATCH_EN: 0
; COMPUTE_PGM_RSRC2:USER_SGPR: 6
; COMPUTE_PGM_RSRC2:TRAP_HANDLER: 0
; COMPUTE_PGM_RSRC2:TGID_X_EN: 1
; COMPUTE_PGM_RSRC2:TGID_Y_EN: 0
; COMPUTE_PGM_RSRC2:TGID_Z_EN: 0
; COMPUTE_PGM_RSRC2:TIDIG_COMP_CNT: 0
	.section	.text._ZN7rocprim17ROCPRIM_400000_NS6detail17trampoline_kernelINS0_14default_configENS1_32segmented_reduce_config_selectorIfEEZNS1_21segmented_reduce_implIS3_PKfPfPKifN6hipcub16HIPCUB_304000_NS6detail27convert_result_type_wrapperIS8_S9_N2at6native12_GLOBAL__N_110CustomProdEEEEE10hipError_tPvRmT0_T1_jT2_SQ_T4_T3_P12ihipStream_tbEUlT_E_NS1_11comp_targetILNS1_3genE4ELNS1_11target_archE910ELNS1_3gpuE8ELNS1_3repE0EEENS1_30default_config_static_selectorELNS0_4arch9wavefront6targetE0EEEvSP_,"axG",@progbits,_ZN7rocprim17ROCPRIM_400000_NS6detail17trampoline_kernelINS0_14default_configENS1_32segmented_reduce_config_selectorIfEEZNS1_21segmented_reduce_implIS3_PKfPfPKifN6hipcub16HIPCUB_304000_NS6detail27convert_result_type_wrapperIS8_S9_N2at6native12_GLOBAL__N_110CustomProdEEEEE10hipError_tPvRmT0_T1_jT2_SQ_T4_T3_P12ihipStream_tbEUlT_E_NS1_11comp_targetILNS1_3genE4ELNS1_11target_archE910ELNS1_3gpuE8ELNS1_3repE0EEENS1_30default_config_static_selectorELNS0_4arch9wavefront6targetE0EEEvSP_,comdat
	.globl	_ZN7rocprim17ROCPRIM_400000_NS6detail17trampoline_kernelINS0_14default_configENS1_32segmented_reduce_config_selectorIfEEZNS1_21segmented_reduce_implIS3_PKfPfPKifN6hipcub16HIPCUB_304000_NS6detail27convert_result_type_wrapperIS8_S9_N2at6native12_GLOBAL__N_110CustomProdEEEEE10hipError_tPvRmT0_T1_jT2_SQ_T4_T3_P12ihipStream_tbEUlT_E_NS1_11comp_targetILNS1_3genE4ELNS1_11target_archE910ELNS1_3gpuE8ELNS1_3repE0EEENS1_30default_config_static_selectorELNS0_4arch9wavefront6targetE0EEEvSP_ ; -- Begin function _ZN7rocprim17ROCPRIM_400000_NS6detail17trampoline_kernelINS0_14default_configENS1_32segmented_reduce_config_selectorIfEEZNS1_21segmented_reduce_implIS3_PKfPfPKifN6hipcub16HIPCUB_304000_NS6detail27convert_result_type_wrapperIS8_S9_N2at6native12_GLOBAL__N_110CustomProdEEEEE10hipError_tPvRmT0_T1_jT2_SQ_T4_T3_P12ihipStream_tbEUlT_E_NS1_11comp_targetILNS1_3genE4ELNS1_11target_archE910ELNS1_3gpuE8ELNS1_3repE0EEENS1_30default_config_static_selectorELNS0_4arch9wavefront6targetE0EEEvSP_
	.p2align	8
	.type	_ZN7rocprim17ROCPRIM_400000_NS6detail17trampoline_kernelINS0_14default_configENS1_32segmented_reduce_config_selectorIfEEZNS1_21segmented_reduce_implIS3_PKfPfPKifN6hipcub16HIPCUB_304000_NS6detail27convert_result_type_wrapperIS8_S9_N2at6native12_GLOBAL__N_110CustomProdEEEEE10hipError_tPvRmT0_T1_jT2_SQ_T4_T3_P12ihipStream_tbEUlT_E_NS1_11comp_targetILNS1_3genE4ELNS1_11target_archE910ELNS1_3gpuE8ELNS1_3repE0EEENS1_30default_config_static_selectorELNS0_4arch9wavefront6targetE0EEEvSP_,@function
_ZN7rocprim17ROCPRIM_400000_NS6detail17trampoline_kernelINS0_14default_configENS1_32segmented_reduce_config_selectorIfEEZNS1_21segmented_reduce_implIS3_PKfPfPKifN6hipcub16HIPCUB_304000_NS6detail27convert_result_type_wrapperIS8_S9_N2at6native12_GLOBAL__N_110CustomProdEEEEE10hipError_tPvRmT0_T1_jT2_SQ_T4_T3_P12ihipStream_tbEUlT_E_NS1_11comp_targetILNS1_3genE4ELNS1_11target_archE910ELNS1_3gpuE8ELNS1_3repE0EEENS1_30default_config_static_selectorELNS0_4arch9wavefront6targetE0EEEvSP_: ; @_ZN7rocprim17ROCPRIM_400000_NS6detail17trampoline_kernelINS0_14default_configENS1_32segmented_reduce_config_selectorIfEEZNS1_21segmented_reduce_implIS3_PKfPfPKifN6hipcub16HIPCUB_304000_NS6detail27convert_result_type_wrapperIS8_S9_N2at6native12_GLOBAL__N_110CustomProdEEEEE10hipError_tPvRmT0_T1_jT2_SQ_T4_T3_P12ihipStream_tbEUlT_E_NS1_11comp_targetILNS1_3genE4ELNS1_11target_archE910ELNS1_3gpuE8ELNS1_3repE0EEENS1_30default_config_static_selectorELNS0_4arch9wavefront6targetE0EEEvSP_
; %bb.0:
	.section	.rodata,"a",@progbits
	.p2align	6, 0x0
	.amdhsa_kernel _ZN7rocprim17ROCPRIM_400000_NS6detail17trampoline_kernelINS0_14default_configENS1_32segmented_reduce_config_selectorIfEEZNS1_21segmented_reduce_implIS3_PKfPfPKifN6hipcub16HIPCUB_304000_NS6detail27convert_result_type_wrapperIS8_S9_N2at6native12_GLOBAL__N_110CustomProdEEEEE10hipError_tPvRmT0_T1_jT2_SQ_T4_T3_P12ihipStream_tbEUlT_E_NS1_11comp_targetILNS1_3genE4ELNS1_11target_archE910ELNS1_3gpuE8ELNS1_3repE0EEENS1_30default_config_static_selectorELNS0_4arch9wavefront6targetE0EEEvSP_
		.amdhsa_group_segment_fixed_size 0
		.amdhsa_private_segment_fixed_size 0
		.amdhsa_kernarg_size 48
		.amdhsa_user_sgpr_count 6
		.amdhsa_user_sgpr_private_segment_buffer 1
		.amdhsa_user_sgpr_dispatch_ptr 0
		.amdhsa_user_sgpr_queue_ptr 0
		.amdhsa_user_sgpr_kernarg_segment_ptr 1
		.amdhsa_user_sgpr_dispatch_id 0
		.amdhsa_user_sgpr_flat_scratch_init 0
		.amdhsa_user_sgpr_private_segment_size 0
		.amdhsa_wavefront_size32 1
		.amdhsa_uses_dynamic_stack 0
		.amdhsa_system_sgpr_private_segment_wavefront_offset 0
		.amdhsa_system_sgpr_workgroup_id_x 1
		.amdhsa_system_sgpr_workgroup_id_y 0
		.amdhsa_system_sgpr_workgroup_id_z 0
		.amdhsa_system_sgpr_workgroup_info 0
		.amdhsa_system_vgpr_workitem_id 0
		.amdhsa_next_free_vgpr 1
		.amdhsa_next_free_sgpr 1
		.amdhsa_reserve_vcc 0
		.amdhsa_reserve_flat_scratch 0
		.amdhsa_float_round_mode_32 0
		.amdhsa_float_round_mode_16_64 0
		.amdhsa_float_denorm_mode_32 3
		.amdhsa_float_denorm_mode_16_64 3
		.amdhsa_dx10_clamp 1
		.amdhsa_ieee_mode 1
		.amdhsa_fp16_overflow 0
		.amdhsa_workgroup_processor_mode 1
		.amdhsa_memory_ordered 1
		.amdhsa_forward_progress 1
		.amdhsa_shared_vgpr_count 0
		.amdhsa_exception_fp_ieee_invalid_op 0
		.amdhsa_exception_fp_denorm_src 0
		.amdhsa_exception_fp_ieee_div_zero 0
		.amdhsa_exception_fp_ieee_overflow 0
		.amdhsa_exception_fp_ieee_underflow 0
		.amdhsa_exception_fp_ieee_inexact 0
		.amdhsa_exception_int_div_zero 0
	.end_amdhsa_kernel
	.section	.text._ZN7rocprim17ROCPRIM_400000_NS6detail17trampoline_kernelINS0_14default_configENS1_32segmented_reduce_config_selectorIfEEZNS1_21segmented_reduce_implIS3_PKfPfPKifN6hipcub16HIPCUB_304000_NS6detail27convert_result_type_wrapperIS8_S9_N2at6native12_GLOBAL__N_110CustomProdEEEEE10hipError_tPvRmT0_T1_jT2_SQ_T4_T3_P12ihipStream_tbEUlT_E_NS1_11comp_targetILNS1_3genE4ELNS1_11target_archE910ELNS1_3gpuE8ELNS1_3repE0EEENS1_30default_config_static_selectorELNS0_4arch9wavefront6targetE0EEEvSP_,"axG",@progbits,_ZN7rocprim17ROCPRIM_400000_NS6detail17trampoline_kernelINS0_14default_configENS1_32segmented_reduce_config_selectorIfEEZNS1_21segmented_reduce_implIS3_PKfPfPKifN6hipcub16HIPCUB_304000_NS6detail27convert_result_type_wrapperIS8_S9_N2at6native12_GLOBAL__N_110CustomProdEEEEE10hipError_tPvRmT0_T1_jT2_SQ_T4_T3_P12ihipStream_tbEUlT_E_NS1_11comp_targetILNS1_3genE4ELNS1_11target_archE910ELNS1_3gpuE8ELNS1_3repE0EEENS1_30default_config_static_selectorELNS0_4arch9wavefront6targetE0EEEvSP_,comdat
.Lfunc_end71:
	.size	_ZN7rocprim17ROCPRIM_400000_NS6detail17trampoline_kernelINS0_14default_configENS1_32segmented_reduce_config_selectorIfEEZNS1_21segmented_reduce_implIS3_PKfPfPKifN6hipcub16HIPCUB_304000_NS6detail27convert_result_type_wrapperIS8_S9_N2at6native12_GLOBAL__N_110CustomProdEEEEE10hipError_tPvRmT0_T1_jT2_SQ_T4_T3_P12ihipStream_tbEUlT_E_NS1_11comp_targetILNS1_3genE4ELNS1_11target_archE910ELNS1_3gpuE8ELNS1_3repE0EEENS1_30default_config_static_selectorELNS0_4arch9wavefront6targetE0EEEvSP_, .Lfunc_end71-_ZN7rocprim17ROCPRIM_400000_NS6detail17trampoline_kernelINS0_14default_configENS1_32segmented_reduce_config_selectorIfEEZNS1_21segmented_reduce_implIS3_PKfPfPKifN6hipcub16HIPCUB_304000_NS6detail27convert_result_type_wrapperIS8_S9_N2at6native12_GLOBAL__N_110CustomProdEEEEE10hipError_tPvRmT0_T1_jT2_SQ_T4_T3_P12ihipStream_tbEUlT_E_NS1_11comp_targetILNS1_3genE4ELNS1_11target_archE910ELNS1_3gpuE8ELNS1_3repE0EEENS1_30default_config_static_selectorELNS0_4arch9wavefront6targetE0EEEvSP_
                                        ; -- End function
	.set _ZN7rocprim17ROCPRIM_400000_NS6detail17trampoline_kernelINS0_14default_configENS1_32segmented_reduce_config_selectorIfEEZNS1_21segmented_reduce_implIS3_PKfPfPKifN6hipcub16HIPCUB_304000_NS6detail27convert_result_type_wrapperIS8_S9_N2at6native12_GLOBAL__N_110CustomProdEEEEE10hipError_tPvRmT0_T1_jT2_SQ_T4_T3_P12ihipStream_tbEUlT_E_NS1_11comp_targetILNS1_3genE4ELNS1_11target_archE910ELNS1_3gpuE8ELNS1_3repE0EEENS1_30default_config_static_selectorELNS0_4arch9wavefront6targetE0EEEvSP_.num_vgpr, 0
	.set _ZN7rocprim17ROCPRIM_400000_NS6detail17trampoline_kernelINS0_14default_configENS1_32segmented_reduce_config_selectorIfEEZNS1_21segmented_reduce_implIS3_PKfPfPKifN6hipcub16HIPCUB_304000_NS6detail27convert_result_type_wrapperIS8_S9_N2at6native12_GLOBAL__N_110CustomProdEEEEE10hipError_tPvRmT0_T1_jT2_SQ_T4_T3_P12ihipStream_tbEUlT_E_NS1_11comp_targetILNS1_3genE4ELNS1_11target_archE910ELNS1_3gpuE8ELNS1_3repE0EEENS1_30default_config_static_selectorELNS0_4arch9wavefront6targetE0EEEvSP_.num_agpr, 0
	.set _ZN7rocprim17ROCPRIM_400000_NS6detail17trampoline_kernelINS0_14default_configENS1_32segmented_reduce_config_selectorIfEEZNS1_21segmented_reduce_implIS3_PKfPfPKifN6hipcub16HIPCUB_304000_NS6detail27convert_result_type_wrapperIS8_S9_N2at6native12_GLOBAL__N_110CustomProdEEEEE10hipError_tPvRmT0_T1_jT2_SQ_T4_T3_P12ihipStream_tbEUlT_E_NS1_11comp_targetILNS1_3genE4ELNS1_11target_archE910ELNS1_3gpuE8ELNS1_3repE0EEENS1_30default_config_static_selectorELNS0_4arch9wavefront6targetE0EEEvSP_.numbered_sgpr, 0
	.set _ZN7rocprim17ROCPRIM_400000_NS6detail17trampoline_kernelINS0_14default_configENS1_32segmented_reduce_config_selectorIfEEZNS1_21segmented_reduce_implIS3_PKfPfPKifN6hipcub16HIPCUB_304000_NS6detail27convert_result_type_wrapperIS8_S9_N2at6native12_GLOBAL__N_110CustomProdEEEEE10hipError_tPvRmT0_T1_jT2_SQ_T4_T3_P12ihipStream_tbEUlT_E_NS1_11comp_targetILNS1_3genE4ELNS1_11target_archE910ELNS1_3gpuE8ELNS1_3repE0EEENS1_30default_config_static_selectorELNS0_4arch9wavefront6targetE0EEEvSP_.num_named_barrier, 0
	.set _ZN7rocprim17ROCPRIM_400000_NS6detail17trampoline_kernelINS0_14default_configENS1_32segmented_reduce_config_selectorIfEEZNS1_21segmented_reduce_implIS3_PKfPfPKifN6hipcub16HIPCUB_304000_NS6detail27convert_result_type_wrapperIS8_S9_N2at6native12_GLOBAL__N_110CustomProdEEEEE10hipError_tPvRmT0_T1_jT2_SQ_T4_T3_P12ihipStream_tbEUlT_E_NS1_11comp_targetILNS1_3genE4ELNS1_11target_archE910ELNS1_3gpuE8ELNS1_3repE0EEENS1_30default_config_static_selectorELNS0_4arch9wavefront6targetE0EEEvSP_.private_seg_size, 0
	.set _ZN7rocprim17ROCPRIM_400000_NS6detail17trampoline_kernelINS0_14default_configENS1_32segmented_reduce_config_selectorIfEEZNS1_21segmented_reduce_implIS3_PKfPfPKifN6hipcub16HIPCUB_304000_NS6detail27convert_result_type_wrapperIS8_S9_N2at6native12_GLOBAL__N_110CustomProdEEEEE10hipError_tPvRmT0_T1_jT2_SQ_T4_T3_P12ihipStream_tbEUlT_E_NS1_11comp_targetILNS1_3genE4ELNS1_11target_archE910ELNS1_3gpuE8ELNS1_3repE0EEENS1_30default_config_static_selectorELNS0_4arch9wavefront6targetE0EEEvSP_.uses_vcc, 0
	.set _ZN7rocprim17ROCPRIM_400000_NS6detail17trampoline_kernelINS0_14default_configENS1_32segmented_reduce_config_selectorIfEEZNS1_21segmented_reduce_implIS3_PKfPfPKifN6hipcub16HIPCUB_304000_NS6detail27convert_result_type_wrapperIS8_S9_N2at6native12_GLOBAL__N_110CustomProdEEEEE10hipError_tPvRmT0_T1_jT2_SQ_T4_T3_P12ihipStream_tbEUlT_E_NS1_11comp_targetILNS1_3genE4ELNS1_11target_archE910ELNS1_3gpuE8ELNS1_3repE0EEENS1_30default_config_static_selectorELNS0_4arch9wavefront6targetE0EEEvSP_.uses_flat_scratch, 0
	.set _ZN7rocprim17ROCPRIM_400000_NS6detail17trampoline_kernelINS0_14default_configENS1_32segmented_reduce_config_selectorIfEEZNS1_21segmented_reduce_implIS3_PKfPfPKifN6hipcub16HIPCUB_304000_NS6detail27convert_result_type_wrapperIS8_S9_N2at6native12_GLOBAL__N_110CustomProdEEEEE10hipError_tPvRmT0_T1_jT2_SQ_T4_T3_P12ihipStream_tbEUlT_E_NS1_11comp_targetILNS1_3genE4ELNS1_11target_archE910ELNS1_3gpuE8ELNS1_3repE0EEENS1_30default_config_static_selectorELNS0_4arch9wavefront6targetE0EEEvSP_.has_dyn_sized_stack, 0
	.set _ZN7rocprim17ROCPRIM_400000_NS6detail17trampoline_kernelINS0_14default_configENS1_32segmented_reduce_config_selectorIfEEZNS1_21segmented_reduce_implIS3_PKfPfPKifN6hipcub16HIPCUB_304000_NS6detail27convert_result_type_wrapperIS8_S9_N2at6native12_GLOBAL__N_110CustomProdEEEEE10hipError_tPvRmT0_T1_jT2_SQ_T4_T3_P12ihipStream_tbEUlT_E_NS1_11comp_targetILNS1_3genE4ELNS1_11target_archE910ELNS1_3gpuE8ELNS1_3repE0EEENS1_30default_config_static_selectorELNS0_4arch9wavefront6targetE0EEEvSP_.has_recursion, 0
	.set _ZN7rocprim17ROCPRIM_400000_NS6detail17trampoline_kernelINS0_14default_configENS1_32segmented_reduce_config_selectorIfEEZNS1_21segmented_reduce_implIS3_PKfPfPKifN6hipcub16HIPCUB_304000_NS6detail27convert_result_type_wrapperIS8_S9_N2at6native12_GLOBAL__N_110CustomProdEEEEE10hipError_tPvRmT0_T1_jT2_SQ_T4_T3_P12ihipStream_tbEUlT_E_NS1_11comp_targetILNS1_3genE4ELNS1_11target_archE910ELNS1_3gpuE8ELNS1_3repE0EEENS1_30default_config_static_selectorELNS0_4arch9wavefront6targetE0EEEvSP_.has_indirect_call, 0
	.section	.AMDGPU.csdata,"",@progbits
; Kernel info:
; codeLenInByte = 0
; TotalNumSgprs: 0
; NumVgprs: 0
; ScratchSize: 0
; MemoryBound: 0
; FloatMode: 240
; IeeeMode: 1
; LDSByteSize: 0 bytes/workgroup (compile time only)
; SGPRBlocks: 0
; VGPRBlocks: 0
; NumSGPRsForWavesPerEU: 1
; NumVGPRsForWavesPerEU: 1
; Occupancy: 16
; WaveLimiterHint : 0
; COMPUTE_PGM_RSRC2:SCRATCH_EN: 0
; COMPUTE_PGM_RSRC2:USER_SGPR: 6
; COMPUTE_PGM_RSRC2:TRAP_HANDLER: 0
; COMPUTE_PGM_RSRC2:TGID_X_EN: 1
; COMPUTE_PGM_RSRC2:TGID_Y_EN: 0
; COMPUTE_PGM_RSRC2:TGID_Z_EN: 0
; COMPUTE_PGM_RSRC2:TIDIG_COMP_CNT: 0
	.section	.text._ZN7rocprim17ROCPRIM_400000_NS6detail17trampoline_kernelINS0_14default_configENS1_32segmented_reduce_config_selectorIfEEZNS1_21segmented_reduce_implIS3_PKfPfPKifN6hipcub16HIPCUB_304000_NS6detail27convert_result_type_wrapperIS8_S9_N2at6native12_GLOBAL__N_110CustomProdEEEEE10hipError_tPvRmT0_T1_jT2_SQ_T4_T3_P12ihipStream_tbEUlT_E_NS1_11comp_targetILNS1_3genE3ELNS1_11target_archE908ELNS1_3gpuE7ELNS1_3repE0EEENS1_30default_config_static_selectorELNS0_4arch9wavefront6targetE0EEEvSP_,"axG",@progbits,_ZN7rocprim17ROCPRIM_400000_NS6detail17trampoline_kernelINS0_14default_configENS1_32segmented_reduce_config_selectorIfEEZNS1_21segmented_reduce_implIS3_PKfPfPKifN6hipcub16HIPCUB_304000_NS6detail27convert_result_type_wrapperIS8_S9_N2at6native12_GLOBAL__N_110CustomProdEEEEE10hipError_tPvRmT0_T1_jT2_SQ_T4_T3_P12ihipStream_tbEUlT_E_NS1_11comp_targetILNS1_3genE3ELNS1_11target_archE908ELNS1_3gpuE7ELNS1_3repE0EEENS1_30default_config_static_selectorELNS0_4arch9wavefront6targetE0EEEvSP_,comdat
	.globl	_ZN7rocprim17ROCPRIM_400000_NS6detail17trampoline_kernelINS0_14default_configENS1_32segmented_reduce_config_selectorIfEEZNS1_21segmented_reduce_implIS3_PKfPfPKifN6hipcub16HIPCUB_304000_NS6detail27convert_result_type_wrapperIS8_S9_N2at6native12_GLOBAL__N_110CustomProdEEEEE10hipError_tPvRmT0_T1_jT2_SQ_T4_T3_P12ihipStream_tbEUlT_E_NS1_11comp_targetILNS1_3genE3ELNS1_11target_archE908ELNS1_3gpuE7ELNS1_3repE0EEENS1_30default_config_static_selectorELNS0_4arch9wavefront6targetE0EEEvSP_ ; -- Begin function _ZN7rocprim17ROCPRIM_400000_NS6detail17trampoline_kernelINS0_14default_configENS1_32segmented_reduce_config_selectorIfEEZNS1_21segmented_reduce_implIS3_PKfPfPKifN6hipcub16HIPCUB_304000_NS6detail27convert_result_type_wrapperIS8_S9_N2at6native12_GLOBAL__N_110CustomProdEEEEE10hipError_tPvRmT0_T1_jT2_SQ_T4_T3_P12ihipStream_tbEUlT_E_NS1_11comp_targetILNS1_3genE3ELNS1_11target_archE908ELNS1_3gpuE7ELNS1_3repE0EEENS1_30default_config_static_selectorELNS0_4arch9wavefront6targetE0EEEvSP_
	.p2align	8
	.type	_ZN7rocprim17ROCPRIM_400000_NS6detail17trampoline_kernelINS0_14default_configENS1_32segmented_reduce_config_selectorIfEEZNS1_21segmented_reduce_implIS3_PKfPfPKifN6hipcub16HIPCUB_304000_NS6detail27convert_result_type_wrapperIS8_S9_N2at6native12_GLOBAL__N_110CustomProdEEEEE10hipError_tPvRmT0_T1_jT2_SQ_T4_T3_P12ihipStream_tbEUlT_E_NS1_11comp_targetILNS1_3genE3ELNS1_11target_archE908ELNS1_3gpuE7ELNS1_3repE0EEENS1_30default_config_static_selectorELNS0_4arch9wavefront6targetE0EEEvSP_,@function
_ZN7rocprim17ROCPRIM_400000_NS6detail17trampoline_kernelINS0_14default_configENS1_32segmented_reduce_config_selectorIfEEZNS1_21segmented_reduce_implIS3_PKfPfPKifN6hipcub16HIPCUB_304000_NS6detail27convert_result_type_wrapperIS8_S9_N2at6native12_GLOBAL__N_110CustomProdEEEEE10hipError_tPvRmT0_T1_jT2_SQ_T4_T3_P12ihipStream_tbEUlT_E_NS1_11comp_targetILNS1_3genE3ELNS1_11target_archE908ELNS1_3gpuE7ELNS1_3repE0EEENS1_30default_config_static_selectorELNS0_4arch9wavefront6targetE0EEEvSP_: ; @_ZN7rocprim17ROCPRIM_400000_NS6detail17trampoline_kernelINS0_14default_configENS1_32segmented_reduce_config_selectorIfEEZNS1_21segmented_reduce_implIS3_PKfPfPKifN6hipcub16HIPCUB_304000_NS6detail27convert_result_type_wrapperIS8_S9_N2at6native12_GLOBAL__N_110CustomProdEEEEE10hipError_tPvRmT0_T1_jT2_SQ_T4_T3_P12ihipStream_tbEUlT_E_NS1_11comp_targetILNS1_3genE3ELNS1_11target_archE908ELNS1_3gpuE7ELNS1_3repE0EEENS1_30default_config_static_selectorELNS0_4arch9wavefront6targetE0EEEvSP_
; %bb.0:
	.section	.rodata,"a",@progbits
	.p2align	6, 0x0
	.amdhsa_kernel _ZN7rocprim17ROCPRIM_400000_NS6detail17trampoline_kernelINS0_14default_configENS1_32segmented_reduce_config_selectorIfEEZNS1_21segmented_reduce_implIS3_PKfPfPKifN6hipcub16HIPCUB_304000_NS6detail27convert_result_type_wrapperIS8_S9_N2at6native12_GLOBAL__N_110CustomProdEEEEE10hipError_tPvRmT0_T1_jT2_SQ_T4_T3_P12ihipStream_tbEUlT_E_NS1_11comp_targetILNS1_3genE3ELNS1_11target_archE908ELNS1_3gpuE7ELNS1_3repE0EEENS1_30default_config_static_selectorELNS0_4arch9wavefront6targetE0EEEvSP_
		.amdhsa_group_segment_fixed_size 0
		.amdhsa_private_segment_fixed_size 0
		.amdhsa_kernarg_size 48
		.amdhsa_user_sgpr_count 6
		.amdhsa_user_sgpr_private_segment_buffer 1
		.amdhsa_user_sgpr_dispatch_ptr 0
		.amdhsa_user_sgpr_queue_ptr 0
		.amdhsa_user_sgpr_kernarg_segment_ptr 1
		.amdhsa_user_sgpr_dispatch_id 0
		.amdhsa_user_sgpr_flat_scratch_init 0
		.amdhsa_user_sgpr_private_segment_size 0
		.amdhsa_wavefront_size32 1
		.amdhsa_uses_dynamic_stack 0
		.amdhsa_system_sgpr_private_segment_wavefront_offset 0
		.amdhsa_system_sgpr_workgroup_id_x 1
		.amdhsa_system_sgpr_workgroup_id_y 0
		.amdhsa_system_sgpr_workgroup_id_z 0
		.amdhsa_system_sgpr_workgroup_info 0
		.amdhsa_system_vgpr_workitem_id 0
		.amdhsa_next_free_vgpr 1
		.amdhsa_next_free_sgpr 1
		.amdhsa_reserve_vcc 0
		.amdhsa_reserve_flat_scratch 0
		.amdhsa_float_round_mode_32 0
		.amdhsa_float_round_mode_16_64 0
		.amdhsa_float_denorm_mode_32 3
		.amdhsa_float_denorm_mode_16_64 3
		.amdhsa_dx10_clamp 1
		.amdhsa_ieee_mode 1
		.amdhsa_fp16_overflow 0
		.amdhsa_workgroup_processor_mode 1
		.amdhsa_memory_ordered 1
		.amdhsa_forward_progress 1
		.amdhsa_shared_vgpr_count 0
		.amdhsa_exception_fp_ieee_invalid_op 0
		.amdhsa_exception_fp_denorm_src 0
		.amdhsa_exception_fp_ieee_div_zero 0
		.amdhsa_exception_fp_ieee_overflow 0
		.amdhsa_exception_fp_ieee_underflow 0
		.amdhsa_exception_fp_ieee_inexact 0
		.amdhsa_exception_int_div_zero 0
	.end_amdhsa_kernel
	.section	.text._ZN7rocprim17ROCPRIM_400000_NS6detail17trampoline_kernelINS0_14default_configENS1_32segmented_reduce_config_selectorIfEEZNS1_21segmented_reduce_implIS3_PKfPfPKifN6hipcub16HIPCUB_304000_NS6detail27convert_result_type_wrapperIS8_S9_N2at6native12_GLOBAL__N_110CustomProdEEEEE10hipError_tPvRmT0_T1_jT2_SQ_T4_T3_P12ihipStream_tbEUlT_E_NS1_11comp_targetILNS1_3genE3ELNS1_11target_archE908ELNS1_3gpuE7ELNS1_3repE0EEENS1_30default_config_static_selectorELNS0_4arch9wavefront6targetE0EEEvSP_,"axG",@progbits,_ZN7rocprim17ROCPRIM_400000_NS6detail17trampoline_kernelINS0_14default_configENS1_32segmented_reduce_config_selectorIfEEZNS1_21segmented_reduce_implIS3_PKfPfPKifN6hipcub16HIPCUB_304000_NS6detail27convert_result_type_wrapperIS8_S9_N2at6native12_GLOBAL__N_110CustomProdEEEEE10hipError_tPvRmT0_T1_jT2_SQ_T4_T3_P12ihipStream_tbEUlT_E_NS1_11comp_targetILNS1_3genE3ELNS1_11target_archE908ELNS1_3gpuE7ELNS1_3repE0EEENS1_30default_config_static_selectorELNS0_4arch9wavefront6targetE0EEEvSP_,comdat
.Lfunc_end72:
	.size	_ZN7rocprim17ROCPRIM_400000_NS6detail17trampoline_kernelINS0_14default_configENS1_32segmented_reduce_config_selectorIfEEZNS1_21segmented_reduce_implIS3_PKfPfPKifN6hipcub16HIPCUB_304000_NS6detail27convert_result_type_wrapperIS8_S9_N2at6native12_GLOBAL__N_110CustomProdEEEEE10hipError_tPvRmT0_T1_jT2_SQ_T4_T3_P12ihipStream_tbEUlT_E_NS1_11comp_targetILNS1_3genE3ELNS1_11target_archE908ELNS1_3gpuE7ELNS1_3repE0EEENS1_30default_config_static_selectorELNS0_4arch9wavefront6targetE0EEEvSP_, .Lfunc_end72-_ZN7rocprim17ROCPRIM_400000_NS6detail17trampoline_kernelINS0_14default_configENS1_32segmented_reduce_config_selectorIfEEZNS1_21segmented_reduce_implIS3_PKfPfPKifN6hipcub16HIPCUB_304000_NS6detail27convert_result_type_wrapperIS8_S9_N2at6native12_GLOBAL__N_110CustomProdEEEEE10hipError_tPvRmT0_T1_jT2_SQ_T4_T3_P12ihipStream_tbEUlT_E_NS1_11comp_targetILNS1_3genE3ELNS1_11target_archE908ELNS1_3gpuE7ELNS1_3repE0EEENS1_30default_config_static_selectorELNS0_4arch9wavefront6targetE0EEEvSP_
                                        ; -- End function
	.set _ZN7rocprim17ROCPRIM_400000_NS6detail17trampoline_kernelINS0_14default_configENS1_32segmented_reduce_config_selectorIfEEZNS1_21segmented_reduce_implIS3_PKfPfPKifN6hipcub16HIPCUB_304000_NS6detail27convert_result_type_wrapperIS8_S9_N2at6native12_GLOBAL__N_110CustomProdEEEEE10hipError_tPvRmT0_T1_jT2_SQ_T4_T3_P12ihipStream_tbEUlT_E_NS1_11comp_targetILNS1_3genE3ELNS1_11target_archE908ELNS1_3gpuE7ELNS1_3repE0EEENS1_30default_config_static_selectorELNS0_4arch9wavefront6targetE0EEEvSP_.num_vgpr, 0
	.set _ZN7rocprim17ROCPRIM_400000_NS6detail17trampoline_kernelINS0_14default_configENS1_32segmented_reduce_config_selectorIfEEZNS1_21segmented_reduce_implIS3_PKfPfPKifN6hipcub16HIPCUB_304000_NS6detail27convert_result_type_wrapperIS8_S9_N2at6native12_GLOBAL__N_110CustomProdEEEEE10hipError_tPvRmT0_T1_jT2_SQ_T4_T3_P12ihipStream_tbEUlT_E_NS1_11comp_targetILNS1_3genE3ELNS1_11target_archE908ELNS1_3gpuE7ELNS1_3repE0EEENS1_30default_config_static_selectorELNS0_4arch9wavefront6targetE0EEEvSP_.num_agpr, 0
	.set _ZN7rocprim17ROCPRIM_400000_NS6detail17trampoline_kernelINS0_14default_configENS1_32segmented_reduce_config_selectorIfEEZNS1_21segmented_reduce_implIS3_PKfPfPKifN6hipcub16HIPCUB_304000_NS6detail27convert_result_type_wrapperIS8_S9_N2at6native12_GLOBAL__N_110CustomProdEEEEE10hipError_tPvRmT0_T1_jT2_SQ_T4_T3_P12ihipStream_tbEUlT_E_NS1_11comp_targetILNS1_3genE3ELNS1_11target_archE908ELNS1_3gpuE7ELNS1_3repE0EEENS1_30default_config_static_selectorELNS0_4arch9wavefront6targetE0EEEvSP_.numbered_sgpr, 0
	.set _ZN7rocprim17ROCPRIM_400000_NS6detail17trampoline_kernelINS0_14default_configENS1_32segmented_reduce_config_selectorIfEEZNS1_21segmented_reduce_implIS3_PKfPfPKifN6hipcub16HIPCUB_304000_NS6detail27convert_result_type_wrapperIS8_S9_N2at6native12_GLOBAL__N_110CustomProdEEEEE10hipError_tPvRmT0_T1_jT2_SQ_T4_T3_P12ihipStream_tbEUlT_E_NS1_11comp_targetILNS1_3genE3ELNS1_11target_archE908ELNS1_3gpuE7ELNS1_3repE0EEENS1_30default_config_static_selectorELNS0_4arch9wavefront6targetE0EEEvSP_.num_named_barrier, 0
	.set _ZN7rocprim17ROCPRIM_400000_NS6detail17trampoline_kernelINS0_14default_configENS1_32segmented_reduce_config_selectorIfEEZNS1_21segmented_reduce_implIS3_PKfPfPKifN6hipcub16HIPCUB_304000_NS6detail27convert_result_type_wrapperIS8_S9_N2at6native12_GLOBAL__N_110CustomProdEEEEE10hipError_tPvRmT0_T1_jT2_SQ_T4_T3_P12ihipStream_tbEUlT_E_NS1_11comp_targetILNS1_3genE3ELNS1_11target_archE908ELNS1_3gpuE7ELNS1_3repE0EEENS1_30default_config_static_selectorELNS0_4arch9wavefront6targetE0EEEvSP_.private_seg_size, 0
	.set _ZN7rocprim17ROCPRIM_400000_NS6detail17trampoline_kernelINS0_14default_configENS1_32segmented_reduce_config_selectorIfEEZNS1_21segmented_reduce_implIS3_PKfPfPKifN6hipcub16HIPCUB_304000_NS6detail27convert_result_type_wrapperIS8_S9_N2at6native12_GLOBAL__N_110CustomProdEEEEE10hipError_tPvRmT0_T1_jT2_SQ_T4_T3_P12ihipStream_tbEUlT_E_NS1_11comp_targetILNS1_3genE3ELNS1_11target_archE908ELNS1_3gpuE7ELNS1_3repE0EEENS1_30default_config_static_selectorELNS0_4arch9wavefront6targetE0EEEvSP_.uses_vcc, 0
	.set _ZN7rocprim17ROCPRIM_400000_NS6detail17trampoline_kernelINS0_14default_configENS1_32segmented_reduce_config_selectorIfEEZNS1_21segmented_reduce_implIS3_PKfPfPKifN6hipcub16HIPCUB_304000_NS6detail27convert_result_type_wrapperIS8_S9_N2at6native12_GLOBAL__N_110CustomProdEEEEE10hipError_tPvRmT0_T1_jT2_SQ_T4_T3_P12ihipStream_tbEUlT_E_NS1_11comp_targetILNS1_3genE3ELNS1_11target_archE908ELNS1_3gpuE7ELNS1_3repE0EEENS1_30default_config_static_selectorELNS0_4arch9wavefront6targetE0EEEvSP_.uses_flat_scratch, 0
	.set _ZN7rocprim17ROCPRIM_400000_NS6detail17trampoline_kernelINS0_14default_configENS1_32segmented_reduce_config_selectorIfEEZNS1_21segmented_reduce_implIS3_PKfPfPKifN6hipcub16HIPCUB_304000_NS6detail27convert_result_type_wrapperIS8_S9_N2at6native12_GLOBAL__N_110CustomProdEEEEE10hipError_tPvRmT0_T1_jT2_SQ_T4_T3_P12ihipStream_tbEUlT_E_NS1_11comp_targetILNS1_3genE3ELNS1_11target_archE908ELNS1_3gpuE7ELNS1_3repE0EEENS1_30default_config_static_selectorELNS0_4arch9wavefront6targetE0EEEvSP_.has_dyn_sized_stack, 0
	.set _ZN7rocprim17ROCPRIM_400000_NS6detail17trampoline_kernelINS0_14default_configENS1_32segmented_reduce_config_selectorIfEEZNS1_21segmented_reduce_implIS3_PKfPfPKifN6hipcub16HIPCUB_304000_NS6detail27convert_result_type_wrapperIS8_S9_N2at6native12_GLOBAL__N_110CustomProdEEEEE10hipError_tPvRmT0_T1_jT2_SQ_T4_T3_P12ihipStream_tbEUlT_E_NS1_11comp_targetILNS1_3genE3ELNS1_11target_archE908ELNS1_3gpuE7ELNS1_3repE0EEENS1_30default_config_static_selectorELNS0_4arch9wavefront6targetE0EEEvSP_.has_recursion, 0
	.set _ZN7rocprim17ROCPRIM_400000_NS6detail17trampoline_kernelINS0_14default_configENS1_32segmented_reduce_config_selectorIfEEZNS1_21segmented_reduce_implIS3_PKfPfPKifN6hipcub16HIPCUB_304000_NS6detail27convert_result_type_wrapperIS8_S9_N2at6native12_GLOBAL__N_110CustomProdEEEEE10hipError_tPvRmT0_T1_jT2_SQ_T4_T3_P12ihipStream_tbEUlT_E_NS1_11comp_targetILNS1_3genE3ELNS1_11target_archE908ELNS1_3gpuE7ELNS1_3repE0EEENS1_30default_config_static_selectorELNS0_4arch9wavefront6targetE0EEEvSP_.has_indirect_call, 0
	.section	.AMDGPU.csdata,"",@progbits
; Kernel info:
; codeLenInByte = 0
; TotalNumSgprs: 0
; NumVgprs: 0
; ScratchSize: 0
; MemoryBound: 0
; FloatMode: 240
; IeeeMode: 1
; LDSByteSize: 0 bytes/workgroup (compile time only)
; SGPRBlocks: 0
; VGPRBlocks: 0
; NumSGPRsForWavesPerEU: 1
; NumVGPRsForWavesPerEU: 1
; Occupancy: 16
; WaveLimiterHint : 0
; COMPUTE_PGM_RSRC2:SCRATCH_EN: 0
; COMPUTE_PGM_RSRC2:USER_SGPR: 6
; COMPUTE_PGM_RSRC2:TRAP_HANDLER: 0
; COMPUTE_PGM_RSRC2:TGID_X_EN: 1
; COMPUTE_PGM_RSRC2:TGID_Y_EN: 0
; COMPUTE_PGM_RSRC2:TGID_Z_EN: 0
; COMPUTE_PGM_RSRC2:TIDIG_COMP_CNT: 0
	.section	.text._ZN7rocprim17ROCPRIM_400000_NS6detail17trampoline_kernelINS0_14default_configENS1_32segmented_reduce_config_selectorIfEEZNS1_21segmented_reduce_implIS3_PKfPfPKifN6hipcub16HIPCUB_304000_NS6detail27convert_result_type_wrapperIS8_S9_N2at6native12_GLOBAL__N_110CustomProdEEEEE10hipError_tPvRmT0_T1_jT2_SQ_T4_T3_P12ihipStream_tbEUlT_E_NS1_11comp_targetILNS1_3genE2ELNS1_11target_archE906ELNS1_3gpuE6ELNS1_3repE0EEENS1_30default_config_static_selectorELNS0_4arch9wavefront6targetE0EEEvSP_,"axG",@progbits,_ZN7rocprim17ROCPRIM_400000_NS6detail17trampoline_kernelINS0_14default_configENS1_32segmented_reduce_config_selectorIfEEZNS1_21segmented_reduce_implIS3_PKfPfPKifN6hipcub16HIPCUB_304000_NS6detail27convert_result_type_wrapperIS8_S9_N2at6native12_GLOBAL__N_110CustomProdEEEEE10hipError_tPvRmT0_T1_jT2_SQ_T4_T3_P12ihipStream_tbEUlT_E_NS1_11comp_targetILNS1_3genE2ELNS1_11target_archE906ELNS1_3gpuE6ELNS1_3repE0EEENS1_30default_config_static_selectorELNS0_4arch9wavefront6targetE0EEEvSP_,comdat
	.globl	_ZN7rocprim17ROCPRIM_400000_NS6detail17trampoline_kernelINS0_14default_configENS1_32segmented_reduce_config_selectorIfEEZNS1_21segmented_reduce_implIS3_PKfPfPKifN6hipcub16HIPCUB_304000_NS6detail27convert_result_type_wrapperIS8_S9_N2at6native12_GLOBAL__N_110CustomProdEEEEE10hipError_tPvRmT0_T1_jT2_SQ_T4_T3_P12ihipStream_tbEUlT_E_NS1_11comp_targetILNS1_3genE2ELNS1_11target_archE906ELNS1_3gpuE6ELNS1_3repE0EEENS1_30default_config_static_selectorELNS0_4arch9wavefront6targetE0EEEvSP_ ; -- Begin function _ZN7rocprim17ROCPRIM_400000_NS6detail17trampoline_kernelINS0_14default_configENS1_32segmented_reduce_config_selectorIfEEZNS1_21segmented_reduce_implIS3_PKfPfPKifN6hipcub16HIPCUB_304000_NS6detail27convert_result_type_wrapperIS8_S9_N2at6native12_GLOBAL__N_110CustomProdEEEEE10hipError_tPvRmT0_T1_jT2_SQ_T4_T3_P12ihipStream_tbEUlT_E_NS1_11comp_targetILNS1_3genE2ELNS1_11target_archE906ELNS1_3gpuE6ELNS1_3repE0EEENS1_30default_config_static_selectorELNS0_4arch9wavefront6targetE0EEEvSP_
	.p2align	8
	.type	_ZN7rocprim17ROCPRIM_400000_NS6detail17trampoline_kernelINS0_14default_configENS1_32segmented_reduce_config_selectorIfEEZNS1_21segmented_reduce_implIS3_PKfPfPKifN6hipcub16HIPCUB_304000_NS6detail27convert_result_type_wrapperIS8_S9_N2at6native12_GLOBAL__N_110CustomProdEEEEE10hipError_tPvRmT0_T1_jT2_SQ_T4_T3_P12ihipStream_tbEUlT_E_NS1_11comp_targetILNS1_3genE2ELNS1_11target_archE906ELNS1_3gpuE6ELNS1_3repE0EEENS1_30default_config_static_selectorELNS0_4arch9wavefront6targetE0EEEvSP_,@function
_ZN7rocprim17ROCPRIM_400000_NS6detail17trampoline_kernelINS0_14default_configENS1_32segmented_reduce_config_selectorIfEEZNS1_21segmented_reduce_implIS3_PKfPfPKifN6hipcub16HIPCUB_304000_NS6detail27convert_result_type_wrapperIS8_S9_N2at6native12_GLOBAL__N_110CustomProdEEEEE10hipError_tPvRmT0_T1_jT2_SQ_T4_T3_P12ihipStream_tbEUlT_E_NS1_11comp_targetILNS1_3genE2ELNS1_11target_archE906ELNS1_3gpuE6ELNS1_3repE0EEENS1_30default_config_static_selectorELNS0_4arch9wavefront6targetE0EEEvSP_: ; @_ZN7rocprim17ROCPRIM_400000_NS6detail17trampoline_kernelINS0_14default_configENS1_32segmented_reduce_config_selectorIfEEZNS1_21segmented_reduce_implIS3_PKfPfPKifN6hipcub16HIPCUB_304000_NS6detail27convert_result_type_wrapperIS8_S9_N2at6native12_GLOBAL__N_110CustomProdEEEEE10hipError_tPvRmT0_T1_jT2_SQ_T4_T3_P12ihipStream_tbEUlT_E_NS1_11comp_targetILNS1_3genE2ELNS1_11target_archE906ELNS1_3gpuE6ELNS1_3repE0EEENS1_30default_config_static_selectorELNS0_4arch9wavefront6targetE0EEEvSP_
; %bb.0:
	.section	.rodata,"a",@progbits
	.p2align	6, 0x0
	.amdhsa_kernel _ZN7rocprim17ROCPRIM_400000_NS6detail17trampoline_kernelINS0_14default_configENS1_32segmented_reduce_config_selectorIfEEZNS1_21segmented_reduce_implIS3_PKfPfPKifN6hipcub16HIPCUB_304000_NS6detail27convert_result_type_wrapperIS8_S9_N2at6native12_GLOBAL__N_110CustomProdEEEEE10hipError_tPvRmT0_T1_jT2_SQ_T4_T3_P12ihipStream_tbEUlT_E_NS1_11comp_targetILNS1_3genE2ELNS1_11target_archE906ELNS1_3gpuE6ELNS1_3repE0EEENS1_30default_config_static_selectorELNS0_4arch9wavefront6targetE0EEEvSP_
		.amdhsa_group_segment_fixed_size 0
		.amdhsa_private_segment_fixed_size 0
		.amdhsa_kernarg_size 48
		.amdhsa_user_sgpr_count 6
		.amdhsa_user_sgpr_private_segment_buffer 1
		.amdhsa_user_sgpr_dispatch_ptr 0
		.amdhsa_user_sgpr_queue_ptr 0
		.amdhsa_user_sgpr_kernarg_segment_ptr 1
		.amdhsa_user_sgpr_dispatch_id 0
		.amdhsa_user_sgpr_flat_scratch_init 0
		.amdhsa_user_sgpr_private_segment_size 0
		.amdhsa_wavefront_size32 1
		.amdhsa_uses_dynamic_stack 0
		.amdhsa_system_sgpr_private_segment_wavefront_offset 0
		.amdhsa_system_sgpr_workgroup_id_x 1
		.amdhsa_system_sgpr_workgroup_id_y 0
		.amdhsa_system_sgpr_workgroup_id_z 0
		.amdhsa_system_sgpr_workgroup_info 0
		.amdhsa_system_vgpr_workitem_id 0
		.amdhsa_next_free_vgpr 1
		.amdhsa_next_free_sgpr 1
		.amdhsa_reserve_vcc 0
		.amdhsa_reserve_flat_scratch 0
		.amdhsa_float_round_mode_32 0
		.amdhsa_float_round_mode_16_64 0
		.amdhsa_float_denorm_mode_32 3
		.amdhsa_float_denorm_mode_16_64 3
		.amdhsa_dx10_clamp 1
		.amdhsa_ieee_mode 1
		.amdhsa_fp16_overflow 0
		.amdhsa_workgroup_processor_mode 1
		.amdhsa_memory_ordered 1
		.amdhsa_forward_progress 1
		.amdhsa_shared_vgpr_count 0
		.amdhsa_exception_fp_ieee_invalid_op 0
		.amdhsa_exception_fp_denorm_src 0
		.amdhsa_exception_fp_ieee_div_zero 0
		.amdhsa_exception_fp_ieee_overflow 0
		.amdhsa_exception_fp_ieee_underflow 0
		.amdhsa_exception_fp_ieee_inexact 0
		.amdhsa_exception_int_div_zero 0
	.end_amdhsa_kernel
	.section	.text._ZN7rocprim17ROCPRIM_400000_NS6detail17trampoline_kernelINS0_14default_configENS1_32segmented_reduce_config_selectorIfEEZNS1_21segmented_reduce_implIS3_PKfPfPKifN6hipcub16HIPCUB_304000_NS6detail27convert_result_type_wrapperIS8_S9_N2at6native12_GLOBAL__N_110CustomProdEEEEE10hipError_tPvRmT0_T1_jT2_SQ_T4_T3_P12ihipStream_tbEUlT_E_NS1_11comp_targetILNS1_3genE2ELNS1_11target_archE906ELNS1_3gpuE6ELNS1_3repE0EEENS1_30default_config_static_selectorELNS0_4arch9wavefront6targetE0EEEvSP_,"axG",@progbits,_ZN7rocprim17ROCPRIM_400000_NS6detail17trampoline_kernelINS0_14default_configENS1_32segmented_reduce_config_selectorIfEEZNS1_21segmented_reduce_implIS3_PKfPfPKifN6hipcub16HIPCUB_304000_NS6detail27convert_result_type_wrapperIS8_S9_N2at6native12_GLOBAL__N_110CustomProdEEEEE10hipError_tPvRmT0_T1_jT2_SQ_T4_T3_P12ihipStream_tbEUlT_E_NS1_11comp_targetILNS1_3genE2ELNS1_11target_archE906ELNS1_3gpuE6ELNS1_3repE0EEENS1_30default_config_static_selectorELNS0_4arch9wavefront6targetE0EEEvSP_,comdat
.Lfunc_end73:
	.size	_ZN7rocprim17ROCPRIM_400000_NS6detail17trampoline_kernelINS0_14default_configENS1_32segmented_reduce_config_selectorIfEEZNS1_21segmented_reduce_implIS3_PKfPfPKifN6hipcub16HIPCUB_304000_NS6detail27convert_result_type_wrapperIS8_S9_N2at6native12_GLOBAL__N_110CustomProdEEEEE10hipError_tPvRmT0_T1_jT2_SQ_T4_T3_P12ihipStream_tbEUlT_E_NS1_11comp_targetILNS1_3genE2ELNS1_11target_archE906ELNS1_3gpuE6ELNS1_3repE0EEENS1_30default_config_static_selectorELNS0_4arch9wavefront6targetE0EEEvSP_, .Lfunc_end73-_ZN7rocprim17ROCPRIM_400000_NS6detail17trampoline_kernelINS0_14default_configENS1_32segmented_reduce_config_selectorIfEEZNS1_21segmented_reduce_implIS3_PKfPfPKifN6hipcub16HIPCUB_304000_NS6detail27convert_result_type_wrapperIS8_S9_N2at6native12_GLOBAL__N_110CustomProdEEEEE10hipError_tPvRmT0_T1_jT2_SQ_T4_T3_P12ihipStream_tbEUlT_E_NS1_11comp_targetILNS1_3genE2ELNS1_11target_archE906ELNS1_3gpuE6ELNS1_3repE0EEENS1_30default_config_static_selectorELNS0_4arch9wavefront6targetE0EEEvSP_
                                        ; -- End function
	.set _ZN7rocprim17ROCPRIM_400000_NS6detail17trampoline_kernelINS0_14default_configENS1_32segmented_reduce_config_selectorIfEEZNS1_21segmented_reduce_implIS3_PKfPfPKifN6hipcub16HIPCUB_304000_NS6detail27convert_result_type_wrapperIS8_S9_N2at6native12_GLOBAL__N_110CustomProdEEEEE10hipError_tPvRmT0_T1_jT2_SQ_T4_T3_P12ihipStream_tbEUlT_E_NS1_11comp_targetILNS1_3genE2ELNS1_11target_archE906ELNS1_3gpuE6ELNS1_3repE0EEENS1_30default_config_static_selectorELNS0_4arch9wavefront6targetE0EEEvSP_.num_vgpr, 0
	.set _ZN7rocprim17ROCPRIM_400000_NS6detail17trampoline_kernelINS0_14default_configENS1_32segmented_reduce_config_selectorIfEEZNS1_21segmented_reduce_implIS3_PKfPfPKifN6hipcub16HIPCUB_304000_NS6detail27convert_result_type_wrapperIS8_S9_N2at6native12_GLOBAL__N_110CustomProdEEEEE10hipError_tPvRmT0_T1_jT2_SQ_T4_T3_P12ihipStream_tbEUlT_E_NS1_11comp_targetILNS1_3genE2ELNS1_11target_archE906ELNS1_3gpuE6ELNS1_3repE0EEENS1_30default_config_static_selectorELNS0_4arch9wavefront6targetE0EEEvSP_.num_agpr, 0
	.set _ZN7rocprim17ROCPRIM_400000_NS6detail17trampoline_kernelINS0_14default_configENS1_32segmented_reduce_config_selectorIfEEZNS1_21segmented_reduce_implIS3_PKfPfPKifN6hipcub16HIPCUB_304000_NS6detail27convert_result_type_wrapperIS8_S9_N2at6native12_GLOBAL__N_110CustomProdEEEEE10hipError_tPvRmT0_T1_jT2_SQ_T4_T3_P12ihipStream_tbEUlT_E_NS1_11comp_targetILNS1_3genE2ELNS1_11target_archE906ELNS1_3gpuE6ELNS1_3repE0EEENS1_30default_config_static_selectorELNS0_4arch9wavefront6targetE0EEEvSP_.numbered_sgpr, 0
	.set _ZN7rocprim17ROCPRIM_400000_NS6detail17trampoline_kernelINS0_14default_configENS1_32segmented_reduce_config_selectorIfEEZNS1_21segmented_reduce_implIS3_PKfPfPKifN6hipcub16HIPCUB_304000_NS6detail27convert_result_type_wrapperIS8_S9_N2at6native12_GLOBAL__N_110CustomProdEEEEE10hipError_tPvRmT0_T1_jT2_SQ_T4_T3_P12ihipStream_tbEUlT_E_NS1_11comp_targetILNS1_3genE2ELNS1_11target_archE906ELNS1_3gpuE6ELNS1_3repE0EEENS1_30default_config_static_selectorELNS0_4arch9wavefront6targetE0EEEvSP_.num_named_barrier, 0
	.set _ZN7rocprim17ROCPRIM_400000_NS6detail17trampoline_kernelINS0_14default_configENS1_32segmented_reduce_config_selectorIfEEZNS1_21segmented_reduce_implIS3_PKfPfPKifN6hipcub16HIPCUB_304000_NS6detail27convert_result_type_wrapperIS8_S9_N2at6native12_GLOBAL__N_110CustomProdEEEEE10hipError_tPvRmT0_T1_jT2_SQ_T4_T3_P12ihipStream_tbEUlT_E_NS1_11comp_targetILNS1_3genE2ELNS1_11target_archE906ELNS1_3gpuE6ELNS1_3repE0EEENS1_30default_config_static_selectorELNS0_4arch9wavefront6targetE0EEEvSP_.private_seg_size, 0
	.set _ZN7rocprim17ROCPRIM_400000_NS6detail17trampoline_kernelINS0_14default_configENS1_32segmented_reduce_config_selectorIfEEZNS1_21segmented_reduce_implIS3_PKfPfPKifN6hipcub16HIPCUB_304000_NS6detail27convert_result_type_wrapperIS8_S9_N2at6native12_GLOBAL__N_110CustomProdEEEEE10hipError_tPvRmT0_T1_jT2_SQ_T4_T3_P12ihipStream_tbEUlT_E_NS1_11comp_targetILNS1_3genE2ELNS1_11target_archE906ELNS1_3gpuE6ELNS1_3repE0EEENS1_30default_config_static_selectorELNS0_4arch9wavefront6targetE0EEEvSP_.uses_vcc, 0
	.set _ZN7rocprim17ROCPRIM_400000_NS6detail17trampoline_kernelINS0_14default_configENS1_32segmented_reduce_config_selectorIfEEZNS1_21segmented_reduce_implIS3_PKfPfPKifN6hipcub16HIPCUB_304000_NS6detail27convert_result_type_wrapperIS8_S9_N2at6native12_GLOBAL__N_110CustomProdEEEEE10hipError_tPvRmT0_T1_jT2_SQ_T4_T3_P12ihipStream_tbEUlT_E_NS1_11comp_targetILNS1_3genE2ELNS1_11target_archE906ELNS1_3gpuE6ELNS1_3repE0EEENS1_30default_config_static_selectorELNS0_4arch9wavefront6targetE0EEEvSP_.uses_flat_scratch, 0
	.set _ZN7rocprim17ROCPRIM_400000_NS6detail17trampoline_kernelINS0_14default_configENS1_32segmented_reduce_config_selectorIfEEZNS1_21segmented_reduce_implIS3_PKfPfPKifN6hipcub16HIPCUB_304000_NS6detail27convert_result_type_wrapperIS8_S9_N2at6native12_GLOBAL__N_110CustomProdEEEEE10hipError_tPvRmT0_T1_jT2_SQ_T4_T3_P12ihipStream_tbEUlT_E_NS1_11comp_targetILNS1_3genE2ELNS1_11target_archE906ELNS1_3gpuE6ELNS1_3repE0EEENS1_30default_config_static_selectorELNS0_4arch9wavefront6targetE0EEEvSP_.has_dyn_sized_stack, 0
	.set _ZN7rocprim17ROCPRIM_400000_NS6detail17trampoline_kernelINS0_14default_configENS1_32segmented_reduce_config_selectorIfEEZNS1_21segmented_reduce_implIS3_PKfPfPKifN6hipcub16HIPCUB_304000_NS6detail27convert_result_type_wrapperIS8_S9_N2at6native12_GLOBAL__N_110CustomProdEEEEE10hipError_tPvRmT0_T1_jT2_SQ_T4_T3_P12ihipStream_tbEUlT_E_NS1_11comp_targetILNS1_3genE2ELNS1_11target_archE906ELNS1_3gpuE6ELNS1_3repE0EEENS1_30default_config_static_selectorELNS0_4arch9wavefront6targetE0EEEvSP_.has_recursion, 0
	.set _ZN7rocprim17ROCPRIM_400000_NS6detail17trampoline_kernelINS0_14default_configENS1_32segmented_reduce_config_selectorIfEEZNS1_21segmented_reduce_implIS3_PKfPfPKifN6hipcub16HIPCUB_304000_NS6detail27convert_result_type_wrapperIS8_S9_N2at6native12_GLOBAL__N_110CustomProdEEEEE10hipError_tPvRmT0_T1_jT2_SQ_T4_T3_P12ihipStream_tbEUlT_E_NS1_11comp_targetILNS1_3genE2ELNS1_11target_archE906ELNS1_3gpuE6ELNS1_3repE0EEENS1_30default_config_static_selectorELNS0_4arch9wavefront6targetE0EEEvSP_.has_indirect_call, 0
	.section	.AMDGPU.csdata,"",@progbits
; Kernel info:
; codeLenInByte = 0
; TotalNumSgprs: 0
; NumVgprs: 0
; ScratchSize: 0
; MemoryBound: 0
; FloatMode: 240
; IeeeMode: 1
; LDSByteSize: 0 bytes/workgroup (compile time only)
; SGPRBlocks: 0
; VGPRBlocks: 0
; NumSGPRsForWavesPerEU: 1
; NumVGPRsForWavesPerEU: 1
; Occupancy: 16
; WaveLimiterHint : 0
; COMPUTE_PGM_RSRC2:SCRATCH_EN: 0
; COMPUTE_PGM_RSRC2:USER_SGPR: 6
; COMPUTE_PGM_RSRC2:TRAP_HANDLER: 0
; COMPUTE_PGM_RSRC2:TGID_X_EN: 1
; COMPUTE_PGM_RSRC2:TGID_Y_EN: 0
; COMPUTE_PGM_RSRC2:TGID_Z_EN: 0
; COMPUTE_PGM_RSRC2:TIDIG_COMP_CNT: 0
	.section	.text._ZN7rocprim17ROCPRIM_400000_NS6detail17trampoline_kernelINS0_14default_configENS1_32segmented_reduce_config_selectorIfEEZNS1_21segmented_reduce_implIS3_PKfPfPKifN6hipcub16HIPCUB_304000_NS6detail27convert_result_type_wrapperIS8_S9_N2at6native12_GLOBAL__N_110CustomProdEEEEE10hipError_tPvRmT0_T1_jT2_SQ_T4_T3_P12ihipStream_tbEUlT_E_NS1_11comp_targetILNS1_3genE9ELNS1_11target_archE1100ELNS1_3gpuE3ELNS1_3repE0EEENS1_30default_config_static_selectorELNS0_4arch9wavefront6targetE0EEEvSP_,"axG",@progbits,_ZN7rocprim17ROCPRIM_400000_NS6detail17trampoline_kernelINS0_14default_configENS1_32segmented_reduce_config_selectorIfEEZNS1_21segmented_reduce_implIS3_PKfPfPKifN6hipcub16HIPCUB_304000_NS6detail27convert_result_type_wrapperIS8_S9_N2at6native12_GLOBAL__N_110CustomProdEEEEE10hipError_tPvRmT0_T1_jT2_SQ_T4_T3_P12ihipStream_tbEUlT_E_NS1_11comp_targetILNS1_3genE9ELNS1_11target_archE1100ELNS1_3gpuE3ELNS1_3repE0EEENS1_30default_config_static_selectorELNS0_4arch9wavefront6targetE0EEEvSP_,comdat
	.globl	_ZN7rocprim17ROCPRIM_400000_NS6detail17trampoline_kernelINS0_14default_configENS1_32segmented_reduce_config_selectorIfEEZNS1_21segmented_reduce_implIS3_PKfPfPKifN6hipcub16HIPCUB_304000_NS6detail27convert_result_type_wrapperIS8_S9_N2at6native12_GLOBAL__N_110CustomProdEEEEE10hipError_tPvRmT0_T1_jT2_SQ_T4_T3_P12ihipStream_tbEUlT_E_NS1_11comp_targetILNS1_3genE9ELNS1_11target_archE1100ELNS1_3gpuE3ELNS1_3repE0EEENS1_30default_config_static_selectorELNS0_4arch9wavefront6targetE0EEEvSP_ ; -- Begin function _ZN7rocprim17ROCPRIM_400000_NS6detail17trampoline_kernelINS0_14default_configENS1_32segmented_reduce_config_selectorIfEEZNS1_21segmented_reduce_implIS3_PKfPfPKifN6hipcub16HIPCUB_304000_NS6detail27convert_result_type_wrapperIS8_S9_N2at6native12_GLOBAL__N_110CustomProdEEEEE10hipError_tPvRmT0_T1_jT2_SQ_T4_T3_P12ihipStream_tbEUlT_E_NS1_11comp_targetILNS1_3genE9ELNS1_11target_archE1100ELNS1_3gpuE3ELNS1_3repE0EEENS1_30default_config_static_selectorELNS0_4arch9wavefront6targetE0EEEvSP_
	.p2align	8
	.type	_ZN7rocprim17ROCPRIM_400000_NS6detail17trampoline_kernelINS0_14default_configENS1_32segmented_reduce_config_selectorIfEEZNS1_21segmented_reduce_implIS3_PKfPfPKifN6hipcub16HIPCUB_304000_NS6detail27convert_result_type_wrapperIS8_S9_N2at6native12_GLOBAL__N_110CustomProdEEEEE10hipError_tPvRmT0_T1_jT2_SQ_T4_T3_P12ihipStream_tbEUlT_E_NS1_11comp_targetILNS1_3genE9ELNS1_11target_archE1100ELNS1_3gpuE3ELNS1_3repE0EEENS1_30default_config_static_selectorELNS0_4arch9wavefront6targetE0EEEvSP_,@function
_ZN7rocprim17ROCPRIM_400000_NS6detail17trampoline_kernelINS0_14default_configENS1_32segmented_reduce_config_selectorIfEEZNS1_21segmented_reduce_implIS3_PKfPfPKifN6hipcub16HIPCUB_304000_NS6detail27convert_result_type_wrapperIS8_S9_N2at6native12_GLOBAL__N_110CustomProdEEEEE10hipError_tPvRmT0_T1_jT2_SQ_T4_T3_P12ihipStream_tbEUlT_E_NS1_11comp_targetILNS1_3genE9ELNS1_11target_archE1100ELNS1_3gpuE3ELNS1_3repE0EEENS1_30default_config_static_selectorELNS0_4arch9wavefront6targetE0EEEvSP_: ; @_ZN7rocprim17ROCPRIM_400000_NS6detail17trampoline_kernelINS0_14default_configENS1_32segmented_reduce_config_selectorIfEEZNS1_21segmented_reduce_implIS3_PKfPfPKifN6hipcub16HIPCUB_304000_NS6detail27convert_result_type_wrapperIS8_S9_N2at6native12_GLOBAL__N_110CustomProdEEEEE10hipError_tPvRmT0_T1_jT2_SQ_T4_T3_P12ihipStream_tbEUlT_E_NS1_11comp_targetILNS1_3genE9ELNS1_11target_archE1100ELNS1_3gpuE3ELNS1_3repE0EEENS1_30default_config_static_selectorELNS0_4arch9wavefront6targetE0EEEvSP_
; %bb.0:
	.section	.rodata,"a",@progbits
	.p2align	6, 0x0
	.amdhsa_kernel _ZN7rocprim17ROCPRIM_400000_NS6detail17trampoline_kernelINS0_14default_configENS1_32segmented_reduce_config_selectorIfEEZNS1_21segmented_reduce_implIS3_PKfPfPKifN6hipcub16HIPCUB_304000_NS6detail27convert_result_type_wrapperIS8_S9_N2at6native12_GLOBAL__N_110CustomProdEEEEE10hipError_tPvRmT0_T1_jT2_SQ_T4_T3_P12ihipStream_tbEUlT_E_NS1_11comp_targetILNS1_3genE9ELNS1_11target_archE1100ELNS1_3gpuE3ELNS1_3repE0EEENS1_30default_config_static_selectorELNS0_4arch9wavefront6targetE0EEEvSP_
		.amdhsa_group_segment_fixed_size 0
		.amdhsa_private_segment_fixed_size 0
		.amdhsa_kernarg_size 48
		.amdhsa_user_sgpr_count 6
		.amdhsa_user_sgpr_private_segment_buffer 1
		.amdhsa_user_sgpr_dispatch_ptr 0
		.amdhsa_user_sgpr_queue_ptr 0
		.amdhsa_user_sgpr_kernarg_segment_ptr 1
		.amdhsa_user_sgpr_dispatch_id 0
		.amdhsa_user_sgpr_flat_scratch_init 0
		.amdhsa_user_sgpr_private_segment_size 0
		.amdhsa_wavefront_size32 1
		.amdhsa_uses_dynamic_stack 0
		.amdhsa_system_sgpr_private_segment_wavefront_offset 0
		.amdhsa_system_sgpr_workgroup_id_x 1
		.amdhsa_system_sgpr_workgroup_id_y 0
		.amdhsa_system_sgpr_workgroup_id_z 0
		.amdhsa_system_sgpr_workgroup_info 0
		.amdhsa_system_vgpr_workitem_id 0
		.amdhsa_next_free_vgpr 1
		.amdhsa_next_free_sgpr 1
		.amdhsa_reserve_vcc 0
		.amdhsa_reserve_flat_scratch 0
		.amdhsa_float_round_mode_32 0
		.amdhsa_float_round_mode_16_64 0
		.amdhsa_float_denorm_mode_32 3
		.amdhsa_float_denorm_mode_16_64 3
		.amdhsa_dx10_clamp 1
		.amdhsa_ieee_mode 1
		.amdhsa_fp16_overflow 0
		.amdhsa_workgroup_processor_mode 1
		.amdhsa_memory_ordered 1
		.amdhsa_forward_progress 1
		.amdhsa_shared_vgpr_count 0
		.amdhsa_exception_fp_ieee_invalid_op 0
		.amdhsa_exception_fp_denorm_src 0
		.amdhsa_exception_fp_ieee_div_zero 0
		.amdhsa_exception_fp_ieee_overflow 0
		.amdhsa_exception_fp_ieee_underflow 0
		.amdhsa_exception_fp_ieee_inexact 0
		.amdhsa_exception_int_div_zero 0
	.end_amdhsa_kernel
	.section	.text._ZN7rocprim17ROCPRIM_400000_NS6detail17trampoline_kernelINS0_14default_configENS1_32segmented_reduce_config_selectorIfEEZNS1_21segmented_reduce_implIS3_PKfPfPKifN6hipcub16HIPCUB_304000_NS6detail27convert_result_type_wrapperIS8_S9_N2at6native12_GLOBAL__N_110CustomProdEEEEE10hipError_tPvRmT0_T1_jT2_SQ_T4_T3_P12ihipStream_tbEUlT_E_NS1_11comp_targetILNS1_3genE9ELNS1_11target_archE1100ELNS1_3gpuE3ELNS1_3repE0EEENS1_30default_config_static_selectorELNS0_4arch9wavefront6targetE0EEEvSP_,"axG",@progbits,_ZN7rocprim17ROCPRIM_400000_NS6detail17trampoline_kernelINS0_14default_configENS1_32segmented_reduce_config_selectorIfEEZNS1_21segmented_reduce_implIS3_PKfPfPKifN6hipcub16HIPCUB_304000_NS6detail27convert_result_type_wrapperIS8_S9_N2at6native12_GLOBAL__N_110CustomProdEEEEE10hipError_tPvRmT0_T1_jT2_SQ_T4_T3_P12ihipStream_tbEUlT_E_NS1_11comp_targetILNS1_3genE9ELNS1_11target_archE1100ELNS1_3gpuE3ELNS1_3repE0EEENS1_30default_config_static_selectorELNS0_4arch9wavefront6targetE0EEEvSP_,comdat
.Lfunc_end74:
	.size	_ZN7rocprim17ROCPRIM_400000_NS6detail17trampoline_kernelINS0_14default_configENS1_32segmented_reduce_config_selectorIfEEZNS1_21segmented_reduce_implIS3_PKfPfPKifN6hipcub16HIPCUB_304000_NS6detail27convert_result_type_wrapperIS8_S9_N2at6native12_GLOBAL__N_110CustomProdEEEEE10hipError_tPvRmT0_T1_jT2_SQ_T4_T3_P12ihipStream_tbEUlT_E_NS1_11comp_targetILNS1_3genE9ELNS1_11target_archE1100ELNS1_3gpuE3ELNS1_3repE0EEENS1_30default_config_static_selectorELNS0_4arch9wavefront6targetE0EEEvSP_, .Lfunc_end74-_ZN7rocprim17ROCPRIM_400000_NS6detail17trampoline_kernelINS0_14default_configENS1_32segmented_reduce_config_selectorIfEEZNS1_21segmented_reduce_implIS3_PKfPfPKifN6hipcub16HIPCUB_304000_NS6detail27convert_result_type_wrapperIS8_S9_N2at6native12_GLOBAL__N_110CustomProdEEEEE10hipError_tPvRmT0_T1_jT2_SQ_T4_T3_P12ihipStream_tbEUlT_E_NS1_11comp_targetILNS1_3genE9ELNS1_11target_archE1100ELNS1_3gpuE3ELNS1_3repE0EEENS1_30default_config_static_selectorELNS0_4arch9wavefront6targetE0EEEvSP_
                                        ; -- End function
	.set _ZN7rocprim17ROCPRIM_400000_NS6detail17trampoline_kernelINS0_14default_configENS1_32segmented_reduce_config_selectorIfEEZNS1_21segmented_reduce_implIS3_PKfPfPKifN6hipcub16HIPCUB_304000_NS6detail27convert_result_type_wrapperIS8_S9_N2at6native12_GLOBAL__N_110CustomProdEEEEE10hipError_tPvRmT0_T1_jT2_SQ_T4_T3_P12ihipStream_tbEUlT_E_NS1_11comp_targetILNS1_3genE9ELNS1_11target_archE1100ELNS1_3gpuE3ELNS1_3repE0EEENS1_30default_config_static_selectorELNS0_4arch9wavefront6targetE0EEEvSP_.num_vgpr, 0
	.set _ZN7rocprim17ROCPRIM_400000_NS6detail17trampoline_kernelINS0_14default_configENS1_32segmented_reduce_config_selectorIfEEZNS1_21segmented_reduce_implIS3_PKfPfPKifN6hipcub16HIPCUB_304000_NS6detail27convert_result_type_wrapperIS8_S9_N2at6native12_GLOBAL__N_110CustomProdEEEEE10hipError_tPvRmT0_T1_jT2_SQ_T4_T3_P12ihipStream_tbEUlT_E_NS1_11comp_targetILNS1_3genE9ELNS1_11target_archE1100ELNS1_3gpuE3ELNS1_3repE0EEENS1_30default_config_static_selectorELNS0_4arch9wavefront6targetE0EEEvSP_.num_agpr, 0
	.set _ZN7rocprim17ROCPRIM_400000_NS6detail17trampoline_kernelINS0_14default_configENS1_32segmented_reduce_config_selectorIfEEZNS1_21segmented_reduce_implIS3_PKfPfPKifN6hipcub16HIPCUB_304000_NS6detail27convert_result_type_wrapperIS8_S9_N2at6native12_GLOBAL__N_110CustomProdEEEEE10hipError_tPvRmT0_T1_jT2_SQ_T4_T3_P12ihipStream_tbEUlT_E_NS1_11comp_targetILNS1_3genE9ELNS1_11target_archE1100ELNS1_3gpuE3ELNS1_3repE0EEENS1_30default_config_static_selectorELNS0_4arch9wavefront6targetE0EEEvSP_.numbered_sgpr, 0
	.set _ZN7rocprim17ROCPRIM_400000_NS6detail17trampoline_kernelINS0_14default_configENS1_32segmented_reduce_config_selectorIfEEZNS1_21segmented_reduce_implIS3_PKfPfPKifN6hipcub16HIPCUB_304000_NS6detail27convert_result_type_wrapperIS8_S9_N2at6native12_GLOBAL__N_110CustomProdEEEEE10hipError_tPvRmT0_T1_jT2_SQ_T4_T3_P12ihipStream_tbEUlT_E_NS1_11comp_targetILNS1_3genE9ELNS1_11target_archE1100ELNS1_3gpuE3ELNS1_3repE0EEENS1_30default_config_static_selectorELNS0_4arch9wavefront6targetE0EEEvSP_.num_named_barrier, 0
	.set _ZN7rocprim17ROCPRIM_400000_NS6detail17trampoline_kernelINS0_14default_configENS1_32segmented_reduce_config_selectorIfEEZNS1_21segmented_reduce_implIS3_PKfPfPKifN6hipcub16HIPCUB_304000_NS6detail27convert_result_type_wrapperIS8_S9_N2at6native12_GLOBAL__N_110CustomProdEEEEE10hipError_tPvRmT0_T1_jT2_SQ_T4_T3_P12ihipStream_tbEUlT_E_NS1_11comp_targetILNS1_3genE9ELNS1_11target_archE1100ELNS1_3gpuE3ELNS1_3repE0EEENS1_30default_config_static_selectorELNS0_4arch9wavefront6targetE0EEEvSP_.private_seg_size, 0
	.set _ZN7rocprim17ROCPRIM_400000_NS6detail17trampoline_kernelINS0_14default_configENS1_32segmented_reduce_config_selectorIfEEZNS1_21segmented_reduce_implIS3_PKfPfPKifN6hipcub16HIPCUB_304000_NS6detail27convert_result_type_wrapperIS8_S9_N2at6native12_GLOBAL__N_110CustomProdEEEEE10hipError_tPvRmT0_T1_jT2_SQ_T4_T3_P12ihipStream_tbEUlT_E_NS1_11comp_targetILNS1_3genE9ELNS1_11target_archE1100ELNS1_3gpuE3ELNS1_3repE0EEENS1_30default_config_static_selectorELNS0_4arch9wavefront6targetE0EEEvSP_.uses_vcc, 0
	.set _ZN7rocprim17ROCPRIM_400000_NS6detail17trampoline_kernelINS0_14default_configENS1_32segmented_reduce_config_selectorIfEEZNS1_21segmented_reduce_implIS3_PKfPfPKifN6hipcub16HIPCUB_304000_NS6detail27convert_result_type_wrapperIS8_S9_N2at6native12_GLOBAL__N_110CustomProdEEEEE10hipError_tPvRmT0_T1_jT2_SQ_T4_T3_P12ihipStream_tbEUlT_E_NS1_11comp_targetILNS1_3genE9ELNS1_11target_archE1100ELNS1_3gpuE3ELNS1_3repE0EEENS1_30default_config_static_selectorELNS0_4arch9wavefront6targetE0EEEvSP_.uses_flat_scratch, 0
	.set _ZN7rocprim17ROCPRIM_400000_NS6detail17trampoline_kernelINS0_14default_configENS1_32segmented_reduce_config_selectorIfEEZNS1_21segmented_reduce_implIS3_PKfPfPKifN6hipcub16HIPCUB_304000_NS6detail27convert_result_type_wrapperIS8_S9_N2at6native12_GLOBAL__N_110CustomProdEEEEE10hipError_tPvRmT0_T1_jT2_SQ_T4_T3_P12ihipStream_tbEUlT_E_NS1_11comp_targetILNS1_3genE9ELNS1_11target_archE1100ELNS1_3gpuE3ELNS1_3repE0EEENS1_30default_config_static_selectorELNS0_4arch9wavefront6targetE0EEEvSP_.has_dyn_sized_stack, 0
	.set _ZN7rocprim17ROCPRIM_400000_NS6detail17trampoline_kernelINS0_14default_configENS1_32segmented_reduce_config_selectorIfEEZNS1_21segmented_reduce_implIS3_PKfPfPKifN6hipcub16HIPCUB_304000_NS6detail27convert_result_type_wrapperIS8_S9_N2at6native12_GLOBAL__N_110CustomProdEEEEE10hipError_tPvRmT0_T1_jT2_SQ_T4_T3_P12ihipStream_tbEUlT_E_NS1_11comp_targetILNS1_3genE9ELNS1_11target_archE1100ELNS1_3gpuE3ELNS1_3repE0EEENS1_30default_config_static_selectorELNS0_4arch9wavefront6targetE0EEEvSP_.has_recursion, 0
	.set _ZN7rocprim17ROCPRIM_400000_NS6detail17trampoline_kernelINS0_14default_configENS1_32segmented_reduce_config_selectorIfEEZNS1_21segmented_reduce_implIS3_PKfPfPKifN6hipcub16HIPCUB_304000_NS6detail27convert_result_type_wrapperIS8_S9_N2at6native12_GLOBAL__N_110CustomProdEEEEE10hipError_tPvRmT0_T1_jT2_SQ_T4_T3_P12ihipStream_tbEUlT_E_NS1_11comp_targetILNS1_3genE9ELNS1_11target_archE1100ELNS1_3gpuE3ELNS1_3repE0EEENS1_30default_config_static_selectorELNS0_4arch9wavefront6targetE0EEEvSP_.has_indirect_call, 0
	.section	.AMDGPU.csdata,"",@progbits
; Kernel info:
; codeLenInByte = 0
; TotalNumSgprs: 0
; NumVgprs: 0
; ScratchSize: 0
; MemoryBound: 0
; FloatMode: 240
; IeeeMode: 1
; LDSByteSize: 0 bytes/workgroup (compile time only)
; SGPRBlocks: 0
; VGPRBlocks: 0
; NumSGPRsForWavesPerEU: 1
; NumVGPRsForWavesPerEU: 1
; Occupancy: 16
; WaveLimiterHint : 0
; COMPUTE_PGM_RSRC2:SCRATCH_EN: 0
; COMPUTE_PGM_RSRC2:USER_SGPR: 6
; COMPUTE_PGM_RSRC2:TRAP_HANDLER: 0
; COMPUTE_PGM_RSRC2:TGID_X_EN: 1
; COMPUTE_PGM_RSRC2:TGID_Y_EN: 0
; COMPUTE_PGM_RSRC2:TGID_Z_EN: 0
; COMPUTE_PGM_RSRC2:TIDIG_COMP_CNT: 0
	.section	.text._ZN7rocprim17ROCPRIM_400000_NS6detail17trampoline_kernelINS0_14default_configENS1_32segmented_reduce_config_selectorIfEEZNS1_21segmented_reduce_implIS3_PKfPfPKifN6hipcub16HIPCUB_304000_NS6detail27convert_result_type_wrapperIS8_S9_N2at6native12_GLOBAL__N_110CustomProdEEEEE10hipError_tPvRmT0_T1_jT2_SQ_T4_T3_P12ihipStream_tbEUlT_E_NS1_11comp_targetILNS1_3genE8ELNS1_11target_archE1030ELNS1_3gpuE2ELNS1_3repE0EEENS1_30default_config_static_selectorELNS0_4arch9wavefront6targetE0EEEvSP_,"axG",@progbits,_ZN7rocprim17ROCPRIM_400000_NS6detail17trampoline_kernelINS0_14default_configENS1_32segmented_reduce_config_selectorIfEEZNS1_21segmented_reduce_implIS3_PKfPfPKifN6hipcub16HIPCUB_304000_NS6detail27convert_result_type_wrapperIS8_S9_N2at6native12_GLOBAL__N_110CustomProdEEEEE10hipError_tPvRmT0_T1_jT2_SQ_T4_T3_P12ihipStream_tbEUlT_E_NS1_11comp_targetILNS1_3genE8ELNS1_11target_archE1030ELNS1_3gpuE2ELNS1_3repE0EEENS1_30default_config_static_selectorELNS0_4arch9wavefront6targetE0EEEvSP_,comdat
	.globl	_ZN7rocprim17ROCPRIM_400000_NS6detail17trampoline_kernelINS0_14default_configENS1_32segmented_reduce_config_selectorIfEEZNS1_21segmented_reduce_implIS3_PKfPfPKifN6hipcub16HIPCUB_304000_NS6detail27convert_result_type_wrapperIS8_S9_N2at6native12_GLOBAL__N_110CustomProdEEEEE10hipError_tPvRmT0_T1_jT2_SQ_T4_T3_P12ihipStream_tbEUlT_E_NS1_11comp_targetILNS1_3genE8ELNS1_11target_archE1030ELNS1_3gpuE2ELNS1_3repE0EEENS1_30default_config_static_selectorELNS0_4arch9wavefront6targetE0EEEvSP_ ; -- Begin function _ZN7rocprim17ROCPRIM_400000_NS6detail17trampoline_kernelINS0_14default_configENS1_32segmented_reduce_config_selectorIfEEZNS1_21segmented_reduce_implIS3_PKfPfPKifN6hipcub16HIPCUB_304000_NS6detail27convert_result_type_wrapperIS8_S9_N2at6native12_GLOBAL__N_110CustomProdEEEEE10hipError_tPvRmT0_T1_jT2_SQ_T4_T3_P12ihipStream_tbEUlT_E_NS1_11comp_targetILNS1_3genE8ELNS1_11target_archE1030ELNS1_3gpuE2ELNS1_3repE0EEENS1_30default_config_static_selectorELNS0_4arch9wavefront6targetE0EEEvSP_
	.p2align	8
	.type	_ZN7rocprim17ROCPRIM_400000_NS6detail17trampoline_kernelINS0_14default_configENS1_32segmented_reduce_config_selectorIfEEZNS1_21segmented_reduce_implIS3_PKfPfPKifN6hipcub16HIPCUB_304000_NS6detail27convert_result_type_wrapperIS8_S9_N2at6native12_GLOBAL__N_110CustomProdEEEEE10hipError_tPvRmT0_T1_jT2_SQ_T4_T3_P12ihipStream_tbEUlT_E_NS1_11comp_targetILNS1_3genE8ELNS1_11target_archE1030ELNS1_3gpuE2ELNS1_3repE0EEENS1_30default_config_static_selectorELNS0_4arch9wavefront6targetE0EEEvSP_,@function
_ZN7rocprim17ROCPRIM_400000_NS6detail17trampoline_kernelINS0_14default_configENS1_32segmented_reduce_config_selectorIfEEZNS1_21segmented_reduce_implIS3_PKfPfPKifN6hipcub16HIPCUB_304000_NS6detail27convert_result_type_wrapperIS8_S9_N2at6native12_GLOBAL__N_110CustomProdEEEEE10hipError_tPvRmT0_T1_jT2_SQ_T4_T3_P12ihipStream_tbEUlT_E_NS1_11comp_targetILNS1_3genE8ELNS1_11target_archE1030ELNS1_3gpuE2ELNS1_3repE0EEENS1_30default_config_static_selectorELNS0_4arch9wavefront6targetE0EEEvSP_: ; @_ZN7rocprim17ROCPRIM_400000_NS6detail17trampoline_kernelINS0_14default_configENS1_32segmented_reduce_config_selectorIfEEZNS1_21segmented_reduce_implIS3_PKfPfPKifN6hipcub16HIPCUB_304000_NS6detail27convert_result_type_wrapperIS8_S9_N2at6native12_GLOBAL__N_110CustomProdEEEEE10hipError_tPvRmT0_T1_jT2_SQ_T4_T3_P12ihipStream_tbEUlT_E_NS1_11comp_targetILNS1_3genE8ELNS1_11target_archE1030ELNS1_3gpuE2ELNS1_3repE0EEENS1_30default_config_static_selectorELNS0_4arch9wavefront6targetE0EEEvSP_
; %bb.0:
	s_clause 0x1
	s_load_dwordx8 s[16:23], s[4:5], 0x0
	s_load_dwordx2 s[0:1], s[4:5], 0x20
	s_mov_b32 s7, 0
	s_load_dword s28, s[4:5], 0x2c
	v_cmp_eq_u32_e32 vcc_lo, 0, v0
	s_waitcnt lgkmcnt(0)
	s_lshl_b64 s[20:21], s[20:21], 2
	s_add_u32 s2, s22, s20
	s_addc_u32 s3, s23, s21
	s_add_u32 s4, s0, s20
	s_addc_u32 s5, s1, s21
	s_lshl_b64 s[22:23], s[6:7], 2
	s_add_u32 s0, s2, s22
	s_addc_u32 s1, s3, s23
	s_add_u32 s2, s4, s22
	s_addc_u32 s3, s5, s23
	s_load_dword s24, s[0:1], 0x0
	s_load_dword s29, s[2:3], 0x0
	s_mov_b32 s0, -1
	s_waitcnt lgkmcnt(0)
	s_cmp_gt_i32 s29, s24
	s_cbranch_scc1 .LBB75_2
; %bb.1:
	s_mov_b32 s0, 0
	s_and_b32 s7, vcc_lo, exec_lo
.LBB75_2:
	s_andn2_b32 vcc_lo, exec_lo, s0
	s_cbranch_vccnz .LBB75_44
; %bb.3:
	s_add_i32 s0, s24, 0x1000
	s_cmp_le_i32 s0, s29
	s_cbranch_scc0 .LBB75_45
; %bb.4:
	s_ashr_i32 s25, s24, 31
	v_lshlrev_b32_e32 v18, 2, v0
	s_lshl_b64 s[2:3], s[24:25], 2
	s_add_u32 s2, s16, s2
	s_addc_u32 s3, s17, s3
	v_add_co_u32 v17, s1, s2, v18
	v_add_co_ci_u32_e64 v20, null, s3, 0, s1
	s_clause 0x1
	global_load_dword v2, v18, s[2:3]
	global_load_dword v1, v18, s[2:3] offset:1024
	v_add_co_u32 v5, vcc_lo, v17, 0x1000
	v_add_co_ci_u32_e64 v6, null, 0, v20, vcc_lo
	v_add_co_u32 v7, vcc_lo, 0x800, v17
	v_add_co_ci_u32_e64 v8, null, 0, v20, vcc_lo
	s_clause 0x1
	global_load_dword v4, v[5:6], off offset:-2048
	global_load_dword v3, v[7:8], off offset:1024
	v_add_co_u32 v7, vcc_lo, 0x1000, v17
	v_add_co_ci_u32_e64 v8, null, 0, v20, vcc_lo
	global_load_dword v5, v[5:6], off
	v_add_co_u32 v9, vcc_lo, v17, 0x2000
	v_add_co_ci_u32_e64 v10, null, 0, v20, vcc_lo
	global_load_dword v6, v[7:8], off offset:1024
	v_add_co_u32 v11, vcc_lo, 0x1800, v17
	v_add_co_ci_u32_e64 v12, null, 0, v20, vcc_lo
	s_clause 0x1
	global_load_dword v8, v[9:10], off offset:-2048
	global_load_dword v7, v[11:12], off offset:1024
	v_add_co_u32 v11, vcc_lo, 0x2000, v17
	v_add_co_ci_u32_e64 v12, null, 0, v20, vcc_lo
	global_load_dword v9, v[9:10], off
	v_add_co_u32 v13, vcc_lo, v17, 0x3000
	v_add_co_ci_u32_e64 v14, null, 0, v20, vcc_lo
	global_load_dword v10, v[11:12], off offset:1024
	v_add_co_u32 v15, vcc_lo, 0x2800, v17
	v_add_co_ci_u32_e64 v16, null, 0, v20, vcc_lo
	s_clause 0x1
	global_load_dword v12, v[13:14], off offset:-2048
	global_load_dword v11, v[15:16], off offset:1024
	v_add_co_u32 v15, vcc_lo, 0x3000, v17
	global_load_dword v13, v[13:14], off
	v_add_co_ci_u32_e64 v16, null, 0, v20, vcc_lo
	v_add_co_u32 v19, vcc_lo, 0x3800, v17
	v_add_co_ci_u32_e64 v20, null, 0, v20, vcc_lo
	s_clause 0x2
	global_load_dword v15, v[15:16], off offset:1024
	global_load_dword v16, v[19:20], off
	global_load_dword v17, v[19:20], off offset:1024
	s_add_i32 s1, s24, 0x2000
	s_cmp_ge_i32 s1, s29
	s_waitcnt vmcnt(14)
	v_mul_f32_e32 v14, v2, v1
	s_waitcnt vmcnt(13)
	v_mul_f32_e32 v14, v14, v4
	;; [unrolled: 2-line block ×15, first 2 shown]
	s_cbranch_scc1 .LBB75_7
; %bb.5:
	v_add_co_u32 v19, s1, s16, v18
	v_add_co_ci_u32_e64 v20, null, s17, 0, s1
.LBB75_6:                               ; =>This Inner Loop Header: Depth=1
	s_ashr_i32 s1, s0, 31
	s_lshl_b64 s[2:3], s[0:1], 2
	s_add_i32 s1, s0, 0x2000
	v_add_co_u32 v15, vcc_lo, v19, s2
	v_add_co_ci_u32_e64 v16, null, s3, v20, vcc_lo
	s_addk_i32 s0, 0x1000
	v_add_co_u32 v5, vcc_lo, v15, 0x1000
	s_clause 0x1
	global_load_dword v2, v[15:16], off
	global_load_dword v1, v[15:16], off offset:1024
	v_add_co_ci_u32_e64 v6, null, 0, v16, vcc_lo
	v_add_co_u32 v7, vcc_lo, 0x800, v15
	v_add_co_ci_u32_e64 v8, null, 0, v16, vcc_lo
	s_clause 0x1
	global_load_dword v4, v[5:6], off offset:-2048
	global_load_dword v3, v[7:8], off offset:1024
	v_add_co_u32 v7, vcc_lo, 0x1000, v15
	v_add_co_ci_u32_e64 v8, null, 0, v16, vcc_lo
	global_load_dword v5, v[5:6], off
	v_add_co_u32 v9, vcc_lo, v15, 0x2000
	v_add_co_ci_u32_e64 v10, null, 0, v16, vcc_lo
	global_load_dword v6, v[7:8], off offset:1024
	v_add_co_u32 v11, vcc_lo, 0x1800, v15
	v_add_co_ci_u32_e64 v12, null, 0, v16, vcc_lo
	s_clause 0x1
	global_load_dword v8, v[9:10], off offset:-2048
	global_load_dword v7, v[11:12], off offset:1024
	v_add_co_u32 v11, vcc_lo, 0x2000, v15
	v_add_co_ci_u32_e64 v12, null, 0, v16, vcc_lo
	global_load_dword v9, v[9:10], off
	v_add_co_u32 v21, vcc_lo, v15, 0x3000
	v_add_co_ci_u32_e64 v22, null, 0, v16, vcc_lo
	global_load_dword v10, v[11:12], off offset:1024
	v_add_co_u32 v23, vcc_lo, 0x2800, v15
	v_add_co_ci_u32_e64 v24, null, 0, v16, vcc_lo
	s_clause 0x1
	global_load_dword v12, v[21:22], off offset:-2048
	global_load_dword v11, v[23:24], off offset:1024
	v_add_co_u32 v23, vcc_lo, 0x3000, v15
	global_load_dword v13, v[21:22], off
	v_add_co_ci_u32_e64 v24, null, 0, v16, vcc_lo
	v_add_co_u32 v21, vcc_lo, 0x3800, v15
	v_add_co_ci_u32_e64 v22, null, 0, v16, vcc_lo
	s_clause 0x2
	global_load_dword v15, v[23:24], off offset:1024
	global_load_dword v16, v[21:22], off
	global_load_dword v17, v[21:22], off offset:1024
	s_cmp_lt_i32 s1, s29
	s_waitcnt vmcnt(15)
	v_mul_f32_e32 v14, v14, v2
	s_waitcnt vmcnt(14)
	v_mul_f32_e32 v14, v14, v1
	;; [unrolled: 2-line block ×16, first 2 shown]
	s_cbranch_scc1 .LBB75_6
.LBB75_7:
	s_ashr_i32 s1, s0, 31
	s_sub_i32 s15, s29, s0
	s_lshl_b64 s[0:1], s[0:1], 2
	v_cmp_gt_u32_e32 vcc_lo, s15, v0
	s_add_u32 s26, s16, s0
	s_addc_u32 s27, s17, s1
	s_and_saveexec_b32 s0, vcc_lo
	s_cbranch_execz .LBB75_9
; %bb.8:
	global_load_dword v2, v18, s[26:27]
.LBB75_9:
	s_or_b32 exec_lo, exec_lo, s0
	v_or_b32_e32 v19, 0x100, v0
	v_cmp_gt_u32_e64 s0, s15, v19
	s_and_saveexec_b32 s1, s0
	s_cbranch_execz .LBB75_11
; %bb.10:
	global_load_dword v1, v18, s[26:27] offset:1024
.LBB75_11:
	s_or_b32 exec_lo, exec_lo, s1
	v_or_b32_e32 v18, 0x200, v0
	v_cmp_gt_u32_e64 s1, s15, v18
	s_and_saveexec_b32 s2, s1
	s_cbranch_execz .LBB75_13
; %bb.12:
	v_lshlrev_b32_e32 v4, 2, v18
	global_load_dword v4, v4, s[26:27]
.LBB75_13:
	s_or_b32 exec_lo, exec_lo, s2
	v_or_b32_e32 v18, 0x300, v0
	v_cmp_gt_u32_e64 s2, s15, v18
	s_and_saveexec_b32 s3, s2
	s_cbranch_execz .LBB75_15
; %bb.14:
	v_lshlrev_b32_e32 v3, 2, v18
	global_load_dword v3, v3, s[26:27]
.LBB75_15:
	;; [unrolled: 9-line block ×14, first 2 shown]
	s_or_b32 exec_lo, exec_lo, s25
	s_waitcnt vmcnt(0)
	v_mul_f32_e32 v2, v14, v2
	v_cndmask_b32_e32 v2, v14, v2, vcc_lo
	v_mul_f32_e32 v1, v1, v2
	v_cndmask_b32_e64 v1, v2, v1, s0
	s_mov_b32 s0, exec_lo
	v_mul_f32_e32 v2, v4, v1
	v_cndmask_b32_e64 v1, v1, v2, s1
	v_mul_f32_e32 v2, v3, v1
	v_cndmask_b32_e64 v1, v1, v2, s2
	;; [unrolled: 2-line block ×14, first 2 shown]
	v_mov_b32_dpp v2, v1 quad_perm:[1,0,3,2] row_mask:0xf bank_mask:0xf
	v_mul_f32_e32 v1, v1, v2
	v_mov_b32_dpp v2, v1 quad_perm:[2,3,0,1] row_mask:0xf bank_mask:0xf
	v_mul_f32_e32 v1, v1, v2
	v_mov_b32_dpp v2, v1 row_ror:4 row_mask:0xf bank_mask:0xf
	v_mul_f32_e32 v1, v1, v2
	v_mov_b32_dpp v2, v1 row_ror:8 row_mask:0xf bank_mask:0xf
	v_mul_f32_e32 v1, v1, v2
	ds_swizzle_b32 v2, v1 offset:swizzle(BROADCAST,32,15)
	s_waitcnt lgkmcnt(0)
	v_mul_f32_e32 v1, v1, v2
	v_mov_b32_e32 v2, 0
	ds_bpermute_b32 v2, v2, v1 offset:124
	v_mbcnt_lo_u32_b32 v1, -1, 0
	v_cmpx_eq_u32_e32 0, v1
	s_cbranch_execz .LBB75_41
; %bb.40:
	v_lshrrev_b32_e32 v3, 3, v0
	v_and_b32_e32 v3, 28, v3
	s_waitcnt lgkmcnt(0)
	ds_write_b32 v3, v2
.LBB75_41:
	s_or_b32 exec_lo, exec_lo, s0
	s_mov_b32 s0, exec_lo
	s_waitcnt lgkmcnt(0)
	s_barrier
	buffer_gl0_inv
	v_cmpx_gt_u32_e32 32, v0
	s_cbranch_execz .LBB75_43
; %bb.42:
	v_and_b32_e32 v2, 7, v1
	v_lshlrev_b32_e32 v3, 2, v2
	v_cmp_ne_u32_e32 vcc_lo, 7, v2
	ds_read_b32 v3, v3
	v_add_co_ci_u32_e64 v4, null, 0, v1, vcc_lo
	v_cmp_gt_u32_e32 vcc_lo, 6, v2
	v_lshlrev_b32_e32 v4, 2, v4
	v_cndmask_b32_e64 v2, 0, 2, vcc_lo
	v_add_lshl_u32 v2, v2, v1, 2
	v_lshlrev_b32_e32 v1, 2, v1
	v_or_b32_e32 v1, 16, v1
	s_waitcnt lgkmcnt(0)
	ds_bpermute_b32 v4, v4, v3
	s_waitcnt lgkmcnt(0)
	v_mul_f32_e32 v3, v3, v4
	ds_bpermute_b32 v2, v2, v3
	s_waitcnt lgkmcnt(0)
	v_mul_f32_e32 v2, v3, v2
	;; [unrolled: 3-line block ×3, first 2 shown]
.LBB75_43:
	s_or_b32 exec_lo, exec_lo, s0
	s_branch .LBB75_64
.LBB75_44:
	v_mov_b32_e32 v1, s28
	s_and_saveexec_b32 s0, s7
	s_cbranch_execnz .LBB75_67
	s_branch .LBB75_68
.LBB75_45:
                                        ; implicit-def: $vgpr2
	s_cbranch_execz .LBB75_64
; %bb.46:
	s_sub_i32 s2, s29, s24
	s_mov_b32 s0, exec_lo
                                        ; implicit-def: $vgpr3
	v_cmpx_gt_u32_e64 s2, v0
	s_cbranch_execz .LBB75_52
; %bb.47:
	v_add_nc_u32_e32 v1, s24, v0
	s_mov_b32 s1, exec_lo
	v_ashrrev_i32_e32 v2, 31, v1
	v_lshlrev_b64 v[2:3], 2, v[1:2]
	v_add_nc_u32_e32 v1, 0x100, v1
	v_add_co_u32 v2, vcc_lo, s16, v2
	v_add_co_ci_u32_e64 v3, null, s17, v3, vcc_lo
	global_load_dword v3, v[2:3], off
	v_cmpx_gt_i32_e64 s29, v1
	s_cbranch_execz .LBB75_51
; %bb.48:
	s_mov_b32 s3, 0
.LBB75_49:                              ; =>This Inner Loop Header: Depth=1
	v_ashrrev_i32_e32 v2, 31, v1
	v_lshlrev_b64 v[4:5], 2, v[1:2]
	v_add_nc_u32_e32 v1, 0x100, v1
	v_add_co_u32 v4, vcc_lo, s16, v4
	v_add_co_ci_u32_e64 v5, null, s17, v5, vcc_lo
	v_cmp_le_i32_e32 vcc_lo, s29, v1
	global_load_dword v2, v[4:5], off
	s_or_b32 s3, vcc_lo, s3
	s_waitcnt vmcnt(0)
	v_mul_f32_e32 v3, v3, v2
	s_andn2_b32 exec_lo, exec_lo, s3
	s_cbranch_execnz .LBB75_49
; %bb.50:
	s_or_b32 exec_lo, exec_lo, s3
.LBB75_51:
	s_or_b32 exec_lo, exec_lo, s1
.LBB75_52:
	s_or_b32 exec_lo, exec_lo, s0
	v_mbcnt_lo_u32_b32 v1, -1, 0
	s_cmpk_lt_u32 s2, 0x100
	s_mov_b32 s0, -1
                                        ; implicit-def: $vgpr2
	v_cmp_eq_u32_e32 vcc_lo, 0, v1
	s_cbranch_scc0 .LBB75_58
; %bb.53:
	v_cmp_ne_u32_e64 s0, 31, v1
	v_and_b32_e32 v4, 0xe0, v0
	v_add_nc_u32_e32 v5, 1, v1
	v_cmp_gt_u32_e64 s1, 28, v1
	v_add_co_ci_u32_e64 v2, null, 0, v1, s0
	v_cmp_gt_u32_e64 s0, 30, v1
	v_sub_nc_u32_e64 v7, s2, v4 clamp
	v_lshlrev_b32_e32 v2, 2, v2
	v_cndmask_b32_e64 v6, 0, 2, s0
	v_cmp_lt_u32_e64 s0, v5, v7
	v_cndmask_b32_e64 v5, 0, 4, s1
	s_waitcnt vmcnt(0)
	ds_bpermute_b32 v2, v2, v3
	v_add_lshl_u32 v4, v6, v1, 2
	v_add_nc_u32_e32 v6, 2, v1
	v_add_lshl_u32 v5, v5, v1, 2
	v_cmp_lt_u32_e64 s1, v6, v7
	v_add_nc_u32_e32 v6, 4, v1
	s_waitcnt lgkmcnt(0)
	v_mul_f32_e32 v2, v3, v2
	v_cndmask_b32_e64 v2, v3, v2, s0
	ds_bpermute_b32 v4, v4, v2
	s_waitcnt lgkmcnt(0)
	v_mul_f32_e32 v4, v2, v4
	v_cndmask_b32_e64 v2, v2, v4, s1
	v_cmp_gt_u32_e64 s1, 24, v1
	ds_bpermute_b32 v4, v5, v2
	v_cndmask_b32_e64 v5, 0, 8, s1
	v_cmp_lt_u32_e64 s1, v6, v7
	v_add_lshl_u32 v5, v5, v1, 2
	s_waitcnt lgkmcnt(0)
	v_mul_f32_e32 v4, v2, v4
	v_cndmask_b32_e64 v2, v2, v4, s1
	ds_bpermute_b32 v4, v5, v2
	v_add_nc_u32_e32 v5, 8, v1
	v_cmp_lt_u32_e64 s1, v5, v7
	s_waitcnt lgkmcnt(0)
	v_mul_f32_e32 v6, v2, v4
	v_lshlrev_b32_e32 v4, 2, v1
	v_cndmask_b32_e64 v2, v2, v6, s1
	v_or_b32_e32 v5, 64, v4
	v_add_nc_u32_e32 v6, 16, v1
	ds_bpermute_b32 v5, v5, v2
	v_cmp_lt_u32_e64 s1, v6, v7
	s_waitcnt lgkmcnt(0)
	v_mul_f32_e32 v5, v2, v5
	v_cndmask_b32_e64 v2, v2, v5, s1
	v_cndmask_b32_e64 v2, v3, v2, s0
	s_and_saveexec_b32 s0, vcc_lo
; %bb.54:
	v_lshrrev_b32_e32 v5, 3, v0
	v_and_b32_e32 v5, 28, v5
	ds_write_b32 v5, v2
; %bb.55:
	s_or_b32 exec_lo, exec_lo, s0
	s_mov_b32 s1, exec_lo
	s_waitcnt lgkmcnt(0)
	s_barrier
	buffer_gl0_inv
	v_cmpx_gt_u32_e32 8, v0
	s_cbranch_execz .LBB75_57
; %bb.56:
	ds_read_b32 v2, v4
	v_and_b32_e32 v5, 7, v1
	s_add_i32 s2, s2, 31
	v_or_b32_e32 v4, 16, v4
	s_lshr_b32 s2, s2, 5
	v_cmp_ne_u32_e32 vcc_lo, 7, v5
	v_add_nc_u32_e32 v8, 1, v5
	v_add_co_ci_u32_e64 v6, null, 0, v1, vcc_lo
	v_cmp_gt_u32_e32 vcc_lo, 6, v5
	v_lshlrev_b32_e32 v6, 2, v6
	v_cndmask_b32_e64 v7, 0, 2, vcc_lo
	v_cmp_gt_u32_e32 vcc_lo, s2, v8
	v_add_nc_u32_e32 v8, 2, v5
	s_waitcnt lgkmcnt(0)
	ds_bpermute_b32 v6, v6, v2
	v_add_nc_u32_e32 v5, 4, v5
	v_add_lshl_u32 v7, v7, v1, 2
	v_cmp_gt_u32_e64 s0, s2, v8
	s_waitcnt lgkmcnt(0)
	v_mul_f32_e32 v6, v2, v6
	v_cndmask_b32_e32 v6, v2, v6, vcc_lo
	ds_bpermute_b32 v7, v7, v6
	s_waitcnt lgkmcnt(0)
	v_mul_f32_e32 v7, v6, v7
	v_cndmask_b32_e64 v6, v6, v7, s0
	v_cmp_gt_u32_e64 s0, s2, v5
	ds_bpermute_b32 v4, v4, v6
	s_waitcnt lgkmcnt(0)
	v_mul_f32_e32 v4, v6, v4
	v_cndmask_b32_e64 v4, v6, v4, s0
	v_cndmask_b32_e32 v2, v2, v4, vcc_lo
.LBB75_57:
	s_or_b32 exec_lo, exec_lo, s1
	s_mov_b32 s0, 0
.LBB75_58:
	s_and_b32 vcc_lo, exec_lo, s0
	s_cbranch_vccz .LBB75_64
; %bb.59:
	s_waitcnt vmcnt(0)
	v_mov_b32_dpp v2, v3 quad_perm:[1,0,3,2] row_mask:0xf bank_mask:0xf
	s_mov_b32 s0, exec_lo
	v_mul_f32_e32 v2, v3, v2
	v_mov_b32_dpp v3, v2 quad_perm:[2,3,0,1] row_mask:0xf bank_mask:0xf
	v_mul_f32_e32 v2, v2, v3
	v_mov_b32_dpp v3, v2 row_ror:4 row_mask:0xf bank_mask:0xf
	v_mul_f32_e32 v2, v2, v3
	v_mov_b32_dpp v3, v2 row_ror:8 row_mask:0xf bank_mask:0xf
	v_mul_f32_e32 v2, v2, v3
	ds_swizzle_b32 v3, v2 offset:swizzle(BROADCAST,32,15)
	s_waitcnt lgkmcnt(0)
	v_mul_f32_e32 v2, v2, v3
	v_mov_b32_e32 v3, 0
	ds_bpermute_b32 v2, v3, v2 offset:124
	v_cmpx_eq_u32_e32 0, v1
	s_cbranch_execz .LBB75_61
; %bb.60:
	v_lshrrev_b32_e32 v3, 3, v0
	v_and_b32_e32 v3, 28, v3
	s_waitcnt lgkmcnt(0)
	ds_write_b32 v3, v2
.LBB75_61:
	s_or_b32 exec_lo, exec_lo, s0
	s_mov_b32 s0, exec_lo
	s_waitcnt lgkmcnt(0)
	s_barrier
	buffer_gl0_inv
	v_cmpx_gt_u32_e32 32, v0
	s_cbranch_execz .LBB75_63
; %bb.62:
	v_and_b32_e32 v2, 7, v1
	v_lshlrev_b32_e32 v3, 2, v2
	v_cmp_ne_u32_e32 vcc_lo, 7, v2
	ds_read_b32 v3, v3
	v_add_co_ci_u32_e64 v4, null, 0, v1, vcc_lo
	v_cmp_gt_u32_e32 vcc_lo, 6, v2
	v_lshlrev_b32_e32 v4, 2, v4
	v_cndmask_b32_e64 v2, 0, 2, vcc_lo
	v_add_lshl_u32 v2, v2, v1, 2
	v_lshlrev_b32_e32 v1, 2, v1
	v_or_b32_e32 v1, 16, v1
	s_waitcnt lgkmcnt(0)
	ds_bpermute_b32 v4, v4, v3
	s_waitcnt lgkmcnt(0)
	v_mul_f32_e32 v3, v3, v4
	ds_bpermute_b32 v2, v2, v3
	s_waitcnt lgkmcnt(0)
	v_mul_f32_e32 v2, v3, v2
	;; [unrolled: 3-line block ×3, first 2 shown]
.LBB75_63:
	s_or_b32 exec_lo, exec_lo, s0
.LBB75_64:
	s_mov_b32 s0, exec_lo
                                        ; implicit-def: $vgpr1
	v_cmpx_eq_u32_e32 0, v0
; %bb.65:
	v_mul_f32_e32 v1, s28, v2
	s_or_b32 s7, s7, exec_lo
; %bb.66:
	s_or_b32 exec_lo, exec_lo, s0
	s_and_saveexec_b32 s0, s7
	s_cbranch_execz .LBB75_68
.LBB75_67:
	s_add_u32 s0, s18, s20
	v_mov_b32_e32 v0, 0
	s_addc_u32 s1, s19, s21
	s_add_u32 s0, s0, s22
	s_addc_u32 s1, s1, s23
	global_store_dword v0, v1, s[0:1]
.LBB75_68:
	s_endpgm
	.section	.rodata,"a",@progbits
	.p2align	6, 0x0
	.amdhsa_kernel _ZN7rocprim17ROCPRIM_400000_NS6detail17trampoline_kernelINS0_14default_configENS1_32segmented_reduce_config_selectorIfEEZNS1_21segmented_reduce_implIS3_PKfPfPKifN6hipcub16HIPCUB_304000_NS6detail27convert_result_type_wrapperIS8_S9_N2at6native12_GLOBAL__N_110CustomProdEEEEE10hipError_tPvRmT0_T1_jT2_SQ_T4_T3_P12ihipStream_tbEUlT_E_NS1_11comp_targetILNS1_3genE8ELNS1_11target_archE1030ELNS1_3gpuE2ELNS1_3repE0EEENS1_30default_config_static_selectorELNS0_4arch9wavefront6targetE0EEEvSP_
		.amdhsa_group_segment_fixed_size 32
		.amdhsa_private_segment_fixed_size 0
		.amdhsa_kernarg_size 48
		.amdhsa_user_sgpr_count 6
		.amdhsa_user_sgpr_private_segment_buffer 1
		.amdhsa_user_sgpr_dispatch_ptr 0
		.amdhsa_user_sgpr_queue_ptr 0
		.amdhsa_user_sgpr_kernarg_segment_ptr 1
		.amdhsa_user_sgpr_dispatch_id 0
		.amdhsa_user_sgpr_flat_scratch_init 0
		.amdhsa_user_sgpr_private_segment_size 0
		.amdhsa_wavefront_size32 1
		.amdhsa_uses_dynamic_stack 0
		.amdhsa_system_sgpr_private_segment_wavefront_offset 0
		.amdhsa_system_sgpr_workgroup_id_x 1
		.amdhsa_system_sgpr_workgroup_id_y 0
		.amdhsa_system_sgpr_workgroup_id_z 0
		.amdhsa_system_sgpr_workgroup_info 0
		.amdhsa_system_vgpr_workitem_id 0
		.amdhsa_next_free_vgpr 25
		.amdhsa_next_free_sgpr 30
		.amdhsa_reserve_vcc 1
		.amdhsa_reserve_flat_scratch 0
		.amdhsa_float_round_mode_32 0
		.amdhsa_float_round_mode_16_64 0
		.amdhsa_float_denorm_mode_32 3
		.amdhsa_float_denorm_mode_16_64 3
		.amdhsa_dx10_clamp 1
		.amdhsa_ieee_mode 1
		.amdhsa_fp16_overflow 0
		.amdhsa_workgroup_processor_mode 1
		.amdhsa_memory_ordered 1
		.amdhsa_forward_progress 1
		.amdhsa_shared_vgpr_count 0
		.amdhsa_exception_fp_ieee_invalid_op 0
		.amdhsa_exception_fp_denorm_src 0
		.amdhsa_exception_fp_ieee_div_zero 0
		.amdhsa_exception_fp_ieee_overflow 0
		.amdhsa_exception_fp_ieee_underflow 0
		.amdhsa_exception_fp_ieee_inexact 0
		.amdhsa_exception_int_div_zero 0
	.end_amdhsa_kernel
	.section	.text._ZN7rocprim17ROCPRIM_400000_NS6detail17trampoline_kernelINS0_14default_configENS1_32segmented_reduce_config_selectorIfEEZNS1_21segmented_reduce_implIS3_PKfPfPKifN6hipcub16HIPCUB_304000_NS6detail27convert_result_type_wrapperIS8_S9_N2at6native12_GLOBAL__N_110CustomProdEEEEE10hipError_tPvRmT0_T1_jT2_SQ_T4_T3_P12ihipStream_tbEUlT_E_NS1_11comp_targetILNS1_3genE8ELNS1_11target_archE1030ELNS1_3gpuE2ELNS1_3repE0EEENS1_30default_config_static_selectorELNS0_4arch9wavefront6targetE0EEEvSP_,"axG",@progbits,_ZN7rocprim17ROCPRIM_400000_NS6detail17trampoline_kernelINS0_14default_configENS1_32segmented_reduce_config_selectorIfEEZNS1_21segmented_reduce_implIS3_PKfPfPKifN6hipcub16HIPCUB_304000_NS6detail27convert_result_type_wrapperIS8_S9_N2at6native12_GLOBAL__N_110CustomProdEEEEE10hipError_tPvRmT0_T1_jT2_SQ_T4_T3_P12ihipStream_tbEUlT_E_NS1_11comp_targetILNS1_3genE8ELNS1_11target_archE1030ELNS1_3gpuE2ELNS1_3repE0EEENS1_30default_config_static_selectorELNS0_4arch9wavefront6targetE0EEEvSP_,comdat
.Lfunc_end75:
	.size	_ZN7rocprim17ROCPRIM_400000_NS6detail17trampoline_kernelINS0_14default_configENS1_32segmented_reduce_config_selectorIfEEZNS1_21segmented_reduce_implIS3_PKfPfPKifN6hipcub16HIPCUB_304000_NS6detail27convert_result_type_wrapperIS8_S9_N2at6native12_GLOBAL__N_110CustomProdEEEEE10hipError_tPvRmT0_T1_jT2_SQ_T4_T3_P12ihipStream_tbEUlT_E_NS1_11comp_targetILNS1_3genE8ELNS1_11target_archE1030ELNS1_3gpuE2ELNS1_3repE0EEENS1_30default_config_static_selectorELNS0_4arch9wavefront6targetE0EEEvSP_, .Lfunc_end75-_ZN7rocprim17ROCPRIM_400000_NS6detail17trampoline_kernelINS0_14default_configENS1_32segmented_reduce_config_selectorIfEEZNS1_21segmented_reduce_implIS3_PKfPfPKifN6hipcub16HIPCUB_304000_NS6detail27convert_result_type_wrapperIS8_S9_N2at6native12_GLOBAL__N_110CustomProdEEEEE10hipError_tPvRmT0_T1_jT2_SQ_T4_T3_P12ihipStream_tbEUlT_E_NS1_11comp_targetILNS1_3genE8ELNS1_11target_archE1030ELNS1_3gpuE2ELNS1_3repE0EEENS1_30default_config_static_selectorELNS0_4arch9wavefront6targetE0EEEvSP_
                                        ; -- End function
	.set _ZN7rocprim17ROCPRIM_400000_NS6detail17trampoline_kernelINS0_14default_configENS1_32segmented_reduce_config_selectorIfEEZNS1_21segmented_reduce_implIS3_PKfPfPKifN6hipcub16HIPCUB_304000_NS6detail27convert_result_type_wrapperIS8_S9_N2at6native12_GLOBAL__N_110CustomProdEEEEE10hipError_tPvRmT0_T1_jT2_SQ_T4_T3_P12ihipStream_tbEUlT_E_NS1_11comp_targetILNS1_3genE8ELNS1_11target_archE1030ELNS1_3gpuE2ELNS1_3repE0EEENS1_30default_config_static_selectorELNS0_4arch9wavefront6targetE0EEEvSP_.num_vgpr, 25
	.set _ZN7rocprim17ROCPRIM_400000_NS6detail17trampoline_kernelINS0_14default_configENS1_32segmented_reduce_config_selectorIfEEZNS1_21segmented_reduce_implIS3_PKfPfPKifN6hipcub16HIPCUB_304000_NS6detail27convert_result_type_wrapperIS8_S9_N2at6native12_GLOBAL__N_110CustomProdEEEEE10hipError_tPvRmT0_T1_jT2_SQ_T4_T3_P12ihipStream_tbEUlT_E_NS1_11comp_targetILNS1_3genE8ELNS1_11target_archE1030ELNS1_3gpuE2ELNS1_3repE0EEENS1_30default_config_static_selectorELNS0_4arch9wavefront6targetE0EEEvSP_.num_agpr, 0
	.set _ZN7rocprim17ROCPRIM_400000_NS6detail17trampoline_kernelINS0_14default_configENS1_32segmented_reduce_config_selectorIfEEZNS1_21segmented_reduce_implIS3_PKfPfPKifN6hipcub16HIPCUB_304000_NS6detail27convert_result_type_wrapperIS8_S9_N2at6native12_GLOBAL__N_110CustomProdEEEEE10hipError_tPvRmT0_T1_jT2_SQ_T4_T3_P12ihipStream_tbEUlT_E_NS1_11comp_targetILNS1_3genE8ELNS1_11target_archE1030ELNS1_3gpuE2ELNS1_3repE0EEENS1_30default_config_static_selectorELNS0_4arch9wavefront6targetE0EEEvSP_.numbered_sgpr, 30
	.set _ZN7rocprim17ROCPRIM_400000_NS6detail17trampoline_kernelINS0_14default_configENS1_32segmented_reduce_config_selectorIfEEZNS1_21segmented_reduce_implIS3_PKfPfPKifN6hipcub16HIPCUB_304000_NS6detail27convert_result_type_wrapperIS8_S9_N2at6native12_GLOBAL__N_110CustomProdEEEEE10hipError_tPvRmT0_T1_jT2_SQ_T4_T3_P12ihipStream_tbEUlT_E_NS1_11comp_targetILNS1_3genE8ELNS1_11target_archE1030ELNS1_3gpuE2ELNS1_3repE0EEENS1_30default_config_static_selectorELNS0_4arch9wavefront6targetE0EEEvSP_.num_named_barrier, 0
	.set _ZN7rocprim17ROCPRIM_400000_NS6detail17trampoline_kernelINS0_14default_configENS1_32segmented_reduce_config_selectorIfEEZNS1_21segmented_reduce_implIS3_PKfPfPKifN6hipcub16HIPCUB_304000_NS6detail27convert_result_type_wrapperIS8_S9_N2at6native12_GLOBAL__N_110CustomProdEEEEE10hipError_tPvRmT0_T1_jT2_SQ_T4_T3_P12ihipStream_tbEUlT_E_NS1_11comp_targetILNS1_3genE8ELNS1_11target_archE1030ELNS1_3gpuE2ELNS1_3repE0EEENS1_30default_config_static_selectorELNS0_4arch9wavefront6targetE0EEEvSP_.private_seg_size, 0
	.set _ZN7rocprim17ROCPRIM_400000_NS6detail17trampoline_kernelINS0_14default_configENS1_32segmented_reduce_config_selectorIfEEZNS1_21segmented_reduce_implIS3_PKfPfPKifN6hipcub16HIPCUB_304000_NS6detail27convert_result_type_wrapperIS8_S9_N2at6native12_GLOBAL__N_110CustomProdEEEEE10hipError_tPvRmT0_T1_jT2_SQ_T4_T3_P12ihipStream_tbEUlT_E_NS1_11comp_targetILNS1_3genE8ELNS1_11target_archE1030ELNS1_3gpuE2ELNS1_3repE0EEENS1_30default_config_static_selectorELNS0_4arch9wavefront6targetE0EEEvSP_.uses_vcc, 1
	.set _ZN7rocprim17ROCPRIM_400000_NS6detail17trampoline_kernelINS0_14default_configENS1_32segmented_reduce_config_selectorIfEEZNS1_21segmented_reduce_implIS3_PKfPfPKifN6hipcub16HIPCUB_304000_NS6detail27convert_result_type_wrapperIS8_S9_N2at6native12_GLOBAL__N_110CustomProdEEEEE10hipError_tPvRmT0_T1_jT2_SQ_T4_T3_P12ihipStream_tbEUlT_E_NS1_11comp_targetILNS1_3genE8ELNS1_11target_archE1030ELNS1_3gpuE2ELNS1_3repE0EEENS1_30default_config_static_selectorELNS0_4arch9wavefront6targetE0EEEvSP_.uses_flat_scratch, 0
	.set _ZN7rocprim17ROCPRIM_400000_NS6detail17trampoline_kernelINS0_14default_configENS1_32segmented_reduce_config_selectorIfEEZNS1_21segmented_reduce_implIS3_PKfPfPKifN6hipcub16HIPCUB_304000_NS6detail27convert_result_type_wrapperIS8_S9_N2at6native12_GLOBAL__N_110CustomProdEEEEE10hipError_tPvRmT0_T1_jT2_SQ_T4_T3_P12ihipStream_tbEUlT_E_NS1_11comp_targetILNS1_3genE8ELNS1_11target_archE1030ELNS1_3gpuE2ELNS1_3repE0EEENS1_30default_config_static_selectorELNS0_4arch9wavefront6targetE0EEEvSP_.has_dyn_sized_stack, 0
	.set _ZN7rocprim17ROCPRIM_400000_NS6detail17trampoline_kernelINS0_14default_configENS1_32segmented_reduce_config_selectorIfEEZNS1_21segmented_reduce_implIS3_PKfPfPKifN6hipcub16HIPCUB_304000_NS6detail27convert_result_type_wrapperIS8_S9_N2at6native12_GLOBAL__N_110CustomProdEEEEE10hipError_tPvRmT0_T1_jT2_SQ_T4_T3_P12ihipStream_tbEUlT_E_NS1_11comp_targetILNS1_3genE8ELNS1_11target_archE1030ELNS1_3gpuE2ELNS1_3repE0EEENS1_30default_config_static_selectorELNS0_4arch9wavefront6targetE0EEEvSP_.has_recursion, 0
	.set _ZN7rocprim17ROCPRIM_400000_NS6detail17trampoline_kernelINS0_14default_configENS1_32segmented_reduce_config_selectorIfEEZNS1_21segmented_reduce_implIS3_PKfPfPKifN6hipcub16HIPCUB_304000_NS6detail27convert_result_type_wrapperIS8_S9_N2at6native12_GLOBAL__N_110CustomProdEEEEE10hipError_tPvRmT0_T1_jT2_SQ_T4_T3_P12ihipStream_tbEUlT_E_NS1_11comp_targetILNS1_3genE8ELNS1_11target_archE1030ELNS1_3gpuE2ELNS1_3repE0EEENS1_30default_config_static_selectorELNS0_4arch9wavefront6targetE0EEEvSP_.has_indirect_call, 0
	.section	.AMDGPU.csdata,"",@progbits
; Kernel info:
; codeLenInByte = 3376
; TotalNumSgprs: 32
; NumVgprs: 25
; ScratchSize: 0
; MemoryBound: 0
; FloatMode: 240
; IeeeMode: 1
; LDSByteSize: 32 bytes/workgroup (compile time only)
; SGPRBlocks: 0
; VGPRBlocks: 3
; NumSGPRsForWavesPerEU: 32
; NumVGPRsForWavesPerEU: 25
; Occupancy: 16
; WaveLimiterHint : 1
; COMPUTE_PGM_RSRC2:SCRATCH_EN: 0
; COMPUTE_PGM_RSRC2:USER_SGPR: 6
; COMPUTE_PGM_RSRC2:TRAP_HANDLER: 0
; COMPUTE_PGM_RSRC2:TGID_X_EN: 1
; COMPUTE_PGM_RSRC2:TGID_Y_EN: 0
; COMPUTE_PGM_RSRC2:TGID_Z_EN: 0
; COMPUTE_PGM_RSRC2:TIDIG_COMP_CNT: 0
	.section	.text._ZN2at6native12_GLOBAL__N_129segment_reduce_forward_kernelIN3c104HalfEiEEvNS0_13ReductionTypeEPT_PKS6_PKT0_SC_llbS6_lllllll,"axG",@progbits,_ZN2at6native12_GLOBAL__N_129segment_reduce_forward_kernelIN3c104HalfEiEEvNS0_13ReductionTypeEPT_PKS6_PKT0_SC_llbS6_lllllll,comdat
	.globl	_ZN2at6native12_GLOBAL__N_129segment_reduce_forward_kernelIN3c104HalfEiEEvNS0_13ReductionTypeEPT_PKS6_PKT0_SC_llbS6_lllllll ; -- Begin function _ZN2at6native12_GLOBAL__N_129segment_reduce_forward_kernelIN3c104HalfEiEEvNS0_13ReductionTypeEPT_PKS6_PKT0_SC_llbS6_lllllll
	.p2align	8
	.type	_ZN2at6native12_GLOBAL__N_129segment_reduce_forward_kernelIN3c104HalfEiEEvNS0_13ReductionTypeEPT_PKS6_PKT0_SC_llbS6_lllllll,@function
_ZN2at6native12_GLOBAL__N_129segment_reduce_forward_kernelIN3c104HalfEiEEvNS0_13ReductionTypeEPT_PKS6_PKT0_SC_llbS6_lllllll: ; @_ZN2at6native12_GLOBAL__N_129segment_reduce_forward_kernelIN3c104HalfEiEEvNS0_13ReductionTypeEPT_PKS6_PKT0_SC_llbS6_lllllll
; %bb.0:
	s_clause 0x2
	s_load_dwordx4 s[36:39], s[4:5], 0x28
	s_load_dword s0, s[4:5], 0x84
	s_load_dwordx8 s[16:23], s[4:5], 0x40
	v_mov_b32_e32 v2, 0
	v_mov_b32_e32 v1, v2
	s_waitcnt lgkmcnt(0)
	s_and_b32 s0, s0, 0xffff
	s_mul_i32 s1, s16, s37
	s_mul_hi_u32 s2, s16, s36
	s_mul_i32 s3, s17, s36
	s_mul_i32 s7, s16, s36
	v_mad_u64_u32 v[0:1], null, s0, s6, v[0:1]
	s_add_i32 s0, s2, s1
	s_mul_i32 s1, s7, s19
	s_mul_hi_u32 s2, s7, s18
	s_add_i32 s0, s0, s3
	s_add_i32 s1, s2, s1
	s_mul_i32 s0, s0, s18
	s_add_i32 s1, s1, s0
	s_mul_i32 s0, s7, s18
	v_cmp_gt_i64_e32 vcc_lo, s[0:1], v[0:1]
	s_and_saveexec_b32 s0, vcc_lo
	s_cbranch_execz .LBB76_37
; %bb.1:
	v_or_b32_e32 v3, s19, v1
                                        ; implicit-def: $vgpr4_vgpr5
	s_mov_b32 s0, exec_lo
	v_cmpx_ne_u64_e32 0, v[2:3]
	s_xor_b32 s1, exec_lo, s0
	s_cbranch_execz .LBB76_3
; %bb.2:
	s_ashr_i32 s2, s19, 31
	v_ashrrev_i32_e32 v8, 31, v1
	s_add_u32 s6, s18, s2
	s_mov_b32 s3, s2
	s_addc_u32 s7, s19, s2
	s_xor_b64 s[6:7], s[6:7], s[2:3]
	v_add_co_u32 v4, vcc_lo, v0, v8
	v_cvt_f32_u32_e32 v2, s6
	v_cvt_f32_u32_e32 v3, s7
	s_sub_u32 s8, 0, s6
	s_subb_u32 s9, 0, s7
	v_add_co_ci_u32_e64 v5, null, v1, v8, vcc_lo
	v_fmamk_f32 v2, v3, 0x4f800000, v2
	v_xor_b32_e32 v9, v4, v8
	v_xor_b32_e32 v10, v5, v8
	v_rcp_f32_e32 v2, v2
	v_mul_f32_e32 v2, 0x5f7ffffc, v2
	v_mul_f32_e32 v3, 0x2f800000, v2
	v_trunc_f32_e32 v3, v3
	v_fmamk_f32 v2, v3, 0xcf800000, v2
	v_cvt_u32_f32_e32 v3, v3
	v_cvt_u32_f32_e32 v2, v2
	v_readfirstlane_b32 s0, v3
	v_readfirstlane_b32 s3, v2
	s_mul_i32 s10, s8, s0
	s_mul_hi_u32 s12, s8, s3
	s_mul_i32 s11, s9, s3
	s_add_i32 s10, s12, s10
	s_mul_i32 s13, s8, s3
	s_add_i32 s10, s10, s11
	s_mul_hi_u32 s12, s3, s13
	s_mul_i32 s15, s3, s10
	s_mul_hi_u32 s14, s0, s13
	s_mul_i32 s11, s0, s13
	s_mul_hi_u32 s13, s3, s10
	s_add_u32 s12, s12, s15
	s_addc_u32 s13, 0, s13
	s_mul_hi_u32 s16, s0, s10
	s_add_u32 s11, s12, s11
	s_mul_i32 s10, s0, s10
	s_addc_u32 s11, s13, s14
	s_addc_u32 s12, s16, 0
	s_add_u32 s10, s11, s10
	s_addc_u32 s11, 0, s12
	s_add_u32 s3, s3, s10
	s_cselect_b32 s10, -1, 0
	s_mul_hi_u32 s12, s8, s3
	s_cmp_lg_u32 s10, 0
	s_mul_i32 s10, s8, s3
	s_addc_u32 s0, s0, s11
	s_mul_i32 s9, s9, s3
	s_mul_i32 s8, s8, s0
	s_mul_hi_u32 s11, s3, s10
	s_add_i32 s8, s12, s8
	s_mul_hi_u32 s12, s0, s10
	s_add_i32 s8, s8, s9
	s_mul_i32 s9, s0, s10
	s_mul_i32 s14, s3, s8
	s_mul_hi_u32 s13, s3, s8
	s_add_u32 s11, s11, s14
	s_addc_u32 s13, 0, s13
	s_mul_hi_u32 s10, s0, s8
	s_add_u32 s9, s11, s9
	s_mul_i32 s8, s0, s8
	s_addc_u32 s9, s13, s12
	s_addc_u32 s10, s10, 0
	s_add_u32 s8, s9, s8
	s_addc_u32 s9, 0, s10
	s_add_u32 s3, s3, s8
	s_cselect_b32 s8, -1, 0
	v_mul_hi_u32 v11, v9, s3
	s_cmp_lg_u32 s8, 0
	v_mad_u64_u32 v[4:5], null, v10, s3, 0
	s_addc_u32 s0, s0, s9
	v_mad_u64_u32 v[2:3], null, v9, s0, 0
	v_mad_u64_u32 v[6:7], null, v10, s0, 0
	v_add_co_u32 v2, vcc_lo, v11, v2
	v_add_co_ci_u32_e64 v3, null, 0, v3, vcc_lo
	v_add_co_u32 v2, vcc_lo, v2, v4
	v_add_co_ci_u32_e32 v2, vcc_lo, v3, v5, vcc_lo
	v_add_co_ci_u32_e32 v3, vcc_lo, 0, v7, vcc_lo
	v_add_co_u32 v4, vcc_lo, v2, v6
	v_add_co_ci_u32_e64 v5, null, 0, v3, vcc_lo
	v_mul_lo_u32 v6, s7, v4
	v_mad_u64_u32 v[2:3], null, s6, v4, 0
	v_mul_lo_u32 v7, s6, v5
	v_sub_co_u32 v2, vcc_lo, v9, v2
	v_add3_u32 v3, v3, v7, v6
	v_add_co_u32 v7, s0, v4, 2
	v_add_co_ci_u32_e64 v9, null, 0, v5, s0
	v_sub_nc_u32_e32 v6, v10, v3
	v_sub_co_u32 v11, s0, v2, s6
	v_sub_co_ci_u32_e64 v3, null, v10, v3, vcc_lo
	v_subrev_co_ci_u32_e64 v6, null, s7, v6, vcc_lo
	v_cmp_le_u32_e32 vcc_lo, s6, v11
	v_subrev_co_ci_u32_e64 v6, null, 0, v6, s0
	v_cndmask_b32_e64 v10, 0, -1, vcc_lo
	v_cmp_le_u32_e32 vcc_lo, s7, v6
	v_cndmask_b32_e64 v11, 0, -1, vcc_lo
	v_cmp_le_u32_e32 vcc_lo, s6, v2
	;; [unrolled: 2-line block ×3, first 2 shown]
	v_cndmask_b32_e64 v12, 0, -1, vcc_lo
	v_cmp_eq_u32_e32 vcc_lo, s7, v6
	v_cndmask_b32_e32 v6, v11, v10, vcc_lo
	v_add_co_u32 v10, vcc_lo, v4, 1
	v_add_co_ci_u32_e64 v11, null, 0, v5, vcc_lo
	v_cmp_eq_u32_e32 vcc_lo, s7, v3
	v_cndmask_b32_e32 v2, v12, v2, vcc_lo
	v_cmp_ne_u32_e32 vcc_lo, 0, v6
	v_xor_b32_e32 v6, s2, v8
	v_cmp_ne_u32_e64 s0, 0, v2
	v_cndmask_b32_e32 v2, v10, v7, vcc_lo
	v_cndmask_b32_e32 v3, v11, v9, vcc_lo
	v_cndmask_b32_e64 v2, v4, v2, s0
	v_cndmask_b32_e64 v3, v5, v3, s0
	v_xor_b32_e32 v2, v2, v6
	v_xor_b32_e32 v3, v3, v6
	v_sub_co_u32 v4, vcc_lo, v2, v6
	v_sub_co_ci_u32_e64 v5, null, v3, v6, vcc_lo
.LBB76_3:
	s_or_saveexec_b32 s0, s1
	s_clause 0x1
	s_load_dwordx8 s[8:15], s[4:5], 0x8
	s_load_dwordx8 s[24:31], s[4:5], 0x60
	s_xor_b32 exec_lo, exec_lo, s0
	s_cbranch_execz .LBB76_5
; %bb.4:
	v_cvt_f32_u32_e32 v2, s18
	s_sub_i32 s1, 0, s18
	v_rcp_iflag_f32_e32 v2, v2
	v_mul_f32_e32 v2, 0x4f7ffffe, v2
	v_cvt_u32_f32_e32 v2, v2
	v_mul_lo_u32 v3, s1, v2
	v_mul_hi_u32 v3, v2, v3
	v_add_nc_u32_e32 v2, v2, v3
	v_mul_hi_u32 v2, v0, v2
	v_mul_lo_u32 v3, v2, s18
	v_add_nc_u32_e32 v4, 1, v2
	v_sub_nc_u32_e32 v3, v0, v3
	v_subrev_nc_u32_e32 v5, s18, v3
	v_cmp_le_u32_e32 vcc_lo, s18, v3
	v_cndmask_b32_e32 v3, v3, v5, vcc_lo
	v_cndmask_b32_e32 v2, v2, v4, vcc_lo
	v_mov_b32_e32 v5, 0
	v_cmp_le_u32_e32 vcc_lo, s18, v3
	v_add_nc_u32_e32 v4, 1, v2
	v_cndmask_b32_e32 v4, v2, v4, vcc_lo
.LBB76_5:
	s_or_b32 exec_lo, exec_lo, s0
	v_or_b32_e32 v3, s37, v5
	v_mov_b32_e32 v2, 0
	v_cmp_ne_u64_e32 vcc_lo, 0, v[2:3]
                                        ; implicit-def: $vgpr2_vgpr3
	s_and_saveexec_b32 s0, vcc_lo
	s_xor_b32 s1, exec_lo, s0
	s_cbranch_execz .LBB76_7
; %bb.6:
	s_ashr_i32 s2, s37, 31
	v_ashrrev_i32_e32 v10, 31, v5
	s_add_u32 s6, s36, s2
	s_mov_b32 s3, s2
	s_addc_u32 s7, s37, s2
	s_xor_b64 s[6:7], s[6:7], s[2:3]
	v_add_co_u32 v6, vcc_lo, v4, v10
	v_cvt_f32_u32_e32 v2, s6
	v_cvt_f32_u32_e32 v3, s7
	s_sub_u32 s16, 0, s6
	s_subb_u32 s17, 0, s7
	v_add_co_ci_u32_e64 v7, null, v5, v10, vcc_lo
	v_fmamk_f32 v2, v3, 0x4f800000, v2
	v_xor_b32_e32 v11, v6, v10
	v_xor_b32_e32 v12, v7, v10
	v_rcp_f32_e32 v2, v2
	v_mul_f32_e32 v2, 0x5f7ffffc, v2
	v_mul_f32_e32 v3, 0x2f800000, v2
	v_trunc_f32_e32 v3, v3
	v_fmamk_f32 v2, v3, 0xcf800000, v2
	v_cvt_u32_f32_e32 v3, v3
	v_cvt_u32_f32_e32 v2, v2
	v_readfirstlane_b32 s0, v3
	v_readfirstlane_b32 s3, v2
	s_waitcnt lgkmcnt(0)
	s_mul_i32 s30, s16, s0
	s_mul_hi_u32 s33, s16, s3
	s_mul_i32 s31, s17, s3
	s_add_i32 s30, s33, s30
	s_mul_i32 s34, s16, s3
	s_add_i32 s30, s30, s31
	s_mul_hi_u32 s33, s3, s34
	s_mul_i32 s40, s3, s30
	s_mul_hi_u32 s35, s0, s34
	s_mul_i32 s31, s0, s34
	s_mul_hi_u32 s34, s3, s30
	s_add_u32 s33, s33, s40
	s_addc_u32 s34, 0, s34
	s_mul_hi_u32 s41, s0, s30
	s_add_u32 s31, s33, s31
	s_mul_i32 s30, s0, s30
	s_addc_u32 s31, s34, s35
	s_addc_u32 s33, s41, 0
	s_add_u32 s30, s31, s30
	s_addc_u32 s31, 0, s33
	s_add_u32 s3, s3, s30
	s_cselect_b32 s30, -1, 0
	s_mul_hi_u32 s33, s16, s3
	s_cmp_lg_u32 s30, 0
	s_mul_i32 s30, s16, s3
	s_addc_u32 s0, s0, s31
	s_mul_i32 s17, s17, s3
	s_mul_i32 s16, s16, s0
	s_mul_hi_u32 s31, s3, s30
	s_add_i32 s16, s33, s16
	s_mul_hi_u32 s33, s0, s30
	s_add_i32 s16, s16, s17
	s_mul_i32 s17, s0, s30
	s_mul_i32 s35, s3, s16
	s_mul_hi_u32 s34, s3, s16
	s_add_u32 s31, s31, s35
	s_addc_u32 s34, 0, s34
	s_mul_hi_u32 s30, s0, s16
	s_add_u32 s17, s31, s17
	s_mul_i32 s16, s0, s16
	s_addc_u32 s17, s34, s33
	s_addc_u32 s30, s30, 0
	s_add_u32 s16, s17, s16
	s_addc_u32 s17, 0, s30
	s_add_u32 s3, s3, s16
	s_cselect_b32 s16, -1, 0
	v_mul_hi_u32 v13, v11, s3
	s_cmp_lg_u32 s16, 0
	v_mad_u64_u32 v[6:7], null, v12, s3, 0
	s_addc_u32 s0, s0, s17
	v_mad_u64_u32 v[2:3], null, v11, s0, 0
	v_mad_u64_u32 v[8:9], null, v12, s0, 0
	v_add_co_u32 v2, vcc_lo, v13, v2
	v_add_co_ci_u32_e64 v3, null, 0, v3, vcc_lo
	v_add_co_u32 v2, vcc_lo, v2, v6
	v_add_co_ci_u32_e32 v2, vcc_lo, v3, v7, vcc_lo
	v_add_co_ci_u32_e32 v3, vcc_lo, 0, v9, vcc_lo
	v_add_co_u32 v6, vcc_lo, v2, v8
	v_add_co_ci_u32_e64 v7, null, 0, v3, vcc_lo
	v_mul_lo_u32 v8, s7, v6
	v_mad_u64_u32 v[2:3], null, s6, v6, 0
	v_mul_lo_u32 v9, s6, v7
	v_sub_co_u32 v2, vcc_lo, v11, v2
	v_add3_u32 v3, v3, v9, v8
	v_add_co_u32 v9, s0, v6, 2
	v_add_co_ci_u32_e64 v11, null, 0, v7, s0
	v_sub_nc_u32_e32 v8, v12, v3
	v_sub_co_u32 v13, s0, v2, s6
	v_sub_co_ci_u32_e64 v3, null, v12, v3, vcc_lo
	v_subrev_co_ci_u32_e64 v8, null, s7, v8, vcc_lo
	v_cmp_le_u32_e32 vcc_lo, s6, v13
	v_subrev_co_ci_u32_e64 v8, null, 0, v8, s0
	v_cndmask_b32_e64 v12, 0, -1, vcc_lo
	v_cmp_le_u32_e32 vcc_lo, s7, v8
	v_cndmask_b32_e64 v13, 0, -1, vcc_lo
	v_cmp_le_u32_e32 vcc_lo, s6, v2
	;; [unrolled: 2-line block ×3, first 2 shown]
	v_cndmask_b32_e64 v14, 0, -1, vcc_lo
	v_cmp_eq_u32_e32 vcc_lo, s7, v8
	v_cndmask_b32_e32 v8, v13, v12, vcc_lo
	v_add_co_u32 v12, vcc_lo, v6, 1
	v_add_co_ci_u32_e64 v13, null, 0, v7, vcc_lo
	v_cmp_eq_u32_e32 vcc_lo, s7, v3
	v_cndmask_b32_e32 v2, v14, v2, vcc_lo
	v_cmp_ne_u32_e32 vcc_lo, 0, v8
	v_xor_b32_e32 v8, s2, v10
	v_cmp_ne_u32_e64 s0, 0, v2
	v_cndmask_b32_e32 v2, v12, v9, vcc_lo
	v_cndmask_b32_e32 v3, v13, v11, vcc_lo
	v_cndmask_b32_e64 v2, v6, v2, s0
	v_cndmask_b32_e64 v3, v7, v3, s0
	v_xor_b32_e32 v2, v2, v8
	v_xor_b32_e32 v3, v3, v8
	v_sub_co_u32 v2, vcc_lo, v2, v8
	v_sub_co_ci_u32_e64 v3, null, v3, v8, vcc_lo
.LBB76_7:
	s_andn2_saveexec_b32 s0, s1
	s_cbranch_execz .LBB76_9
; %bb.8:
	v_cvt_f32_u32_e32 v2, s36
	s_sub_i32 s1, 0, s36
	v_rcp_iflag_f32_e32 v2, v2
	v_mul_f32_e32 v2, 0x4f7ffffe, v2
	v_cvt_u32_f32_e32 v2, v2
	v_mul_lo_u32 v3, s1, v2
	v_mul_hi_u32 v3, v2, v3
	v_add_nc_u32_e32 v2, v2, v3
	v_mul_hi_u32 v2, v4, v2
	v_mul_lo_u32 v3, v2, s36
	v_add_nc_u32_e32 v6, 1, v2
	v_sub_nc_u32_e32 v3, v4, v3
	v_subrev_nc_u32_e32 v7, s36, v3
	v_cmp_le_u32_e32 vcc_lo, s36, v3
	v_cndmask_b32_e32 v3, v3, v7, vcc_lo
	v_cndmask_b32_e32 v2, v2, v6, vcc_lo
	v_cmp_le_u32_e32 vcc_lo, s36, v3
	v_add_nc_u32_e32 v6, 1, v2
	v_mov_b32_e32 v3, 0
	v_cndmask_b32_e32 v2, v2, v6, vcc_lo
.LBB76_9:
	s_or_b32 exec_lo, exec_lo, s0
	s_load_dword s1, s[4:5], 0x38
	v_mul_lo_u32 v6, v3, s36
	v_mul_lo_u32 v7, v2, s37
	v_mad_u64_u32 v[8:9], null, v2, s36, 0
	s_load_dword s4, s[4:5], 0x0
	v_mul_lo_u32 v14, v5, s18
	v_mul_lo_u32 v15, v4, s19
	s_mov_b32 s5, exec_lo
	v_add3_u32 v9, v9, v7, v6
	v_sub_co_u32 v6, vcc_lo, v4, v8
	v_sub_co_ci_u32_e64 v7, null, v5, v9, vcc_lo
	v_mad_u64_u32 v[4:5], null, v4, s18, 0
	s_waitcnt lgkmcnt(0)
	s_lshr_b32 s0, s1, 16
	s_add_u32 s2, s36, 1
	s_addc_u32 s3, s37, 0
	s_mul_hi_u32 s6, s28, s2
	s_mul_i32 s3, s28, s3
	s_mul_i32 s7, s29, s2
	s_add_i32 s3, s6, s3
	s_mul_i32 s2, s28, s2
	s_add_i32 s3, s3, s7
	v_mul_lo_u32 v12, s2, v3
	v_mad_u64_u32 v[10:11], null, s2, v2, 0
	v_mul_lo_u32 v13, s3, v2
	v_add3_u32 v5, v5, v15, v14
	v_mov_b32_e32 v16, s0
	v_add3_u32 v11, v11, v12, v13
	v_lshlrev_b64 v[12:13], 2, v[10:11]
	v_lshlrev_b64 v[10:11], 2, v[6:7]
	v_add_co_u32 v12, vcc_lo, s14, v12
	v_add_co_ci_u32_e64 v13, null, s15, v13, vcc_lo
	v_add_co_u32 v12, vcc_lo, v12, v10
	v_add_co_ci_u32_e64 v13, null, v13, v11, vcc_lo
	global_load_dwordx2 v[12:13], v[12:13], off
	s_waitcnt vmcnt(0)
	v_cmpx_lt_i32_e64 v12, v13
	s_cbranch_execz .LBB76_28
; %bb.10:
	v_mul_lo_u32 v18, v3, s22
	v_mul_lo_u32 v19, v2, s23
	v_mad_u64_u32 v[14:15], null, v2, s22, 0
	v_ashrrev_i32_e32 v17, 31, v12
	v_mov_b32_e32 v16, v12
	s_cmp_lg_u32 s4, 0
	s_mov_b32 s7, 0
	s_cselect_b32 s6, -1, 0
	s_and_b32 s2, s4, -3
	v_add3_u32 v15, v15, v19, v18
	v_lshlrev_b64 v[16:17], 1, v[16:17]
	s_cmp_lg_u32 s2, 1
	v_lshlrev_b64 v[14:15], 1, v[14:15]
	v_add_co_u32 v16, vcc_lo, v14, v16
	v_add_co_ci_u32_e64 v17, null, v15, v17, vcc_lo
	v_lshlrev_b64 v[14:15], 1, v[0:1]
	v_mul_lo_u32 v19, s21, v16
	v_mul_lo_u32 v18, s20, v17
	v_mad_u64_u32 v[14:15], null, s20, v16, v[14:15]
	v_lshlrev_b64 v[16:17], 1, v[4:5]
	v_add3_u32 v15, v19, v15, v18
	v_sub_co_u32 v14, vcc_lo, v14, v16
	v_sub_co_ci_u32_e64 v15, null, v15, v17, vcc_lo
	v_add_co_u32 v14, vcc_lo, s10, v14
	v_mov_b32_e32 v17, s0
	v_add_co_ci_u32_e64 v15, null, s11, v15, vcc_lo
	s_cselect_b32 s10, -1, 0
	s_lshl_b64 s[2:3], s[20:21], 1
	s_branch .LBB76_12
.LBB76_11:                              ;   in Loop: Header=BB76_12 Depth=1
	v_add_nc_u32_e32 v12, 1, v12
	v_add_co_u32 v14, s0, v14, s2
	v_add_co_ci_u32_e64 v15, null, s3, v15, s0
	v_cmp_ge_i32_e32 vcc_lo, v12, v13
	v_mov_b32_e32 v17, v16
	s_or_b32 s7, vcc_lo, s7
	s_andn2_b32 exec_lo, exec_lo, s7
	s_cbranch_execz .LBB76_27
.LBB76_12:                              ; =>This Inner Loop Header: Depth=1
	global_load_ushort v18, v[14:15], off
	s_and_b32 vcc_lo, exec_lo, s6
	s_cbranch_vccz .LBB76_25
; %bb.13:                               ;   in Loop: Header=BB76_12 Depth=1
	s_and_b32 vcc_lo, exec_lo, s10
	s_mov_b32 s0, -1
                                        ; implicit-def: $vgpr16
	s_cbranch_vccz .LBB76_22
; %bb.14:                               ;   in Loop: Header=BB76_12 Depth=1
	s_cmp_lt_i32 s4, 4
                                        ; implicit-def: $vgpr16
	s_cbranch_scc1 .LBB76_18
; %bb.15:                               ;   in Loop: Header=BB76_12 Depth=1
	v_mov_b32_e32 v16, v17
	s_cmp_eq_u32 s4, 4
	s_cbranch_scc0 .LBB76_17
; %bb.16:                               ;   in Loop: Header=BB76_12 Depth=1
	s_waitcnt vmcnt(0)
	v_mul_f16_e32 v16, v17, v18
.LBB76_17:                              ;   in Loop: Header=BB76_12 Depth=1
	s_mov_b32 s0, 0
.LBB76_18:                              ;   in Loop: Header=BB76_12 Depth=1
	s_andn2_b32 vcc_lo, exec_lo, s0
	s_cbranch_vccnz .LBB76_21
; %bb.19:                               ;   in Loop: Header=BB76_12 Depth=1
	v_mov_b32_e32 v16, v17
	s_cmp_lg_u32 s4, 2
	s_cbranch_scc1 .LBB76_21
; %bb.20:                               ;   in Loop: Header=BB76_12 Depth=1
	s_waitcnt vmcnt(0)
	v_cmp_u_f16_e32 vcc_lo, v18, v18
	v_cmp_gt_f16_e64 s0, v17, v18
	s_or_b32 vcc_lo, vcc_lo, s0
	v_cndmask_b32_e32 v16, v17, v18, vcc_lo
.LBB76_21:                              ;   in Loop: Header=BB76_12 Depth=1
	s_mov_b32 s0, 0
.LBB76_22:                              ;   in Loop: Header=BB76_12 Depth=1
	s_and_b32 vcc_lo, exec_lo, s0
	s_cbranch_vccz .LBB76_24
; %bb.23:                               ;   in Loop: Header=BB76_12 Depth=1
	s_waitcnt vmcnt(0)
	v_add_f16_e32 v16, v17, v18
.LBB76_24:                              ;   in Loop: Header=BB76_12 Depth=1
	s_cbranch_execnz .LBB76_11
	s_branch .LBB76_26
.LBB76_25:                              ;   in Loop: Header=BB76_12 Depth=1
                                        ; implicit-def: $vgpr16
.LBB76_26:                              ;   in Loop: Header=BB76_12 Depth=1
	s_waitcnt vmcnt(0)
	v_cmp_u_f16_e32 vcc_lo, v18, v18
	v_cmp_lt_f16_e64 s0, v17, v18
	s_or_b32 vcc_lo, vcc_lo, s0
	v_cndmask_b32_e32 v16, v17, v18, vcc_lo
	s_branch .LBB76_11
.LBB76_27:
	s_or_b32 exec_lo, exec_lo, s7
.LBB76_28:
	s_or_b32 exec_lo, exec_lo, s5
	v_mul_lo_u32 v12, v9, s38
	v_mul_lo_u32 v13, v8, s39
	v_mad_u64_u32 v[8:9], null, v8, s38, 0
	s_mov_b32 s0, exec_lo
	v_add3_u32 v9, v9, v13, v12
	v_lshlrev_b64 v[8:9], 2, v[8:9]
	v_add_co_u32 v8, vcc_lo, s12, v8
	v_add_co_ci_u32_e64 v9, null, s13, v9, vcc_lo
	v_add_co_u32 v8, vcc_lo, v8, v10
	v_add_co_ci_u32_e64 v9, null, v9, v11, vcc_lo
	global_load_dword v9, v[8:9], off
	s_waitcnt vmcnt(0)
	v_cmpx_lt_i32_e32 -1, v9
	s_xor_b32 s0, exec_lo, s0
	s_cbranch_execz .LBB76_36
; %bb.29:
	v_cmp_ne_u32_e32 vcc_lo, 0, v9
	s_bitcmp1_b32 s1, 0
	v_mov_b32_e32 v8, 0x7e00
	s_cselect_b32 s1, -1, 0
	s_or_b32 s1, s1, vcc_lo
	s_cmp_lg_u32 s4, 1
	s_cselect_b32 s2, -1, 0
	s_or_b32 s3, s2, s1
	s_and_saveexec_b32 s1, s3
	s_cbranch_execz .LBB76_35
; %bb.30:
	v_cmp_ne_u32_e32 vcc_lo, 0, v9
	s_xor_b32 s2, s2, -1
	s_and_b32 s3, s2, vcc_lo
	s_and_saveexec_b32 s2, s3
	s_cbranch_execz .LBB76_34
; %bb.31:
	s_mov_b32 s3, exec_lo
	v_cmpx_o_f16_e32 v16, v16
	s_cbranch_execz .LBB76_33
; %bb.32:
	v_cvt_f32_u32_e32 v8, v9
	v_cvt_f32_f16_e32 v10, v16
	v_cvt_f16_f32_e32 v8, v8
	v_cvt_f32_f16_e32 v9, v8
	v_rcp_f32_e32 v9, v9
	v_mul_f32_e32 v10, v10, v9
	v_fma_mix_f32 v11, -v8, v10, v16 op_sel_hi:[1,0,1]
	v_fmac_f32_e32 v10, v11, v9
	v_fma_mix_f32 v11, -v8, v10, v16 op_sel_hi:[1,0,1]
	v_mul_f32_e32 v9, v11, v9
	v_and_b32_e32 v9, 0xff800000, v9
	v_add_f32_e32 v9, v9, v10
	v_cvt_f16_f32_e32 v9, v9
	v_div_fixup_f16 v16, v9, v8, v16
.LBB76_33:
	s_or_b32 exec_lo, exec_lo, s3
.LBB76_34:
	s_or_b32 exec_lo, exec_lo, s2
	v_mov_b32_e32 v8, v16
.LBB76_35:
	s_or_b32 exec_lo, exec_lo, s1
	s_mul_i32 s1, s26, s25
	s_mul_hi_u32 s2, s26, s24
	s_mul_i32 s3, s27, s24
	s_add_i32 s1, s2, s1
	s_mul_i32 s2, s26, s24
	s_add_i32 s1, s1, s3
	v_mul_lo_u32 v10, s2, v3
	v_mul_lo_u32 v9, s1, v2
	v_mad_u64_u32 v[2:3], null, s2, v2, 0
	v_mul_lo_u32 v11, v7, s24
	v_mul_lo_u32 v12, v6, s25
	v_mad_u64_u32 v[6:7], null, v6, s24, 0
	v_sub_co_u32 v0, vcc_lo, v0, v4
	v_add3_u32 v3, v3, v10, v9
	v_sub_co_ci_u32_e64 v1, null, v1, v5, vcc_lo
	v_add3_u32 v7, v7, v12, v11
	v_lshlrev_b64 v[2:3], 1, v[2:3]
	v_lshlrev_b64 v[0:1], 1, v[0:1]
	;; [unrolled: 1-line block ×3, first 2 shown]
	v_add_co_u32 v2, vcc_lo, s8, v2
	v_add_co_ci_u32_e64 v3, null, s9, v3, vcc_lo
	v_add_co_u32 v2, vcc_lo, v2, v4
	v_add_co_ci_u32_e64 v3, null, v3, v5, vcc_lo
	;; [unrolled: 2-line block ×3, first 2 shown]
	global_store_short v[0:1], v8, off
.LBB76_36:
	s_andn2_saveexec_b32 s0, s0
	s_cbranch_execnz .LBB76_38
.LBB76_37:
	s_endpgm
.LBB76_38:
	s_trap 2
	; divergent unreachable
	s_endpgm
	.section	.rodata,"a",@progbits
	.p2align	6, 0x0
	.amdhsa_kernel _ZN2at6native12_GLOBAL__N_129segment_reduce_forward_kernelIN3c104HalfEiEEvNS0_13ReductionTypeEPT_PKS6_PKT0_SC_llbS6_lllllll
		.amdhsa_group_segment_fixed_size 0
		.amdhsa_private_segment_fixed_size 0
		.amdhsa_kernarg_size 376
		.amdhsa_user_sgpr_count 6
		.amdhsa_user_sgpr_private_segment_buffer 1
		.amdhsa_user_sgpr_dispatch_ptr 0
		.amdhsa_user_sgpr_queue_ptr 0
		.amdhsa_user_sgpr_kernarg_segment_ptr 1
		.amdhsa_user_sgpr_dispatch_id 0
		.amdhsa_user_sgpr_flat_scratch_init 0
		.amdhsa_user_sgpr_private_segment_size 0
		.amdhsa_wavefront_size32 1
		.amdhsa_uses_dynamic_stack 0
		.amdhsa_system_sgpr_private_segment_wavefront_offset 0
		.amdhsa_system_sgpr_workgroup_id_x 1
		.amdhsa_system_sgpr_workgroup_id_y 0
		.amdhsa_system_sgpr_workgroup_id_z 0
		.amdhsa_system_sgpr_workgroup_info 0
		.amdhsa_system_vgpr_workitem_id 0
		.amdhsa_next_free_vgpr 20
		.amdhsa_next_free_sgpr 42
		.amdhsa_reserve_vcc 1
		.amdhsa_reserve_flat_scratch 0
		.amdhsa_float_round_mode_32 0
		.amdhsa_float_round_mode_16_64 0
		.amdhsa_float_denorm_mode_32 3
		.amdhsa_float_denorm_mode_16_64 3
		.amdhsa_dx10_clamp 1
		.amdhsa_ieee_mode 1
		.amdhsa_fp16_overflow 0
		.amdhsa_workgroup_processor_mode 1
		.amdhsa_memory_ordered 1
		.amdhsa_forward_progress 1
		.amdhsa_shared_vgpr_count 0
		.amdhsa_exception_fp_ieee_invalid_op 0
		.amdhsa_exception_fp_denorm_src 0
		.amdhsa_exception_fp_ieee_div_zero 0
		.amdhsa_exception_fp_ieee_overflow 0
		.amdhsa_exception_fp_ieee_underflow 0
		.amdhsa_exception_fp_ieee_inexact 0
		.amdhsa_exception_int_div_zero 0
	.end_amdhsa_kernel
	.section	.text._ZN2at6native12_GLOBAL__N_129segment_reduce_forward_kernelIN3c104HalfEiEEvNS0_13ReductionTypeEPT_PKS6_PKT0_SC_llbS6_lllllll,"axG",@progbits,_ZN2at6native12_GLOBAL__N_129segment_reduce_forward_kernelIN3c104HalfEiEEvNS0_13ReductionTypeEPT_PKS6_PKT0_SC_llbS6_lllllll,comdat
.Lfunc_end76:
	.size	_ZN2at6native12_GLOBAL__N_129segment_reduce_forward_kernelIN3c104HalfEiEEvNS0_13ReductionTypeEPT_PKS6_PKT0_SC_llbS6_lllllll, .Lfunc_end76-_ZN2at6native12_GLOBAL__N_129segment_reduce_forward_kernelIN3c104HalfEiEEvNS0_13ReductionTypeEPT_PKS6_PKT0_SC_llbS6_lllllll
                                        ; -- End function
	.set _ZN2at6native12_GLOBAL__N_129segment_reduce_forward_kernelIN3c104HalfEiEEvNS0_13ReductionTypeEPT_PKS6_PKT0_SC_llbS6_lllllll.num_vgpr, 20
	.set _ZN2at6native12_GLOBAL__N_129segment_reduce_forward_kernelIN3c104HalfEiEEvNS0_13ReductionTypeEPT_PKS6_PKT0_SC_llbS6_lllllll.num_agpr, 0
	.set _ZN2at6native12_GLOBAL__N_129segment_reduce_forward_kernelIN3c104HalfEiEEvNS0_13ReductionTypeEPT_PKS6_PKT0_SC_llbS6_lllllll.numbered_sgpr, 42
	.set _ZN2at6native12_GLOBAL__N_129segment_reduce_forward_kernelIN3c104HalfEiEEvNS0_13ReductionTypeEPT_PKS6_PKT0_SC_llbS6_lllllll.num_named_barrier, 0
	.set _ZN2at6native12_GLOBAL__N_129segment_reduce_forward_kernelIN3c104HalfEiEEvNS0_13ReductionTypeEPT_PKS6_PKT0_SC_llbS6_lllllll.private_seg_size, 0
	.set _ZN2at6native12_GLOBAL__N_129segment_reduce_forward_kernelIN3c104HalfEiEEvNS0_13ReductionTypeEPT_PKS6_PKT0_SC_llbS6_lllllll.uses_vcc, 1
	.set _ZN2at6native12_GLOBAL__N_129segment_reduce_forward_kernelIN3c104HalfEiEEvNS0_13ReductionTypeEPT_PKS6_PKT0_SC_llbS6_lllllll.uses_flat_scratch, 0
	.set _ZN2at6native12_GLOBAL__N_129segment_reduce_forward_kernelIN3c104HalfEiEEvNS0_13ReductionTypeEPT_PKS6_PKT0_SC_llbS6_lllllll.has_dyn_sized_stack, 0
	.set _ZN2at6native12_GLOBAL__N_129segment_reduce_forward_kernelIN3c104HalfEiEEvNS0_13ReductionTypeEPT_PKS6_PKT0_SC_llbS6_lllllll.has_recursion, 0
	.set _ZN2at6native12_GLOBAL__N_129segment_reduce_forward_kernelIN3c104HalfEiEEvNS0_13ReductionTypeEPT_PKS6_PKT0_SC_llbS6_lllllll.has_indirect_call, 0
	.section	.AMDGPU.csdata,"",@progbits
; Kernel info:
; codeLenInByte = 2780
; TotalNumSgprs: 44
; NumVgprs: 20
; ScratchSize: 0
; MemoryBound: 0
; FloatMode: 240
; IeeeMode: 1
; LDSByteSize: 0 bytes/workgroup (compile time only)
; SGPRBlocks: 0
; VGPRBlocks: 2
; NumSGPRsForWavesPerEU: 44
; NumVGPRsForWavesPerEU: 20
; Occupancy: 16
; WaveLimiterHint : 0
; COMPUTE_PGM_RSRC2:SCRATCH_EN: 0
; COMPUTE_PGM_RSRC2:USER_SGPR: 6
; COMPUTE_PGM_RSRC2:TRAP_HANDLER: 0
; COMPUTE_PGM_RSRC2:TGID_X_EN: 1
; COMPUTE_PGM_RSRC2:TGID_Y_EN: 0
; COMPUTE_PGM_RSRC2:TGID_Z_EN: 0
; COMPUTE_PGM_RSRC2:TIDIG_COMP_CNT: 0
	.section	.text._ZN7rocprim17ROCPRIM_400000_NS6detail17trampoline_kernelINS0_14default_configENS1_32segmented_reduce_config_selectorIN3c104HalfEEEZNS1_21segmented_reduce_implIS3_PKS6_PS6_PKiS6_N6hipcub16HIPCUB_304000_NS6detail27convert_result_type_wrapperISA_SB_N2at6native12_GLOBAL__N_19CustomMaxEEEEE10hipError_tPvRmT0_T1_jT2_SS_T4_T3_P12ihipStream_tbEUlT_E_NS1_11comp_targetILNS1_3genE0ELNS1_11target_archE4294967295ELNS1_3gpuE0ELNS1_3repE0EEENS1_30default_config_static_selectorELNS0_4arch9wavefront6targetE0EEEvSR_,"axG",@progbits,_ZN7rocprim17ROCPRIM_400000_NS6detail17trampoline_kernelINS0_14default_configENS1_32segmented_reduce_config_selectorIN3c104HalfEEEZNS1_21segmented_reduce_implIS3_PKS6_PS6_PKiS6_N6hipcub16HIPCUB_304000_NS6detail27convert_result_type_wrapperISA_SB_N2at6native12_GLOBAL__N_19CustomMaxEEEEE10hipError_tPvRmT0_T1_jT2_SS_T4_T3_P12ihipStream_tbEUlT_E_NS1_11comp_targetILNS1_3genE0ELNS1_11target_archE4294967295ELNS1_3gpuE0ELNS1_3repE0EEENS1_30default_config_static_selectorELNS0_4arch9wavefront6targetE0EEEvSR_,comdat
	.globl	_ZN7rocprim17ROCPRIM_400000_NS6detail17trampoline_kernelINS0_14default_configENS1_32segmented_reduce_config_selectorIN3c104HalfEEEZNS1_21segmented_reduce_implIS3_PKS6_PS6_PKiS6_N6hipcub16HIPCUB_304000_NS6detail27convert_result_type_wrapperISA_SB_N2at6native12_GLOBAL__N_19CustomMaxEEEEE10hipError_tPvRmT0_T1_jT2_SS_T4_T3_P12ihipStream_tbEUlT_E_NS1_11comp_targetILNS1_3genE0ELNS1_11target_archE4294967295ELNS1_3gpuE0ELNS1_3repE0EEENS1_30default_config_static_selectorELNS0_4arch9wavefront6targetE0EEEvSR_ ; -- Begin function _ZN7rocprim17ROCPRIM_400000_NS6detail17trampoline_kernelINS0_14default_configENS1_32segmented_reduce_config_selectorIN3c104HalfEEEZNS1_21segmented_reduce_implIS3_PKS6_PS6_PKiS6_N6hipcub16HIPCUB_304000_NS6detail27convert_result_type_wrapperISA_SB_N2at6native12_GLOBAL__N_19CustomMaxEEEEE10hipError_tPvRmT0_T1_jT2_SS_T4_T3_P12ihipStream_tbEUlT_E_NS1_11comp_targetILNS1_3genE0ELNS1_11target_archE4294967295ELNS1_3gpuE0ELNS1_3repE0EEENS1_30default_config_static_selectorELNS0_4arch9wavefront6targetE0EEEvSR_
	.p2align	8
	.type	_ZN7rocprim17ROCPRIM_400000_NS6detail17trampoline_kernelINS0_14default_configENS1_32segmented_reduce_config_selectorIN3c104HalfEEEZNS1_21segmented_reduce_implIS3_PKS6_PS6_PKiS6_N6hipcub16HIPCUB_304000_NS6detail27convert_result_type_wrapperISA_SB_N2at6native12_GLOBAL__N_19CustomMaxEEEEE10hipError_tPvRmT0_T1_jT2_SS_T4_T3_P12ihipStream_tbEUlT_E_NS1_11comp_targetILNS1_3genE0ELNS1_11target_archE4294967295ELNS1_3gpuE0ELNS1_3repE0EEENS1_30default_config_static_selectorELNS0_4arch9wavefront6targetE0EEEvSR_,@function
_ZN7rocprim17ROCPRIM_400000_NS6detail17trampoline_kernelINS0_14default_configENS1_32segmented_reduce_config_selectorIN3c104HalfEEEZNS1_21segmented_reduce_implIS3_PKS6_PS6_PKiS6_N6hipcub16HIPCUB_304000_NS6detail27convert_result_type_wrapperISA_SB_N2at6native12_GLOBAL__N_19CustomMaxEEEEE10hipError_tPvRmT0_T1_jT2_SS_T4_T3_P12ihipStream_tbEUlT_E_NS1_11comp_targetILNS1_3genE0ELNS1_11target_archE4294967295ELNS1_3gpuE0ELNS1_3repE0EEENS1_30default_config_static_selectorELNS0_4arch9wavefront6targetE0EEEvSR_: ; @_ZN7rocprim17ROCPRIM_400000_NS6detail17trampoline_kernelINS0_14default_configENS1_32segmented_reduce_config_selectorIN3c104HalfEEEZNS1_21segmented_reduce_implIS3_PKS6_PS6_PKiS6_N6hipcub16HIPCUB_304000_NS6detail27convert_result_type_wrapperISA_SB_N2at6native12_GLOBAL__N_19CustomMaxEEEEE10hipError_tPvRmT0_T1_jT2_SS_T4_T3_P12ihipStream_tbEUlT_E_NS1_11comp_targetILNS1_3genE0ELNS1_11target_archE4294967295ELNS1_3gpuE0ELNS1_3repE0EEENS1_30default_config_static_selectorELNS0_4arch9wavefront6targetE0EEEvSR_
; %bb.0:
	.section	.rodata,"a",@progbits
	.p2align	6, 0x0
	.amdhsa_kernel _ZN7rocprim17ROCPRIM_400000_NS6detail17trampoline_kernelINS0_14default_configENS1_32segmented_reduce_config_selectorIN3c104HalfEEEZNS1_21segmented_reduce_implIS3_PKS6_PS6_PKiS6_N6hipcub16HIPCUB_304000_NS6detail27convert_result_type_wrapperISA_SB_N2at6native12_GLOBAL__N_19CustomMaxEEEEE10hipError_tPvRmT0_T1_jT2_SS_T4_T3_P12ihipStream_tbEUlT_E_NS1_11comp_targetILNS1_3genE0ELNS1_11target_archE4294967295ELNS1_3gpuE0ELNS1_3repE0EEENS1_30default_config_static_selectorELNS0_4arch9wavefront6targetE0EEEvSR_
		.amdhsa_group_segment_fixed_size 0
		.amdhsa_private_segment_fixed_size 0
		.amdhsa_kernarg_size 48
		.amdhsa_user_sgpr_count 6
		.amdhsa_user_sgpr_private_segment_buffer 1
		.amdhsa_user_sgpr_dispatch_ptr 0
		.amdhsa_user_sgpr_queue_ptr 0
		.amdhsa_user_sgpr_kernarg_segment_ptr 1
		.amdhsa_user_sgpr_dispatch_id 0
		.amdhsa_user_sgpr_flat_scratch_init 0
		.amdhsa_user_sgpr_private_segment_size 0
		.amdhsa_wavefront_size32 1
		.amdhsa_uses_dynamic_stack 0
		.amdhsa_system_sgpr_private_segment_wavefront_offset 0
		.amdhsa_system_sgpr_workgroup_id_x 1
		.amdhsa_system_sgpr_workgroup_id_y 0
		.amdhsa_system_sgpr_workgroup_id_z 0
		.amdhsa_system_sgpr_workgroup_info 0
		.amdhsa_system_vgpr_workitem_id 0
		.amdhsa_next_free_vgpr 1
		.amdhsa_next_free_sgpr 1
		.amdhsa_reserve_vcc 0
		.amdhsa_reserve_flat_scratch 0
		.amdhsa_float_round_mode_32 0
		.amdhsa_float_round_mode_16_64 0
		.amdhsa_float_denorm_mode_32 3
		.amdhsa_float_denorm_mode_16_64 3
		.amdhsa_dx10_clamp 1
		.amdhsa_ieee_mode 1
		.amdhsa_fp16_overflow 0
		.amdhsa_workgroup_processor_mode 1
		.amdhsa_memory_ordered 1
		.amdhsa_forward_progress 1
		.amdhsa_shared_vgpr_count 0
		.amdhsa_exception_fp_ieee_invalid_op 0
		.amdhsa_exception_fp_denorm_src 0
		.amdhsa_exception_fp_ieee_div_zero 0
		.amdhsa_exception_fp_ieee_overflow 0
		.amdhsa_exception_fp_ieee_underflow 0
		.amdhsa_exception_fp_ieee_inexact 0
		.amdhsa_exception_int_div_zero 0
	.end_amdhsa_kernel
	.section	.text._ZN7rocprim17ROCPRIM_400000_NS6detail17trampoline_kernelINS0_14default_configENS1_32segmented_reduce_config_selectorIN3c104HalfEEEZNS1_21segmented_reduce_implIS3_PKS6_PS6_PKiS6_N6hipcub16HIPCUB_304000_NS6detail27convert_result_type_wrapperISA_SB_N2at6native12_GLOBAL__N_19CustomMaxEEEEE10hipError_tPvRmT0_T1_jT2_SS_T4_T3_P12ihipStream_tbEUlT_E_NS1_11comp_targetILNS1_3genE0ELNS1_11target_archE4294967295ELNS1_3gpuE0ELNS1_3repE0EEENS1_30default_config_static_selectorELNS0_4arch9wavefront6targetE0EEEvSR_,"axG",@progbits,_ZN7rocprim17ROCPRIM_400000_NS6detail17trampoline_kernelINS0_14default_configENS1_32segmented_reduce_config_selectorIN3c104HalfEEEZNS1_21segmented_reduce_implIS3_PKS6_PS6_PKiS6_N6hipcub16HIPCUB_304000_NS6detail27convert_result_type_wrapperISA_SB_N2at6native12_GLOBAL__N_19CustomMaxEEEEE10hipError_tPvRmT0_T1_jT2_SS_T4_T3_P12ihipStream_tbEUlT_E_NS1_11comp_targetILNS1_3genE0ELNS1_11target_archE4294967295ELNS1_3gpuE0ELNS1_3repE0EEENS1_30default_config_static_selectorELNS0_4arch9wavefront6targetE0EEEvSR_,comdat
.Lfunc_end77:
	.size	_ZN7rocprim17ROCPRIM_400000_NS6detail17trampoline_kernelINS0_14default_configENS1_32segmented_reduce_config_selectorIN3c104HalfEEEZNS1_21segmented_reduce_implIS3_PKS6_PS6_PKiS6_N6hipcub16HIPCUB_304000_NS6detail27convert_result_type_wrapperISA_SB_N2at6native12_GLOBAL__N_19CustomMaxEEEEE10hipError_tPvRmT0_T1_jT2_SS_T4_T3_P12ihipStream_tbEUlT_E_NS1_11comp_targetILNS1_3genE0ELNS1_11target_archE4294967295ELNS1_3gpuE0ELNS1_3repE0EEENS1_30default_config_static_selectorELNS0_4arch9wavefront6targetE0EEEvSR_, .Lfunc_end77-_ZN7rocprim17ROCPRIM_400000_NS6detail17trampoline_kernelINS0_14default_configENS1_32segmented_reduce_config_selectorIN3c104HalfEEEZNS1_21segmented_reduce_implIS3_PKS6_PS6_PKiS6_N6hipcub16HIPCUB_304000_NS6detail27convert_result_type_wrapperISA_SB_N2at6native12_GLOBAL__N_19CustomMaxEEEEE10hipError_tPvRmT0_T1_jT2_SS_T4_T3_P12ihipStream_tbEUlT_E_NS1_11comp_targetILNS1_3genE0ELNS1_11target_archE4294967295ELNS1_3gpuE0ELNS1_3repE0EEENS1_30default_config_static_selectorELNS0_4arch9wavefront6targetE0EEEvSR_
                                        ; -- End function
	.set _ZN7rocprim17ROCPRIM_400000_NS6detail17trampoline_kernelINS0_14default_configENS1_32segmented_reduce_config_selectorIN3c104HalfEEEZNS1_21segmented_reduce_implIS3_PKS6_PS6_PKiS6_N6hipcub16HIPCUB_304000_NS6detail27convert_result_type_wrapperISA_SB_N2at6native12_GLOBAL__N_19CustomMaxEEEEE10hipError_tPvRmT0_T1_jT2_SS_T4_T3_P12ihipStream_tbEUlT_E_NS1_11comp_targetILNS1_3genE0ELNS1_11target_archE4294967295ELNS1_3gpuE0ELNS1_3repE0EEENS1_30default_config_static_selectorELNS0_4arch9wavefront6targetE0EEEvSR_.num_vgpr, 0
	.set _ZN7rocprim17ROCPRIM_400000_NS6detail17trampoline_kernelINS0_14default_configENS1_32segmented_reduce_config_selectorIN3c104HalfEEEZNS1_21segmented_reduce_implIS3_PKS6_PS6_PKiS6_N6hipcub16HIPCUB_304000_NS6detail27convert_result_type_wrapperISA_SB_N2at6native12_GLOBAL__N_19CustomMaxEEEEE10hipError_tPvRmT0_T1_jT2_SS_T4_T3_P12ihipStream_tbEUlT_E_NS1_11comp_targetILNS1_3genE0ELNS1_11target_archE4294967295ELNS1_3gpuE0ELNS1_3repE0EEENS1_30default_config_static_selectorELNS0_4arch9wavefront6targetE0EEEvSR_.num_agpr, 0
	.set _ZN7rocprim17ROCPRIM_400000_NS6detail17trampoline_kernelINS0_14default_configENS1_32segmented_reduce_config_selectorIN3c104HalfEEEZNS1_21segmented_reduce_implIS3_PKS6_PS6_PKiS6_N6hipcub16HIPCUB_304000_NS6detail27convert_result_type_wrapperISA_SB_N2at6native12_GLOBAL__N_19CustomMaxEEEEE10hipError_tPvRmT0_T1_jT2_SS_T4_T3_P12ihipStream_tbEUlT_E_NS1_11comp_targetILNS1_3genE0ELNS1_11target_archE4294967295ELNS1_3gpuE0ELNS1_3repE0EEENS1_30default_config_static_selectorELNS0_4arch9wavefront6targetE0EEEvSR_.numbered_sgpr, 0
	.set _ZN7rocprim17ROCPRIM_400000_NS6detail17trampoline_kernelINS0_14default_configENS1_32segmented_reduce_config_selectorIN3c104HalfEEEZNS1_21segmented_reduce_implIS3_PKS6_PS6_PKiS6_N6hipcub16HIPCUB_304000_NS6detail27convert_result_type_wrapperISA_SB_N2at6native12_GLOBAL__N_19CustomMaxEEEEE10hipError_tPvRmT0_T1_jT2_SS_T4_T3_P12ihipStream_tbEUlT_E_NS1_11comp_targetILNS1_3genE0ELNS1_11target_archE4294967295ELNS1_3gpuE0ELNS1_3repE0EEENS1_30default_config_static_selectorELNS0_4arch9wavefront6targetE0EEEvSR_.num_named_barrier, 0
	.set _ZN7rocprim17ROCPRIM_400000_NS6detail17trampoline_kernelINS0_14default_configENS1_32segmented_reduce_config_selectorIN3c104HalfEEEZNS1_21segmented_reduce_implIS3_PKS6_PS6_PKiS6_N6hipcub16HIPCUB_304000_NS6detail27convert_result_type_wrapperISA_SB_N2at6native12_GLOBAL__N_19CustomMaxEEEEE10hipError_tPvRmT0_T1_jT2_SS_T4_T3_P12ihipStream_tbEUlT_E_NS1_11comp_targetILNS1_3genE0ELNS1_11target_archE4294967295ELNS1_3gpuE0ELNS1_3repE0EEENS1_30default_config_static_selectorELNS0_4arch9wavefront6targetE0EEEvSR_.private_seg_size, 0
	.set _ZN7rocprim17ROCPRIM_400000_NS6detail17trampoline_kernelINS0_14default_configENS1_32segmented_reduce_config_selectorIN3c104HalfEEEZNS1_21segmented_reduce_implIS3_PKS6_PS6_PKiS6_N6hipcub16HIPCUB_304000_NS6detail27convert_result_type_wrapperISA_SB_N2at6native12_GLOBAL__N_19CustomMaxEEEEE10hipError_tPvRmT0_T1_jT2_SS_T4_T3_P12ihipStream_tbEUlT_E_NS1_11comp_targetILNS1_3genE0ELNS1_11target_archE4294967295ELNS1_3gpuE0ELNS1_3repE0EEENS1_30default_config_static_selectorELNS0_4arch9wavefront6targetE0EEEvSR_.uses_vcc, 0
	.set _ZN7rocprim17ROCPRIM_400000_NS6detail17trampoline_kernelINS0_14default_configENS1_32segmented_reduce_config_selectorIN3c104HalfEEEZNS1_21segmented_reduce_implIS3_PKS6_PS6_PKiS6_N6hipcub16HIPCUB_304000_NS6detail27convert_result_type_wrapperISA_SB_N2at6native12_GLOBAL__N_19CustomMaxEEEEE10hipError_tPvRmT0_T1_jT2_SS_T4_T3_P12ihipStream_tbEUlT_E_NS1_11comp_targetILNS1_3genE0ELNS1_11target_archE4294967295ELNS1_3gpuE0ELNS1_3repE0EEENS1_30default_config_static_selectorELNS0_4arch9wavefront6targetE0EEEvSR_.uses_flat_scratch, 0
	.set _ZN7rocprim17ROCPRIM_400000_NS6detail17trampoline_kernelINS0_14default_configENS1_32segmented_reduce_config_selectorIN3c104HalfEEEZNS1_21segmented_reduce_implIS3_PKS6_PS6_PKiS6_N6hipcub16HIPCUB_304000_NS6detail27convert_result_type_wrapperISA_SB_N2at6native12_GLOBAL__N_19CustomMaxEEEEE10hipError_tPvRmT0_T1_jT2_SS_T4_T3_P12ihipStream_tbEUlT_E_NS1_11comp_targetILNS1_3genE0ELNS1_11target_archE4294967295ELNS1_3gpuE0ELNS1_3repE0EEENS1_30default_config_static_selectorELNS0_4arch9wavefront6targetE0EEEvSR_.has_dyn_sized_stack, 0
	.set _ZN7rocprim17ROCPRIM_400000_NS6detail17trampoline_kernelINS0_14default_configENS1_32segmented_reduce_config_selectorIN3c104HalfEEEZNS1_21segmented_reduce_implIS3_PKS6_PS6_PKiS6_N6hipcub16HIPCUB_304000_NS6detail27convert_result_type_wrapperISA_SB_N2at6native12_GLOBAL__N_19CustomMaxEEEEE10hipError_tPvRmT0_T1_jT2_SS_T4_T3_P12ihipStream_tbEUlT_E_NS1_11comp_targetILNS1_3genE0ELNS1_11target_archE4294967295ELNS1_3gpuE0ELNS1_3repE0EEENS1_30default_config_static_selectorELNS0_4arch9wavefront6targetE0EEEvSR_.has_recursion, 0
	.set _ZN7rocprim17ROCPRIM_400000_NS6detail17trampoline_kernelINS0_14default_configENS1_32segmented_reduce_config_selectorIN3c104HalfEEEZNS1_21segmented_reduce_implIS3_PKS6_PS6_PKiS6_N6hipcub16HIPCUB_304000_NS6detail27convert_result_type_wrapperISA_SB_N2at6native12_GLOBAL__N_19CustomMaxEEEEE10hipError_tPvRmT0_T1_jT2_SS_T4_T3_P12ihipStream_tbEUlT_E_NS1_11comp_targetILNS1_3genE0ELNS1_11target_archE4294967295ELNS1_3gpuE0ELNS1_3repE0EEENS1_30default_config_static_selectorELNS0_4arch9wavefront6targetE0EEEvSR_.has_indirect_call, 0
	.section	.AMDGPU.csdata,"",@progbits
; Kernel info:
; codeLenInByte = 0
; TotalNumSgprs: 0
; NumVgprs: 0
; ScratchSize: 0
; MemoryBound: 0
; FloatMode: 240
; IeeeMode: 1
; LDSByteSize: 0 bytes/workgroup (compile time only)
; SGPRBlocks: 0
; VGPRBlocks: 0
; NumSGPRsForWavesPerEU: 1
; NumVGPRsForWavesPerEU: 1
; Occupancy: 16
; WaveLimiterHint : 0
; COMPUTE_PGM_RSRC2:SCRATCH_EN: 0
; COMPUTE_PGM_RSRC2:USER_SGPR: 6
; COMPUTE_PGM_RSRC2:TRAP_HANDLER: 0
; COMPUTE_PGM_RSRC2:TGID_X_EN: 1
; COMPUTE_PGM_RSRC2:TGID_Y_EN: 0
; COMPUTE_PGM_RSRC2:TGID_Z_EN: 0
; COMPUTE_PGM_RSRC2:TIDIG_COMP_CNT: 0
	.section	.text._ZN7rocprim17ROCPRIM_400000_NS6detail17trampoline_kernelINS0_14default_configENS1_32segmented_reduce_config_selectorIN3c104HalfEEEZNS1_21segmented_reduce_implIS3_PKS6_PS6_PKiS6_N6hipcub16HIPCUB_304000_NS6detail27convert_result_type_wrapperISA_SB_N2at6native12_GLOBAL__N_19CustomMaxEEEEE10hipError_tPvRmT0_T1_jT2_SS_T4_T3_P12ihipStream_tbEUlT_E_NS1_11comp_targetILNS1_3genE5ELNS1_11target_archE942ELNS1_3gpuE9ELNS1_3repE0EEENS1_30default_config_static_selectorELNS0_4arch9wavefront6targetE0EEEvSR_,"axG",@progbits,_ZN7rocprim17ROCPRIM_400000_NS6detail17trampoline_kernelINS0_14default_configENS1_32segmented_reduce_config_selectorIN3c104HalfEEEZNS1_21segmented_reduce_implIS3_PKS6_PS6_PKiS6_N6hipcub16HIPCUB_304000_NS6detail27convert_result_type_wrapperISA_SB_N2at6native12_GLOBAL__N_19CustomMaxEEEEE10hipError_tPvRmT0_T1_jT2_SS_T4_T3_P12ihipStream_tbEUlT_E_NS1_11comp_targetILNS1_3genE5ELNS1_11target_archE942ELNS1_3gpuE9ELNS1_3repE0EEENS1_30default_config_static_selectorELNS0_4arch9wavefront6targetE0EEEvSR_,comdat
	.globl	_ZN7rocprim17ROCPRIM_400000_NS6detail17trampoline_kernelINS0_14default_configENS1_32segmented_reduce_config_selectorIN3c104HalfEEEZNS1_21segmented_reduce_implIS3_PKS6_PS6_PKiS6_N6hipcub16HIPCUB_304000_NS6detail27convert_result_type_wrapperISA_SB_N2at6native12_GLOBAL__N_19CustomMaxEEEEE10hipError_tPvRmT0_T1_jT2_SS_T4_T3_P12ihipStream_tbEUlT_E_NS1_11comp_targetILNS1_3genE5ELNS1_11target_archE942ELNS1_3gpuE9ELNS1_3repE0EEENS1_30default_config_static_selectorELNS0_4arch9wavefront6targetE0EEEvSR_ ; -- Begin function _ZN7rocprim17ROCPRIM_400000_NS6detail17trampoline_kernelINS0_14default_configENS1_32segmented_reduce_config_selectorIN3c104HalfEEEZNS1_21segmented_reduce_implIS3_PKS6_PS6_PKiS6_N6hipcub16HIPCUB_304000_NS6detail27convert_result_type_wrapperISA_SB_N2at6native12_GLOBAL__N_19CustomMaxEEEEE10hipError_tPvRmT0_T1_jT2_SS_T4_T3_P12ihipStream_tbEUlT_E_NS1_11comp_targetILNS1_3genE5ELNS1_11target_archE942ELNS1_3gpuE9ELNS1_3repE0EEENS1_30default_config_static_selectorELNS0_4arch9wavefront6targetE0EEEvSR_
	.p2align	8
	.type	_ZN7rocprim17ROCPRIM_400000_NS6detail17trampoline_kernelINS0_14default_configENS1_32segmented_reduce_config_selectorIN3c104HalfEEEZNS1_21segmented_reduce_implIS3_PKS6_PS6_PKiS6_N6hipcub16HIPCUB_304000_NS6detail27convert_result_type_wrapperISA_SB_N2at6native12_GLOBAL__N_19CustomMaxEEEEE10hipError_tPvRmT0_T1_jT2_SS_T4_T3_P12ihipStream_tbEUlT_E_NS1_11comp_targetILNS1_3genE5ELNS1_11target_archE942ELNS1_3gpuE9ELNS1_3repE0EEENS1_30default_config_static_selectorELNS0_4arch9wavefront6targetE0EEEvSR_,@function
_ZN7rocprim17ROCPRIM_400000_NS6detail17trampoline_kernelINS0_14default_configENS1_32segmented_reduce_config_selectorIN3c104HalfEEEZNS1_21segmented_reduce_implIS3_PKS6_PS6_PKiS6_N6hipcub16HIPCUB_304000_NS6detail27convert_result_type_wrapperISA_SB_N2at6native12_GLOBAL__N_19CustomMaxEEEEE10hipError_tPvRmT0_T1_jT2_SS_T4_T3_P12ihipStream_tbEUlT_E_NS1_11comp_targetILNS1_3genE5ELNS1_11target_archE942ELNS1_3gpuE9ELNS1_3repE0EEENS1_30default_config_static_selectorELNS0_4arch9wavefront6targetE0EEEvSR_: ; @_ZN7rocprim17ROCPRIM_400000_NS6detail17trampoline_kernelINS0_14default_configENS1_32segmented_reduce_config_selectorIN3c104HalfEEEZNS1_21segmented_reduce_implIS3_PKS6_PS6_PKiS6_N6hipcub16HIPCUB_304000_NS6detail27convert_result_type_wrapperISA_SB_N2at6native12_GLOBAL__N_19CustomMaxEEEEE10hipError_tPvRmT0_T1_jT2_SS_T4_T3_P12ihipStream_tbEUlT_E_NS1_11comp_targetILNS1_3genE5ELNS1_11target_archE942ELNS1_3gpuE9ELNS1_3repE0EEENS1_30default_config_static_selectorELNS0_4arch9wavefront6targetE0EEEvSR_
; %bb.0:
	.section	.rodata,"a",@progbits
	.p2align	6, 0x0
	.amdhsa_kernel _ZN7rocprim17ROCPRIM_400000_NS6detail17trampoline_kernelINS0_14default_configENS1_32segmented_reduce_config_selectorIN3c104HalfEEEZNS1_21segmented_reduce_implIS3_PKS6_PS6_PKiS6_N6hipcub16HIPCUB_304000_NS6detail27convert_result_type_wrapperISA_SB_N2at6native12_GLOBAL__N_19CustomMaxEEEEE10hipError_tPvRmT0_T1_jT2_SS_T4_T3_P12ihipStream_tbEUlT_E_NS1_11comp_targetILNS1_3genE5ELNS1_11target_archE942ELNS1_3gpuE9ELNS1_3repE0EEENS1_30default_config_static_selectorELNS0_4arch9wavefront6targetE0EEEvSR_
		.amdhsa_group_segment_fixed_size 0
		.amdhsa_private_segment_fixed_size 0
		.amdhsa_kernarg_size 48
		.amdhsa_user_sgpr_count 6
		.amdhsa_user_sgpr_private_segment_buffer 1
		.amdhsa_user_sgpr_dispatch_ptr 0
		.amdhsa_user_sgpr_queue_ptr 0
		.amdhsa_user_sgpr_kernarg_segment_ptr 1
		.amdhsa_user_sgpr_dispatch_id 0
		.amdhsa_user_sgpr_flat_scratch_init 0
		.amdhsa_user_sgpr_private_segment_size 0
		.amdhsa_wavefront_size32 1
		.amdhsa_uses_dynamic_stack 0
		.amdhsa_system_sgpr_private_segment_wavefront_offset 0
		.amdhsa_system_sgpr_workgroup_id_x 1
		.amdhsa_system_sgpr_workgroup_id_y 0
		.amdhsa_system_sgpr_workgroup_id_z 0
		.amdhsa_system_sgpr_workgroup_info 0
		.amdhsa_system_vgpr_workitem_id 0
		.amdhsa_next_free_vgpr 1
		.amdhsa_next_free_sgpr 1
		.amdhsa_reserve_vcc 0
		.amdhsa_reserve_flat_scratch 0
		.amdhsa_float_round_mode_32 0
		.amdhsa_float_round_mode_16_64 0
		.amdhsa_float_denorm_mode_32 3
		.amdhsa_float_denorm_mode_16_64 3
		.amdhsa_dx10_clamp 1
		.amdhsa_ieee_mode 1
		.amdhsa_fp16_overflow 0
		.amdhsa_workgroup_processor_mode 1
		.amdhsa_memory_ordered 1
		.amdhsa_forward_progress 1
		.amdhsa_shared_vgpr_count 0
		.amdhsa_exception_fp_ieee_invalid_op 0
		.amdhsa_exception_fp_denorm_src 0
		.amdhsa_exception_fp_ieee_div_zero 0
		.amdhsa_exception_fp_ieee_overflow 0
		.amdhsa_exception_fp_ieee_underflow 0
		.amdhsa_exception_fp_ieee_inexact 0
		.amdhsa_exception_int_div_zero 0
	.end_amdhsa_kernel
	.section	.text._ZN7rocprim17ROCPRIM_400000_NS6detail17trampoline_kernelINS0_14default_configENS1_32segmented_reduce_config_selectorIN3c104HalfEEEZNS1_21segmented_reduce_implIS3_PKS6_PS6_PKiS6_N6hipcub16HIPCUB_304000_NS6detail27convert_result_type_wrapperISA_SB_N2at6native12_GLOBAL__N_19CustomMaxEEEEE10hipError_tPvRmT0_T1_jT2_SS_T4_T3_P12ihipStream_tbEUlT_E_NS1_11comp_targetILNS1_3genE5ELNS1_11target_archE942ELNS1_3gpuE9ELNS1_3repE0EEENS1_30default_config_static_selectorELNS0_4arch9wavefront6targetE0EEEvSR_,"axG",@progbits,_ZN7rocprim17ROCPRIM_400000_NS6detail17trampoline_kernelINS0_14default_configENS1_32segmented_reduce_config_selectorIN3c104HalfEEEZNS1_21segmented_reduce_implIS3_PKS6_PS6_PKiS6_N6hipcub16HIPCUB_304000_NS6detail27convert_result_type_wrapperISA_SB_N2at6native12_GLOBAL__N_19CustomMaxEEEEE10hipError_tPvRmT0_T1_jT2_SS_T4_T3_P12ihipStream_tbEUlT_E_NS1_11comp_targetILNS1_3genE5ELNS1_11target_archE942ELNS1_3gpuE9ELNS1_3repE0EEENS1_30default_config_static_selectorELNS0_4arch9wavefront6targetE0EEEvSR_,comdat
.Lfunc_end78:
	.size	_ZN7rocprim17ROCPRIM_400000_NS6detail17trampoline_kernelINS0_14default_configENS1_32segmented_reduce_config_selectorIN3c104HalfEEEZNS1_21segmented_reduce_implIS3_PKS6_PS6_PKiS6_N6hipcub16HIPCUB_304000_NS6detail27convert_result_type_wrapperISA_SB_N2at6native12_GLOBAL__N_19CustomMaxEEEEE10hipError_tPvRmT0_T1_jT2_SS_T4_T3_P12ihipStream_tbEUlT_E_NS1_11comp_targetILNS1_3genE5ELNS1_11target_archE942ELNS1_3gpuE9ELNS1_3repE0EEENS1_30default_config_static_selectorELNS0_4arch9wavefront6targetE0EEEvSR_, .Lfunc_end78-_ZN7rocprim17ROCPRIM_400000_NS6detail17trampoline_kernelINS0_14default_configENS1_32segmented_reduce_config_selectorIN3c104HalfEEEZNS1_21segmented_reduce_implIS3_PKS6_PS6_PKiS6_N6hipcub16HIPCUB_304000_NS6detail27convert_result_type_wrapperISA_SB_N2at6native12_GLOBAL__N_19CustomMaxEEEEE10hipError_tPvRmT0_T1_jT2_SS_T4_T3_P12ihipStream_tbEUlT_E_NS1_11comp_targetILNS1_3genE5ELNS1_11target_archE942ELNS1_3gpuE9ELNS1_3repE0EEENS1_30default_config_static_selectorELNS0_4arch9wavefront6targetE0EEEvSR_
                                        ; -- End function
	.set _ZN7rocprim17ROCPRIM_400000_NS6detail17trampoline_kernelINS0_14default_configENS1_32segmented_reduce_config_selectorIN3c104HalfEEEZNS1_21segmented_reduce_implIS3_PKS6_PS6_PKiS6_N6hipcub16HIPCUB_304000_NS6detail27convert_result_type_wrapperISA_SB_N2at6native12_GLOBAL__N_19CustomMaxEEEEE10hipError_tPvRmT0_T1_jT2_SS_T4_T3_P12ihipStream_tbEUlT_E_NS1_11comp_targetILNS1_3genE5ELNS1_11target_archE942ELNS1_3gpuE9ELNS1_3repE0EEENS1_30default_config_static_selectorELNS0_4arch9wavefront6targetE0EEEvSR_.num_vgpr, 0
	.set _ZN7rocprim17ROCPRIM_400000_NS6detail17trampoline_kernelINS0_14default_configENS1_32segmented_reduce_config_selectorIN3c104HalfEEEZNS1_21segmented_reduce_implIS3_PKS6_PS6_PKiS6_N6hipcub16HIPCUB_304000_NS6detail27convert_result_type_wrapperISA_SB_N2at6native12_GLOBAL__N_19CustomMaxEEEEE10hipError_tPvRmT0_T1_jT2_SS_T4_T3_P12ihipStream_tbEUlT_E_NS1_11comp_targetILNS1_3genE5ELNS1_11target_archE942ELNS1_3gpuE9ELNS1_3repE0EEENS1_30default_config_static_selectorELNS0_4arch9wavefront6targetE0EEEvSR_.num_agpr, 0
	.set _ZN7rocprim17ROCPRIM_400000_NS6detail17trampoline_kernelINS0_14default_configENS1_32segmented_reduce_config_selectorIN3c104HalfEEEZNS1_21segmented_reduce_implIS3_PKS6_PS6_PKiS6_N6hipcub16HIPCUB_304000_NS6detail27convert_result_type_wrapperISA_SB_N2at6native12_GLOBAL__N_19CustomMaxEEEEE10hipError_tPvRmT0_T1_jT2_SS_T4_T3_P12ihipStream_tbEUlT_E_NS1_11comp_targetILNS1_3genE5ELNS1_11target_archE942ELNS1_3gpuE9ELNS1_3repE0EEENS1_30default_config_static_selectorELNS0_4arch9wavefront6targetE0EEEvSR_.numbered_sgpr, 0
	.set _ZN7rocprim17ROCPRIM_400000_NS6detail17trampoline_kernelINS0_14default_configENS1_32segmented_reduce_config_selectorIN3c104HalfEEEZNS1_21segmented_reduce_implIS3_PKS6_PS6_PKiS6_N6hipcub16HIPCUB_304000_NS6detail27convert_result_type_wrapperISA_SB_N2at6native12_GLOBAL__N_19CustomMaxEEEEE10hipError_tPvRmT0_T1_jT2_SS_T4_T3_P12ihipStream_tbEUlT_E_NS1_11comp_targetILNS1_3genE5ELNS1_11target_archE942ELNS1_3gpuE9ELNS1_3repE0EEENS1_30default_config_static_selectorELNS0_4arch9wavefront6targetE0EEEvSR_.num_named_barrier, 0
	.set _ZN7rocprim17ROCPRIM_400000_NS6detail17trampoline_kernelINS0_14default_configENS1_32segmented_reduce_config_selectorIN3c104HalfEEEZNS1_21segmented_reduce_implIS3_PKS6_PS6_PKiS6_N6hipcub16HIPCUB_304000_NS6detail27convert_result_type_wrapperISA_SB_N2at6native12_GLOBAL__N_19CustomMaxEEEEE10hipError_tPvRmT0_T1_jT2_SS_T4_T3_P12ihipStream_tbEUlT_E_NS1_11comp_targetILNS1_3genE5ELNS1_11target_archE942ELNS1_3gpuE9ELNS1_3repE0EEENS1_30default_config_static_selectorELNS0_4arch9wavefront6targetE0EEEvSR_.private_seg_size, 0
	.set _ZN7rocprim17ROCPRIM_400000_NS6detail17trampoline_kernelINS0_14default_configENS1_32segmented_reduce_config_selectorIN3c104HalfEEEZNS1_21segmented_reduce_implIS3_PKS6_PS6_PKiS6_N6hipcub16HIPCUB_304000_NS6detail27convert_result_type_wrapperISA_SB_N2at6native12_GLOBAL__N_19CustomMaxEEEEE10hipError_tPvRmT0_T1_jT2_SS_T4_T3_P12ihipStream_tbEUlT_E_NS1_11comp_targetILNS1_3genE5ELNS1_11target_archE942ELNS1_3gpuE9ELNS1_3repE0EEENS1_30default_config_static_selectorELNS0_4arch9wavefront6targetE0EEEvSR_.uses_vcc, 0
	.set _ZN7rocprim17ROCPRIM_400000_NS6detail17trampoline_kernelINS0_14default_configENS1_32segmented_reduce_config_selectorIN3c104HalfEEEZNS1_21segmented_reduce_implIS3_PKS6_PS6_PKiS6_N6hipcub16HIPCUB_304000_NS6detail27convert_result_type_wrapperISA_SB_N2at6native12_GLOBAL__N_19CustomMaxEEEEE10hipError_tPvRmT0_T1_jT2_SS_T4_T3_P12ihipStream_tbEUlT_E_NS1_11comp_targetILNS1_3genE5ELNS1_11target_archE942ELNS1_3gpuE9ELNS1_3repE0EEENS1_30default_config_static_selectorELNS0_4arch9wavefront6targetE0EEEvSR_.uses_flat_scratch, 0
	.set _ZN7rocprim17ROCPRIM_400000_NS6detail17trampoline_kernelINS0_14default_configENS1_32segmented_reduce_config_selectorIN3c104HalfEEEZNS1_21segmented_reduce_implIS3_PKS6_PS6_PKiS6_N6hipcub16HIPCUB_304000_NS6detail27convert_result_type_wrapperISA_SB_N2at6native12_GLOBAL__N_19CustomMaxEEEEE10hipError_tPvRmT0_T1_jT2_SS_T4_T3_P12ihipStream_tbEUlT_E_NS1_11comp_targetILNS1_3genE5ELNS1_11target_archE942ELNS1_3gpuE9ELNS1_3repE0EEENS1_30default_config_static_selectorELNS0_4arch9wavefront6targetE0EEEvSR_.has_dyn_sized_stack, 0
	.set _ZN7rocprim17ROCPRIM_400000_NS6detail17trampoline_kernelINS0_14default_configENS1_32segmented_reduce_config_selectorIN3c104HalfEEEZNS1_21segmented_reduce_implIS3_PKS6_PS6_PKiS6_N6hipcub16HIPCUB_304000_NS6detail27convert_result_type_wrapperISA_SB_N2at6native12_GLOBAL__N_19CustomMaxEEEEE10hipError_tPvRmT0_T1_jT2_SS_T4_T3_P12ihipStream_tbEUlT_E_NS1_11comp_targetILNS1_3genE5ELNS1_11target_archE942ELNS1_3gpuE9ELNS1_3repE0EEENS1_30default_config_static_selectorELNS0_4arch9wavefront6targetE0EEEvSR_.has_recursion, 0
	.set _ZN7rocprim17ROCPRIM_400000_NS6detail17trampoline_kernelINS0_14default_configENS1_32segmented_reduce_config_selectorIN3c104HalfEEEZNS1_21segmented_reduce_implIS3_PKS6_PS6_PKiS6_N6hipcub16HIPCUB_304000_NS6detail27convert_result_type_wrapperISA_SB_N2at6native12_GLOBAL__N_19CustomMaxEEEEE10hipError_tPvRmT0_T1_jT2_SS_T4_T3_P12ihipStream_tbEUlT_E_NS1_11comp_targetILNS1_3genE5ELNS1_11target_archE942ELNS1_3gpuE9ELNS1_3repE0EEENS1_30default_config_static_selectorELNS0_4arch9wavefront6targetE0EEEvSR_.has_indirect_call, 0
	.section	.AMDGPU.csdata,"",@progbits
; Kernel info:
; codeLenInByte = 0
; TotalNumSgprs: 0
; NumVgprs: 0
; ScratchSize: 0
; MemoryBound: 0
; FloatMode: 240
; IeeeMode: 1
; LDSByteSize: 0 bytes/workgroup (compile time only)
; SGPRBlocks: 0
; VGPRBlocks: 0
; NumSGPRsForWavesPerEU: 1
; NumVGPRsForWavesPerEU: 1
; Occupancy: 16
; WaveLimiterHint : 0
; COMPUTE_PGM_RSRC2:SCRATCH_EN: 0
; COMPUTE_PGM_RSRC2:USER_SGPR: 6
; COMPUTE_PGM_RSRC2:TRAP_HANDLER: 0
; COMPUTE_PGM_RSRC2:TGID_X_EN: 1
; COMPUTE_PGM_RSRC2:TGID_Y_EN: 0
; COMPUTE_PGM_RSRC2:TGID_Z_EN: 0
; COMPUTE_PGM_RSRC2:TIDIG_COMP_CNT: 0
	.section	.text._ZN7rocprim17ROCPRIM_400000_NS6detail17trampoline_kernelINS0_14default_configENS1_32segmented_reduce_config_selectorIN3c104HalfEEEZNS1_21segmented_reduce_implIS3_PKS6_PS6_PKiS6_N6hipcub16HIPCUB_304000_NS6detail27convert_result_type_wrapperISA_SB_N2at6native12_GLOBAL__N_19CustomMaxEEEEE10hipError_tPvRmT0_T1_jT2_SS_T4_T3_P12ihipStream_tbEUlT_E_NS1_11comp_targetILNS1_3genE10ELNS1_11target_archE1201ELNS1_3gpuE5ELNS1_3repE0EEENS1_30default_config_static_selectorELNS0_4arch9wavefront6targetE0EEEvSR_,"axG",@progbits,_ZN7rocprim17ROCPRIM_400000_NS6detail17trampoline_kernelINS0_14default_configENS1_32segmented_reduce_config_selectorIN3c104HalfEEEZNS1_21segmented_reduce_implIS3_PKS6_PS6_PKiS6_N6hipcub16HIPCUB_304000_NS6detail27convert_result_type_wrapperISA_SB_N2at6native12_GLOBAL__N_19CustomMaxEEEEE10hipError_tPvRmT0_T1_jT2_SS_T4_T3_P12ihipStream_tbEUlT_E_NS1_11comp_targetILNS1_3genE10ELNS1_11target_archE1201ELNS1_3gpuE5ELNS1_3repE0EEENS1_30default_config_static_selectorELNS0_4arch9wavefront6targetE0EEEvSR_,comdat
	.globl	_ZN7rocprim17ROCPRIM_400000_NS6detail17trampoline_kernelINS0_14default_configENS1_32segmented_reduce_config_selectorIN3c104HalfEEEZNS1_21segmented_reduce_implIS3_PKS6_PS6_PKiS6_N6hipcub16HIPCUB_304000_NS6detail27convert_result_type_wrapperISA_SB_N2at6native12_GLOBAL__N_19CustomMaxEEEEE10hipError_tPvRmT0_T1_jT2_SS_T4_T3_P12ihipStream_tbEUlT_E_NS1_11comp_targetILNS1_3genE10ELNS1_11target_archE1201ELNS1_3gpuE5ELNS1_3repE0EEENS1_30default_config_static_selectorELNS0_4arch9wavefront6targetE0EEEvSR_ ; -- Begin function _ZN7rocprim17ROCPRIM_400000_NS6detail17trampoline_kernelINS0_14default_configENS1_32segmented_reduce_config_selectorIN3c104HalfEEEZNS1_21segmented_reduce_implIS3_PKS6_PS6_PKiS6_N6hipcub16HIPCUB_304000_NS6detail27convert_result_type_wrapperISA_SB_N2at6native12_GLOBAL__N_19CustomMaxEEEEE10hipError_tPvRmT0_T1_jT2_SS_T4_T3_P12ihipStream_tbEUlT_E_NS1_11comp_targetILNS1_3genE10ELNS1_11target_archE1201ELNS1_3gpuE5ELNS1_3repE0EEENS1_30default_config_static_selectorELNS0_4arch9wavefront6targetE0EEEvSR_
	.p2align	8
	.type	_ZN7rocprim17ROCPRIM_400000_NS6detail17trampoline_kernelINS0_14default_configENS1_32segmented_reduce_config_selectorIN3c104HalfEEEZNS1_21segmented_reduce_implIS3_PKS6_PS6_PKiS6_N6hipcub16HIPCUB_304000_NS6detail27convert_result_type_wrapperISA_SB_N2at6native12_GLOBAL__N_19CustomMaxEEEEE10hipError_tPvRmT0_T1_jT2_SS_T4_T3_P12ihipStream_tbEUlT_E_NS1_11comp_targetILNS1_3genE10ELNS1_11target_archE1201ELNS1_3gpuE5ELNS1_3repE0EEENS1_30default_config_static_selectorELNS0_4arch9wavefront6targetE0EEEvSR_,@function
_ZN7rocprim17ROCPRIM_400000_NS6detail17trampoline_kernelINS0_14default_configENS1_32segmented_reduce_config_selectorIN3c104HalfEEEZNS1_21segmented_reduce_implIS3_PKS6_PS6_PKiS6_N6hipcub16HIPCUB_304000_NS6detail27convert_result_type_wrapperISA_SB_N2at6native12_GLOBAL__N_19CustomMaxEEEEE10hipError_tPvRmT0_T1_jT2_SS_T4_T3_P12ihipStream_tbEUlT_E_NS1_11comp_targetILNS1_3genE10ELNS1_11target_archE1201ELNS1_3gpuE5ELNS1_3repE0EEENS1_30default_config_static_selectorELNS0_4arch9wavefront6targetE0EEEvSR_: ; @_ZN7rocprim17ROCPRIM_400000_NS6detail17trampoline_kernelINS0_14default_configENS1_32segmented_reduce_config_selectorIN3c104HalfEEEZNS1_21segmented_reduce_implIS3_PKS6_PS6_PKiS6_N6hipcub16HIPCUB_304000_NS6detail27convert_result_type_wrapperISA_SB_N2at6native12_GLOBAL__N_19CustomMaxEEEEE10hipError_tPvRmT0_T1_jT2_SS_T4_T3_P12ihipStream_tbEUlT_E_NS1_11comp_targetILNS1_3genE10ELNS1_11target_archE1201ELNS1_3gpuE5ELNS1_3repE0EEENS1_30default_config_static_selectorELNS0_4arch9wavefront6targetE0EEEvSR_
; %bb.0:
	.section	.rodata,"a",@progbits
	.p2align	6, 0x0
	.amdhsa_kernel _ZN7rocprim17ROCPRIM_400000_NS6detail17trampoline_kernelINS0_14default_configENS1_32segmented_reduce_config_selectorIN3c104HalfEEEZNS1_21segmented_reduce_implIS3_PKS6_PS6_PKiS6_N6hipcub16HIPCUB_304000_NS6detail27convert_result_type_wrapperISA_SB_N2at6native12_GLOBAL__N_19CustomMaxEEEEE10hipError_tPvRmT0_T1_jT2_SS_T4_T3_P12ihipStream_tbEUlT_E_NS1_11comp_targetILNS1_3genE10ELNS1_11target_archE1201ELNS1_3gpuE5ELNS1_3repE0EEENS1_30default_config_static_selectorELNS0_4arch9wavefront6targetE0EEEvSR_
		.amdhsa_group_segment_fixed_size 0
		.amdhsa_private_segment_fixed_size 0
		.amdhsa_kernarg_size 48
		.amdhsa_user_sgpr_count 6
		.amdhsa_user_sgpr_private_segment_buffer 1
		.amdhsa_user_sgpr_dispatch_ptr 0
		.amdhsa_user_sgpr_queue_ptr 0
		.amdhsa_user_sgpr_kernarg_segment_ptr 1
		.amdhsa_user_sgpr_dispatch_id 0
		.amdhsa_user_sgpr_flat_scratch_init 0
		.amdhsa_user_sgpr_private_segment_size 0
		.amdhsa_wavefront_size32 1
		.amdhsa_uses_dynamic_stack 0
		.amdhsa_system_sgpr_private_segment_wavefront_offset 0
		.amdhsa_system_sgpr_workgroup_id_x 1
		.amdhsa_system_sgpr_workgroup_id_y 0
		.amdhsa_system_sgpr_workgroup_id_z 0
		.amdhsa_system_sgpr_workgroup_info 0
		.amdhsa_system_vgpr_workitem_id 0
		.amdhsa_next_free_vgpr 1
		.amdhsa_next_free_sgpr 1
		.amdhsa_reserve_vcc 0
		.amdhsa_reserve_flat_scratch 0
		.amdhsa_float_round_mode_32 0
		.amdhsa_float_round_mode_16_64 0
		.amdhsa_float_denorm_mode_32 3
		.amdhsa_float_denorm_mode_16_64 3
		.amdhsa_dx10_clamp 1
		.amdhsa_ieee_mode 1
		.amdhsa_fp16_overflow 0
		.amdhsa_workgroup_processor_mode 1
		.amdhsa_memory_ordered 1
		.amdhsa_forward_progress 1
		.amdhsa_shared_vgpr_count 0
		.amdhsa_exception_fp_ieee_invalid_op 0
		.amdhsa_exception_fp_denorm_src 0
		.amdhsa_exception_fp_ieee_div_zero 0
		.amdhsa_exception_fp_ieee_overflow 0
		.amdhsa_exception_fp_ieee_underflow 0
		.amdhsa_exception_fp_ieee_inexact 0
		.amdhsa_exception_int_div_zero 0
	.end_amdhsa_kernel
	.section	.text._ZN7rocprim17ROCPRIM_400000_NS6detail17trampoline_kernelINS0_14default_configENS1_32segmented_reduce_config_selectorIN3c104HalfEEEZNS1_21segmented_reduce_implIS3_PKS6_PS6_PKiS6_N6hipcub16HIPCUB_304000_NS6detail27convert_result_type_wrapperISA_SB_N2at6native12_GLOBAL__N_19CustomMaxEEEEE10hipError_tPvRmT0_T1_jT2_SS_T4_T3_P12ihipStream_tbEUlT_E_NS1_11comp_targetILNS1_3genE10ELNS1_11target_archE1201ELNS1_3gpuE5ELNS1_3repE0EEENS1_30default_config_static_selectorELNS0_4arch9wavefront6targetE0EEEvSR_,"axG",@progbits,_ZN7rocprim17ROCPRIM_400000_NS6detail17trampoline_kernelINS0_14default_configENS1_32segmented_reduce_config_selectorIN3c104HalfEEEZNS1_21segmented_reduce_implIS3_PKS6_PS6_PKiS6_N6hipcub16HIPCUB_304000_NS6detail27convert_result_type_wrapperISA_SB_N2at6native12_GLOBAL__N_19CustomMaxEEEEE10hipError_tPvRmT0_T1_jT2_SS_T4_T3_P12ihipStream_tbEUlT_E_NS1_11comp_targetILNS1_3genE10ELNS1_11target_archE1201ELNS1_3gpuE5ELNS1_3repE0EEENS1_30default_config_static_selectorELNS0_4arch9wavefront6targetE0EEEvSR_,comdat
.Lfunc_end79:
	.size	_ZN7rocprim17ROCPRIM_400000_NS6detail17trampoline_kernelINS0_14default_configENS1_32segmented_reduce_config_selectorIN3c104HalfEEEZNS1_21segmented_reduce_implIS3_PKS6_PS6_PKiS6_N6hipcub16HIPCUB_304000_NS6detail27convert_result_type_wrapperISA_SB_N2at6native12_GLOBAL__N_19CustomMaxEEEEE10hipError_tPvRmT0_T1_jT2_SS_T4_T3_P12ihipStream_tbEUlT_E_NS1_11comp_targetILNS1_3genE10ELNS1_11target_archE1201ELNS1_3gpuE5ELNS1_3repE0EEENS1_30default_config_static_selectorELNS0_4arch9wavefront6targetE0EEEvSR_, .Lfunc_end79-_ZN7rocprim17ROCPRIM_400000_NS6detail17trampoline_kernelINS0_14default_configENS1_32segmented_reduce_config_selectorIN3c104HalfEEEZNS1_21segmented_reduce_implIS3_PKS6_PS6_PKiS6_N6hipcub16HIPCUB_304000_NS6detail27convert_result_type_wrapperISA_SB_N2at6native12_GLOBAL__N_19CustomMaxEEEEE10hipError_tPvRmT0_T1_jT2_SS_T4_T3_P12ihipStream_tbEUlT_E_NS1_11comp_targetILNS1_3genE10ELNS1_11target_archE1201ELNS1_3gpuE5ELNS1_3repE0EEENS1_30default_config_static_selectorELNS0_4arch9wavefront6targetE0EEEvSR_
                                        ; -- End function
	.set _ZN7rocprim17ROCPRIM_400000_NS6detail17trampoline_kernelINS0_14default_configENS1_32segmented_reduce_config_selectorIN3c104HalfEEEZNS1_21segmented_reduce_implIS3_PKS6_PS6_PKiS6_N6hipcub16HIPCUB_304000_NS6detail27convert_result_type_wrapperISA_SB_N2at6native12_GLOBAL__N_19CustomMaxEEEEE10hipError_tPvRmT0_T1_jT2_SS_T4_T3_P12ihipStream_tbEUlT_E_NS1_11comp_targetILNS1_3genE10ELNS1_11target_archE1201ELNS1_3gpuE5ELNS1_3repE0EEENS1_30default_config_static_selectorELNS0_4arch9wavefront6targetE0EEEvSR_.num_vgpr, 0
	.set _ZN7rocprim17ROCPRIM_400000_NS6detail17trampoline_kernelINS0_14default_configENS1_32segmented_reduce_config_selectorIN3c104HalfEEEZNS1_21segmented_reduce_implIS3_PKS6_PS6_PKiS6_N6hipcub16HIPCUB_304000_NS6detail27convert_result_type_wrapperISA_SB_N2at6native12_GLOBAL__N_19CustomMaxEEEEE10hipError_tPvRmT0_T1_jT2_SS_T4_T3_P12ihipStream_tbEUlT_E_NS1_11comp_targetILNS1_3genE10ELNS1_11target_archE1201ELNS1_3gpuE5ELNS1_3repE0EEENS1_30default_config_static_selectorELNS0_4arch9wavefront6targetE0EEEvSR_.num_agpr, 0
	.set _ZN7rocprim17ROCPRIM_400000_NS6detail17trampoline_kernelINS0_14default_configENS1_32segmented_reduce_config_selectorIN3c104HalfEEEZNS1_21segmented_reduce_implIS3_PKS6_PS6_PKiS6_N6hipcub16HIPCUB_304000_NS6detail27convert_result_type_wrapperISA_SB_N2at6native12_GLOBAL__N_19CustomMaxEEEEE10hipError_tPvRmT0_T1_jT2_SS_T4_T3_P12ihipStream_tbEUlT_E_NS1_11comp_targetILNS1_3genE10ELNS1_11target_archE1201ELNS1_3gpuE5ELNS1_3repE0EEENS1_30default_config_static_selectorELNS0_4arch9wavefront6targetE0EEEvSR_.numbered_sgpr, 0
	.set _ZN7rocprim17ROCPRIM_400000_NS6detail17trampoline_kernelINS0_14default_configENS1_32segmented_reduce_config_selectorIN3c104HalfEEEZNS1_21segmented_reduce_implIS3_PKS6_PS6_PKiS6_N6hipcub16HIPCUB_304000_NS6detail27convert_result_type_wrapperISA_SB_N2at6native12_GLOBAL__N_19CustomMaxEEEEE10hipError_tPvRmT0_T1_jT2_SS_T4_T3_P12ihipStream_tbEUlT_E_NS1_11comp_targetILNS1_3genE10ELNS1_11target_archE1201ELNS1_3gpuE5ELNS1_3repE0EEENS1_30default_config_static_selectorELNS0_4arch9wavefront6targetE0EEEvSR_.num_named_barrier, 0
	.set _ZN7rocprim17ROCPRIM_400000_NS6detail17trampoline_kernelINS0_14default_configENS1_32segmented_reduce_config_selectorIN3c104HalfEEEZNS1_21segmented_reduce_implIS3_PKS6_PS6_PKiS6_N6hipcub16HIPCUB_304000_NS6detail27convert_result_type_wrapperISA_SB_N2at6native12_GLOBAL__N_19CustomMaxEEEEE10hipError_tPvRmT0_T1_jT2_SS_T4_T3_P12ihipStream_tbEUlT_E_NS1_11comp_targetILNS1_3genE10ELNS1_11target_archE1201ELNS1_3gpuE5ELNS1_3repE0EEENS1_30default_config_static_selectorELNS0_4arch9wavefront6targetE0EEEvSR_.private_seg_size, 0
	.set _ZN7rocprim17ROCPRIM_400000_NS6detail17trampoline_kernelINS0_14default_configENS1_32segmented_reduce_config_selectorIN3c104HalfEEEZNS1_21segmented_reduce_implIS3_PKS6_PS6_PKiS6_N6hipcub16HIPCUB_304000_NS6detail27convert_result_type_wrapperISA_SB_N2at6native12_GLOBAL__N_19CustomMaxEEEEE10hipError_tPvRmT0_T1_jT2_SS_T4_T3_P12ihipStream_tbEUlT_E_NS1_11comp_targetILNS1_3genE10ELNS1_11target_archE1201ELNS1_3gpuE5ELNS1_3repE0EEENS1_30default_config_static_selectorELNS0_4arch9wavefront6targetE0EEEvSR_.uses_vcc, 0
	.set _ZN7rocprim17ROCPRIM_400000_NS6detail17trampoline_kernelINS0_14default_configENS1_32segmented_reduce_config_selectorIN3c104HalfEEEZNS1_21segmented_reduce_implIS3_PKS6_PS6_PKiS6_N6hipcub16HIPCUB_304000_NS6detail27convert_result_type_wrapperISA_SB_N2at6native12_GLOBAL__N_19CustomMaxEEEEE10hipError_tPvRmT0_T1_jT2_SS_T4_T3_P12ihipStream_tbEUlT_E_NS1_11comp_targetILNS1_3genE10ELNS1_11target_archE1201ELNS1_3gpuE5ELNS1_3repE0EEENS1_30default_config_static_selectorELNS0_4arch9wavefront6targetE0EEEvSR_.uses_flat_scratch, 0
	.set _ZN7rocprim17ROCPRIM_400000_NS6detail17trampoline_kernelINS0_14default_configENS1_32segmented_reduce_config_selectorIN3c104HalfEEEZNS1_21segmented_reduce_implIS3_PKS6_PS6_PKiS6_N6hipcub16HIPCUB_304000_NS6detail27convert_result_type_wrapperISA_SB_N2at6native12_GLOBAL__N_19CustomMaxEEEEE10hipError_tPvRmT0_T1_jT2_SS_T4_T3_P12ihipStream_tbEUlT_E_NS1_11comp_targetILNS1_3genE10ELNS1_11target_archE1201ELNS1_3gpuE5ELNS1_3repE0EEENS1_30default_config_static_selectorELNS0_4arch9wavefront6targetE0EEEvSR_.has_dyn_sized_stack, 0
	.set _ZN7rocprim17ROCPRIM_400000_NS6detail17trampoline_kernelINS0_14default_configENS1_32segmented_reduce_config_selectorIN3c104HalfEEEZNS1_21segmented_reduce_implIS3_PKS6_PS6_PKiS6_N6hipcub16HIPCUB_304000_NS6detail27convert_result_type_wrapperISA_SB_N2at6native12_GLOBAL__N_19CustomMaxEEEEE10hipError_tPvRmT0_T1_jT2_SS_T4_T3_P12ihipStream_tbEUlT_E_NS1_11comp_targetILNS1_3genE10ELNS1_11target_archE1201ELNS1_3gpuE5ELNS1_3repE0EEENS1_30default_config_static_selectorELNS0_4arch9wavefront6targetE0EEEvSR_.has_recursion, 0
	.set _ZN7rocprim17ROCPRIM_400000_NS6detail17trampoline_kernelINS0_14default_configENS1_32segmented_reduce_config_selectorIN3c104HalfEEEZNS1_21segmented_reduce_implIS3_PKS6_PS6_PKiS6_N6hipcub16HIPCUB_304000_NS6detail27convert_result_type_wrapperISA_SB_N2at6native12_GLOBAL__N_19CustomMaxEEEEE10hipError_tPvRmT0_T1_jT2_SS_T4_T3_P12ihipStream_tbEUlT_E_NS1_11comp_targetILNS1_3genE10ELNS1_11target_archE1201ELNS1_3gpuE5ELNS1_3repE0EEENS1_30default_config_static_selectorELNS0_4arch9wavefront6targetE0EEEvSR_.has_indirect_call, 0
	.section	.AMDGPU.csdata,"",@progbits
; Kernel info:
; codeLenInByte = 0
; TotalNumSgprs: 0
; NumVgprs: 0
; ScratchSize: 0
; MemoryBound: 0
; FloatMode: 240
; IeeeMode: 1
; LDSByteSize: 0 bytes/workgroup (compile time only)
; SGPRBlocks: 0
; VGPRBlocks: 0
; NumSGPRsForWavesPerEU: 1
; NumVGPRsForWavesPerEU: 1
; Occupancy: 16
; WaveLimiterHint : 0
; COMPUTE_PGM_RSRC2:SCRATCH_EN: 0
; COMPUTE_PGM_RSRC2:USER_SGPR: 6
; COMPUTE_PGM_RSRC2:TRAP_HANDLER: 0
; COMPUTE_PGM_RSRC2:TGID_X_EN: 1
; COMPUTE_PGM_RSRC2:TGID_Y_EN: 0
; COMPUTE_PGM_RSRC2:TGID_Z_EN: 0
; COMPUTE_PGM_RSRC2:TIDIG_COMP_CNT: 0
	.section	.text._ZN7rocprim17ROCPRIM_400000_NS6detail17trampoline_kernelINS0_14default_configENS1_32segmented_reduce_config_selectorIN3c104HalfEEEZNS1_21segmented_reduce_implIS3_PKS6_PS6_PKiS6_N6hipcub16HIPCUB_304000_NS6detail27convert_result_type_wrapperISA_SB_N2at6native12_GLOBAL__N_19CustomMaxEEEEE10hipError_tPvRmT0_T1_jT2_SS_T4_T3_P12ihipStream_tbEUlT_E_NS1_11comp_targetILNS1_3genE4ELNS1_11target_archE910ELNS1_3gpuE8ELNS1_3repE0EEENS1_30default_config_static_selectorELNS0_4arch9wavefront6targetE0EEEvSR_,"axG",@progbits,_ZN7rocprim17ROCPRIM_400000_NS6detail17trampoline_kernelINS0_14default_configENS1_32segmented_reduce_config_selectorIN3c104HalfEEEZNS1_21segmented_reduce_implIS3_PKS6_PS6_PKiS6_N6hipcub16HIPCUB_304000_NS6detail27convert_result_type_wrapperISA_SB_N2at6native12_GLOBAL__N_19CustomMaxEEEEE10hipError_tPvRmT0_T1_jT2_SS_T4_T3_P12ihipStream_tbEUlT_E_NS1_11comp_targetILNS1_3genE4ELNS1_11target_archE910ELNS1_3gpuE8ELNS1_3repE0EEENS1_30default_config_static_selectorELNS0_4arch9wavefront6targetE0EEEvSR_,comdat
	.globl	_ZN7rocprim17ROCPRIM_400000_NS6detail17trampoline_kernelINS0_14default_configENS1_32segmented_reduce_config_selectorIN3c104HalfEEEZNS1_21segmented_reduce_implIS3_PKS6_PS6_PKiS6_N6hipcub16HIPCUB_304000_NS6detail27convert_result_type_wrapperISA_SB_N2at6native12_GLOBAL__N_19CustomMaxEEEEE10hipError_tPvRmT0_T1_jT2_SS_T4_T3_P12ihipStream_tbEUlT_E_NS1_11comp_targetILNS1_3genE4ELNS1_11target_archE910ELNS1_3gpuE8ELNS1_3repE0EEENS1_30default_config_static_selectorELNS0_4arch9wavefront6targetE0EEEvSR_ ; -- Begin function _ZN7rocprim17ROCPRIM_400000_NS6detail17trampoline_kernelINS0_14default_configENS1_32segmented_reduce_config_selectorIN3c104HalfEEEZNS1_21segmented_reduce_implIS3_PKS6_PS6_PKiS6_N6hipcub16HIPCUB_304000_NS6detail27convert_result_type_wrapperISA_SB_N2at6native12_GLOBAL__N_19CustomMaxEEEEE10hipError_tPvRmT0_T1_jT2_SS_T4_T3_P12ihipStream_tbEUlT_E_NS1_11comp_targetILNS1_3genE4ELNS1_11target_archE910ELNS1_3gpuE8ELNS1_3repE0EEENS1_30default_config_static_selectorELNS0_4arch9wavefront6targetE0EEEvSR_
	.p2align	8
	.type	_ZN7rocprim17ROCPRIM_400000_NS6detail17trampoline_kernelINS0_14default_configENS1_32segmented_reduce_config_selectorIN3c104HalfEEEZNS1_21segmented_reduce_implIS3_PKS6_PS6_PKiS6_N6hipcub16HIPCUB_304000_NS6detail27convert_result_type_wrapperISA_SB_N2at6native12_GLOBAL__N_19CustomMaxEEEEE10hipError_tPvRmT0_T1_jT2_SS_T4_T3_P12ihipStream_tbEUlT_E_NS1_11comp_targetILNS1_3genE4ELNS1_11target_archE910ELNS1_3gpuE8ELNS1_3repE0EEENS1_30default_config_static_selectorELNS0_4arch9wavefront6targetE0EEEvSR_,@function
_ZN7rocprim17ROCPRIM_400000_NS6detail17trampoline_kernelINS0_14default_configENS1_32segmented_reduce_config_selectorIN3c104HalfEEEZNS1_21segmented_reduce_implIS3_PKS6_PS6_PKiS6_N6hipcub16HIPCUB_304000_NS6detail27convert_result_type_wrapperISA_SB_N2at6native12_GLOBAL__N_19CustomMaxEEEEE10hipError_tPvRmT0_T1_jT2_SS_T4_T3_P12ihipStream_tbEUlT_E_NS1_11comp_targetILNS1_3genE4ELNS1_11target_archE910ELNS1_3gpuE8ELNS1_3repE0EEENS1_30default_config_static_selectorELNS0_4arch9wavefront6targetE0EEEvSR_: ; @_ZN7rocprim17ROCPRIM_400000_NS6detail17trampoline_kernelINS0_14default_configENS1_32segmented_reduce_config_selectorIN3c104HalfEEEZNS1_21segmented_reduce_implIS3_PKS6_PS6_PKiS6_N6hipcub16HIPCUB_304000_NS6detail27convert_result_type_wrapperISA_SB_N2at6native12_GLOBAL__N_19CustomMaxEEEEE10hipError_tPvRmT0_T1_jT2_SS_T4_T3_P12ihipStream_tbEUlT_E_NS1_11comp_targetILNS1_3genE4ELNS1_11target_archE910ELNS1_3gpuE8ELNS1_3repE0EEENS1_30default_config_static_selectorELNS0_4arch9wavefront6targetE0EEEvSR_
; %bb.0:
	.section	.rodata,"a",@progbits
	.p2align	6, 0x0
	.amdhsa_kernel _ZN7rocprim17ROCPRIM_400000_NS6detail17trampoline_kernelINS0_14default_configENS1_32segmented_reduce_config_selectorIN3c104HalfEEEZNS1_21segmented_reduce_implIS3_PKS6_PS6_PKiS6_N6hipcub16HIPCUB_304000_NS6detail27convert_result_type_wrapperISA_SB_N2at6native12_GLOBAL__N_19CustomMaxEEEEE10hipError_tPvRmT0_T1_jT2_SS_T4_T3_P12ihipStream_tbEUlT_E_NS1_11comp_targetILNS1_3genE4ELNS1_11target_archE910ELNS1_3gpuE8ELNS1_3repE0EEENS1_30default_config_static_selectorELNS0_4arch9wavefront6targetE0EEEvSR_
		.amdhsa_group_segment_fixed_size 0
		.amdhsa_private_segment_fixed_size 0
		.amdhsa_kernarg_size 48
		.amdhsa_user_sgpr_count 6
		.amdhsa_user_sgpr_private_segment_buffer 1
		.amdhsa_user_sgpr_dispatch_ptr 0
		.amdhsa_user_sgpr_queue_ptr 0
		.amdhsa_user_sgpr_kernarg_segment_ptr 1
		.amdhsa_user_sgpr_dispatch_id 0
		.amdhsa_user_sgpr_flat_scratch_init 0
		.amdhsa_user_sgpr_private_segment_size 0
		.amdhsa_wavefront_size32 1
		.amdhsa_uses_dynamic_stack 0
		.amdhsa_system_sgpr_private_segment_wavefront_offset 0
		.amdhsa_system_sgpr_workgroup_id_x 1
		.amdhsa_system_sgpr_workgroup_id_y 0
		.amdhsa_system_sgpr_workgroup_id_z 0
		.amdhsa_system_sgpr_workgroup_info 0
		.amdhsa_system_vgpr_workitem_id 0
		.amdhsa_next_free_vgpr 1
		.amdhsa_next_free_sgpr 1
		.amdhsa_reserve_vcc 0
		.amdhsa_reserve_flat_scratch 0
		.amdhsa_float_round_mode_32 0
		.amdhsa_float_round_mode_16_64 0
		.amdhsa_float_denorm_mode_32 3
		.amdhsa_float_denorm_mode_16_64 3
		.amdhsa_dx10_clamp 1
		.amdhsa_ieee_mode 1
		.amdhsa_fp16_overflow 0
		.amdhsa_workgroup_processor_mode 1
		.amdhsa_memory_ordered 1
		.amdhsa_forward_progress 1
		.amdhsa_shared_vgpr_count 0
		.amdhsa_exception_fp_ieee_invalid_op 0
		.amdhsa_exception_fp_denorm_src 0
		.amdhsa_exception_fp_ieee_div_zero 0
		.amdhsa_exception_fp_ieee_overflow 0
		.amdhsa_exception_fp_ieee_underflow 0
		.amdhsa_exception_fp_ieee_inexact 0
		.amdhsa_exception_int_div_zero 0
	.end_amdhsa_kernel
	.section	.text._ZN7rocprim17ROCPRIM_400000_NS6detail17trampoline_kernelINS0_14default_configENS1_32segmented_reduce_config_selectorIN3c104HalfEEEZNS1_21segmented_reduce_implIS3_PKS6_PS6_PKiS6_N6hipcub16HIPCUB_304000_NS6detail27convert_result_type_wrapperISA_SB_N2at6native12_GLOBAL__N_19CustomMaxEEEEE10hipError_tPvRmT0_T1_jT2_SS_T4_T3_P12ihipStream_tbEUlT_E_NS1_11comp_targetILNS1_3genE4ELNS1_11target_archE910ELNS1_3gpuE8ELNS1_3repE0EEENS1_30default_config_static_selectorELNS0_4arch9wavefront6targetE0EEEvSR_,"axG",@progbits,_ZN7rocprim17ROCPRIM_400000_NS6detail17trampoline_kernelINS0_14default_configENS1_32segmented_reduce_config_selectorIN3c104HalfEEEZNS1_21segmented_reduce_implIS3_PKS6_PS6_PKiS6_N6hipcub16HIPCUB_304000_NS6detail27convert_result_type_wrapperISA_SB_N2at6native12_GLOBAL__N_19CustomMaxEEEEE10hipError_tPvRmT0_T1_jT2_SS_T4_T3_P12ihipStream_tbEUlT_E_NS1_11comp_targetILNS1_3genE4ELNS1_11target_archE910ELNS1_3gpuE8ELNS1_3repE0EEENS1_30default_config_static_selectorELNS0_4arch9wavefront6targetE0EEEvSR_,comdat
.Lfunc_end80:
	.size	_ZN7rocprim17ROCPRIM_400000_NS6detail17trampoline_kernelINS0_14default_configENS1_32segmented_reduce_config_selectorIN3c104HalfEEEZNS1_21segmented_reduce_implIS3_PKS6_PS6_PKiS6_N6hipcub16HIPCUB_304000_NS6detail27convert_result_type_wrapperISA_SB_N2at6native12_GLOBAL__N_19CustomMaxEEEEE10hipError_tPvRmT0_T1_jT2_SS_T4_T3_P12ihipStream_tbEUlT_E_NS1_11comp_targetILNS1_3genE4ELNS1_11target_archE910ELNS1_3gpuE8ELNS1_3repE0EEENS1_30default_config_static_selectorELNS0_4arch9wavefront6targetE0EEEvSR_, .Lfunc_end80-_ZN7rocprim17ROCPRIM_400000_NS6detail17trampoline_kernelINS0_14default_configENS1_32segmented_reduce_config_selectorIN3c104HalfEEEZNS1_21segmented_reduce_implIS3_PKS6_PS6_PKiS6_N6hipcub16HIPCUB_304000_NS6detail27convert_result_type_wrapperISA_SB_N2at6native12_GLOBAL__N_19CustomMaxEEEEE10hipError_tPvRmT0_T1_jT2_SS_T4_T3_P12ihipStream_tbEUlT_E_NS1_11comp_targetILNS1_3genE4ELNS1_11target_archE910ELNS1_3gpuE8ELNS1_3repE0EEENS1_30default_config_static_selectorELNS0_4arch9wavefront6targetE0EEEvSR_
                                        ; -- End function
	.set _ZN7rocprim17ROCPRIM_400000_NS6detail17trampoline_kernelINS0_14default_configENS1_32segmented_reduce_config_selectorIN3c104HalfEEEZNS1_21segmented_reduce_implIS3_PKS6_PS6_PKiS6_N6hipcub16HIPCUB_304000_NS6detail27convert_result_type_wrapperISA_SB_N2at6native12_GLOBAL__N_19CustomMaxEEEEE10hipError_tPvRmT0_T1_jT2_SS_T4_T3_P12ihipStream_tbEUlT_E_NS1_11comp_targetILNS1_3genE4ELNS1_11target_archE910ELNS1_3gpuE8ELNS1_3repE0EEENS1_30default_config_static_selectorELNS0_4arch9wavefront6targetE0EEEvSR_.num_vgpr, 0
	.set _ZN7rocprim17ROCPRIM_400000_NS6detail17trampoline_kernelINS0_14default_configENS1_32segmented_reduce_config_selectorIN3c104HalfEEEZNS1_21segmented_reduce_implIS3_PKS6_PS6_PKiS6_N6hipcub16HIPCUB_304000_NS6detail27convert_result_type_wrapperISA_SB_N2at6native12_GLOBAL__N_19CustomMaxEEEEE10hipError_tPvRmT0_T1_jT2_SS_T4_T3_P12ihipStream_tbEUlT_E_NS1_11comp_targetILNS1_3genE4ELNS1_11target_archE910ELNS1_3gpuE8ELNS1_3repE0EEENS1_30default_config_static_selectorELNS0_4arch9wavefront6targetE0EEEvSR_.num_agpr, 0
	.set _ZN7rocprim17ROCPRIM_400000_NS6detail17trampoline_kernelINS0_14default_configENS1_32segmented_reduce_config_selectorIN3c104HalfEEEZNS1_21segmented_reduce_implIS3_PKS6_PS6_PKiS6_N6hipcub16HIPCUB_304000_NS6detail27convert_result_type_wrapperISA_SB_N2at6native12_GLOBAL__N_19CustomMaxEEEEE10hipError_tPvRmT0_T1_jT2_SS_T4_T3_P12ihipStream_tbEUlT_E_NS1_11comp_targetILNS1_3genE4ELNS1_11target_archE910ELNS1_3gpuE8ELNS1_3repE0EEENS1_30default_config_static_selectorELNS0_4arch9wavefront6targetE0EEEvSR_.numbered_sgpr, 0
	.set _ZN7rocprim17ROCPRIM_400000_NS6detail17trampoline_kernelINS0_14default_configENS1_32segmented_reduce_config_selectorIN3c104HalfEEEZNS1_21segmented_reduce_implIS3_PKS6_PS6_PKiS6_N6hipcub16HIPCUB_304000_NS6detail27convert_result_type_wrapperISA_SB_N2at6native12_GLOBAL__N_19CustomMaxEEEEE10hipError_tPvRmT0_T1_jT2_SS_T4_T3_P12ihipStream_tbEUlT_E_NS1_11comp_targetILNS1_3genE4ELNS1_11target_archE910ELNS1_3gpuE8ELNS1_3repE0EEENS1_30default_config_static_selectorELNS0_4arch9wavefront6targetE0EEEvSR_.num_named_barrier, 0
	.set _ZN7rocprim17ROCPRIM_400000_NS6detail17trampoline_kernelINS0_14default_configENS1_32segmented_reduce_config_selectorIN3c104HalfEEEZNS1_21segmented_reduce_implIS3_PKS6_PS6_PKiS6_N6hipcub16HIPCUB_304000_NS6detail27convert_result_type_wrapperISA_SB_N2at6native12_GLOBAL__N_19CustomMaxEEEEE10hipError_tPvRmT0_T1_jT2_SS_T4_T3_P12ihipStream_tbEUlT_E_NS1_11comp_targetILNS1_3genE4ELNS1_11target_archE910ELNS1_3gpuE8ELNS1_3repE0EEENS1_30default_config_static_selectorELNS0_4arch9wavefront6targetE0EEEvSR_.private_seg_size, 0
	.set _ZN7rocprim17ROCPRIM_400000_NS6detail17trampoline_kernelINS0_14default_configENS1_32segmented_reduce_config_selectorIN3c104HalfEEEZNS1_21segmented_reduce_implIS3_PKS6_PS6_PKiS6_N6hipcub16HIPCUB_304000_NS6detail27convert_result_type_wrapperISA_SB_N2at6native12_GLOBAL__N_19CustomMaxEEEEE10hipError_tPvRmT0_T1_jT2_SS_T4_T3_P12ihipStream_tbEUlT_E_NS1_11comp_targetILNS1_3genE4ELNS1_11target_archE910ELNS1_3gpuE8ELNS1_3repE0EEENS1_30default_config_static_selectorELNS0_4arch9wavefront6targetE0EEEvSR_.uses_vcc, 0
	.set _ZN7rocprim17ROCPRIM_400000_NS6detail17trampoline_kernelINS0_14default_configENS1_32segmented_reduce_config_selectorIN3c104HalfEEEZNS1_21segmented_reduce_implIS3_PKS6_PS6_PKiS6_N6hipcub16HIPCUB_304000_NS6detail27convert_result_type_wrapperISA_SB_N2at6native12_GLOBAL__N_19CustomMaxEEEEE10hipError_tPvRmT0_T1_jT2_SS_T4_T3_P12ihipStream_tbEUlT_E_NS1_11comp_targetILNS1_3genE4ELNS1_11target_archE910ELNS1_3gpuE8ELNS1_3repE0EEENS1_30default_config_static_selectorELNS0_4arch9wavefront6targetE0EEEvSR_.uses_flat_scratch, 0
	.set _ZN7rocprim17ROCPRIM_400000_NS6detail17trampoline_kernelINS0_14default_configENS1_32segmented_reduce_config_selectorIN3c104HalfEEEZNS1_21segmented_reduce_implIS3_PKS6_PS6_PKiS6_N6hipcub16HIPCUB_304000_NS6detail27convert_result_type_wrapperISA_SB_N2at6native12_GLOBAL__N_19CustomMaxEEEEE10hipError_tPvRmT0_T1_jT2_SS_T4_T3_P12ihipStream_tbEUlT_E_NS1_11comp_targetILNS1_3genE4ELNS1_11target_archE910ELNS1_3gpuE8ELNS1_3repE0EEENS1_30default_config_static_selectorELNS0_4arch9wavefront6targetE0EEEvSR_.has_dyn_sized_stack, 0
	.set _ZN7rocprim17ROCPRIM_400000_NS6detail17trampoline_kernelINS0_14default_configENS1_32segmented_reduce_config_selectorIN3c104HalfEEEZNS1_21segmented_reduce_implIS3_PKS6_PS6_PKiS6_N6hipcub16HIPCUB_304000_NS6detail27convert_result_type_wrapperISA_SB_N2at6native12_GLOBAL__N_19CustomMaxEEEEE10hipError_tPvRmT0_T1_jT2_SS_T4_T3_P12ihipStream_tbEUlT_E_NS1_11comp_targetILNS1_3genE4ELNS1_11target_archE910ELNS1_3gpuE8ELNS1_3repE0EEENS1_30default_config_static_selectorELNS0_4arch9wavefront6targetE0EEEvSR_.has_recursion, 0
	.set _ZN7rocprim17ROCPRIM_400000_NS6detail17trampoline_kernelINS0_14default_configENS1_32segmented_reduce_config_selectorIN3c104HalfEEEZNS1_21segmented_reduce_implIS3_PKS6_PS6_PKiS6_N6hipcub16HIPCUB_304000_NS6detail27convert_result_type_wrapperISA_SB_N2at6native12_GLOBAL__N_19CustomMaxEEEEE10hipError_tPvRmT0_T1_jT2_SS_T4_T3_P12ihipStream_tbEUlT_E_NS1_11comp_targetILNS1_3genE4ELNS1_11target_archE910ELNS1_3gpuE8ELNS1_3repE0EEENS1_30default_config_static_selectorELNS0_4arch9wavefront6targetE0EEEvSR_.has_indirect_call, 0
	.section	.AMDGPU.csdata,"",@progbits
; Kernel info:
; codeLenInByte = 0
; TotalNumSgprs: 0
; NumVgprs: 0
; ScratchSize: 0
; MemoryBound: 0
; FloatMode: 240
; IeeeMode: 1
; LDSByteSize: 0 bytes/workgroup (compile time only)
; SGPRBlocks: 0
; VGPRBlocks: 0
; NumSGPRsForWavesPerEU: 1
; NumVGPRsForWavesPerEU: 1
; Occupancy: 16
; WaveLimiterHint : 0
; COMPUTE_PGM_RSRC2:SCRATCH_EN: 0
; COMPUTE_PGM_RSRC2:USER_SGPR: 6
; COMPUTE_PGM_RSRC2:TRAP_HANDLER: 0
; COMPUTE_PGM_RSRC2:TGID_X_EN: 1
; COMPUTE_PGM_RSRC2:TGID_Y_EN: 0
; COMPUTE_PGM_RSRC2:TGID_Z_EN: 0
; COMPUTE_PGM_RSRC2:TIDIG_COMP_CNT: 0
	.section	.text._ZN7rocprim17ROCPRIM_400000_NS6detail17trampoline_kernelINS0_14default_configENS1_32segmented_reduce_config_selectorIN3c104HalfEEEZNS1_21segmented_reduce_implIS3_PKS6_PS6_PKiS6_N6hipcub16HIPCUB_304000_NS6detail27convert_result_type_wrapperISA_SB_N2at6native12_GLOBAL__N_19CustomMaxEEEEE10hipError_tPvRmT0_T1_jT2_SS_T4_T3_P12ihipStream_tbEUlT_E_NS1_11comp_targetILNS1_3genE3ELNS1_11target_archE908ELNS1_3gpuE7ELNS1_3repE0EEENS1_30default_config_static_selectorELNS0_4arch9wavefront6targetE0EEEvSR_,"axG",@progbits,_ZN7rocprim17ROCPRIM_400000_NS6detail17trampoline_kernelINS0_14default_configENS1_32segmented_reduce_config_selectorIN3c104HalfEEEZNS1_21segmented_reduce_implIS3_PKS6_PS6_PKiS6_N6hipcub16HIPCUB_304000_NS6detail27convert_result_type_wrapperISA_SB_N2at6native12_GLOBAL__N_19CustomMaxEEEEE10hipError_tPvRmT0_T1_jT2_SS_T4_T3_P12ihipStream_tbEUlT_E_NS1_11comp_targetILNS1_3genE3ELNS1_11target_archE908ELNS1_3gpuE7ELNS1_3repE0EEENS1_30default_config_static_selectorELNS0_4arch9wavefront6targetE0EEEvSR_,comdat
	.globl	_ZN7rocprim17ROCPRIM_400000_NS6detail17trampoline_kernelINS0_14default_configENS1_32segmented_reduce_config_selectorIN3c104HalfEEEZNS1_21segmented_reduce_implIS3_PKS6_PS6_PKiS6_N6hipcub16HIPCUB_304000_NS6detail27convert_result_type_wrapperISA_SB_N2at6native12_GLOBAL__N_19CustomMaxEEEEE10hipError_tPvRmT0_T1_jT2_SS_T4_T3_P12ihipStream_tbEUlT_E_NS1_11comp_targetILNS1_3genE3ELNS1_11target_archE908ELNS1_3gpuE7ELNS1_3repE0EEENS1_30default_config_static_selectorELNS0_4arch9wavefront6targetE0EEEvSR_ ; -- Begin function _ZN7rocprim17ROCPRIM_400000_NS6detail17trampoline_kernelINS0_14default_configENS1_32segmented_reduce_config_selectorIN3c104HalfEEEZNS1_21segmented_reduce_implIS3_PKS6_PS6_PKiS6_N6hipcub16HIPCUB_304000_NS6detail27convert_result_type_wrapperISA_SB_N2at6native12_GLOBAL__N_19CustomMaxEEEEE10hipError_tPvRmT0_T1_jT2_SS_T4_T3_P12ihipStream_tbEUlT_E_NS1_11comp_targetILNS1_3genE3ELNS1_11target_archE908ELNS1_3gpuE7ELNS1_3repE0EEENS1_30default_config_static_selectorELNS0_4arch9wavefront6targetE0EEEvSR_
	.p2align	8
	.type	_ZN7rocprim17ROCPRIM_400000_NS6detail17trampoline_kernelINS0_14default_configENS1_32segmented_reduce_config_selectorIN3c104HalfEEEZNS1_21segmented_reduce_implIS3_PKS6_PS6_PKiS6_N6hipcub16HIPCUB_304000_NS6detail27convert_result_type_wrapperISA_SB_N2at6native12_GLOBAL__N_19CustomMaxEEEEE10hipError_tPvRmT0_T1_jT2_SS_T4_T3_P12ihipStream_tbEUlT_E_NS1_11comp_targetILNS1_3genE3ELNS1_11target_archE908ELNS1_3gpuE7ELNS1_3repE0EEENS1_30default_config_static_selectorELNS0_4arch9wavefront6targetE0EEEvSR_,@function
_ZN7rocprim17ROCPRIM_400000_NS6detail17trampoline_kernelINS0_14default_configENS1_32segmented_reduce_config_selectorIN3c104HalfEEEZNS1_21segmented_reduce_implIS3_PKS6_PS6_PKiS6_N6hipcub16HIPCUB_304000_NS6detail27convert_result_type_wrapperISA_SB_N2at6native12_GLOBAL__N_19CustomMaxEEEEE10hipError_tPvRmT0_T1_jT2_SS_T4_T3_P12ihipStream_tbEUlT_E_NS1_11comp_targetILNS1_3genE3ELNS1_11target_archE908ELNS1_3gpuE7ELNS1_3repE0EEENS1_30default_config_static_selectorELNS0_4arch9wavefront6targetE0EEEvSR_: ; @_ZN7rocprim17ROCPRIM_400000_NS6detail17trampoline_kernelINS0_14default_configENS1_32segmented_reduce_config_selectorIN3c104HalfEEEZNS1_21segmented_reduce_implIS3_PKS6_PS6_PKiS6_N6hipcub16HIPCUB_304000_NS6detail27convert_result_type_wrapperISA_SB_N2at6native12_GLOBAL__N_19CustomMaxEEEEE10hipError_tPvRmT0_T1_jT2_SS_T4_T3_P12ihipStream_tbEUlT_E_NS1_11comp_targetILNS1_3genE3ELNS1_11target_archE908ELNS1_3gpuE7ELNS1_3repE0EEENS1_30default_config_static_selectorELNS0_4arch9wavefront6targetE0EEEvSR_
; %bb.0:
	.section	.rodata,"a",@progbits
	.p2align	6, 0x0
	.amdhsa_kernel _ZN7rocprim17ROCPRIM_400000_NS6detail17trampoline_kernelINS0_14default_configENS1_32segmented_reduce_config_selectorIN3c104HalfEEEZNS1_21segmented_reduce_implIS3_PKS6_PS6_PKiS6_N6hipcub16HIPCUB_304000_NS6detail27convert_result_type_wrapperISA_SB_N2at6native12_GLOBAL__N_19CustomMaxEEEEE10hipError_tPvRmT0_T1_jT2_SS_T4_T3_P12ihipStream_tbEUlT_E_NS1_11comp_targetILNS1_3genE3ELNS1_11target_archE908ELNS1_3gpuE7ELNS1_3repE0EEENS1_30default_config_static_selectorELNS0_4arch9wavefront6targetE0EEEvSR_
		.amdhsa_group_segment_fixed_size 0
		.amdhsa_private_segment_fixed_size 0
		.amdhsa_kernarg_size 48
		.amdhsa_user_sgpr_count 6
		.amdhsa_user_sgpr_private_segment_buffer 1
		.amdhsa_user_sgpr_dispatch_ptr 0
		.amdhsa_user_sgpr_queue_ptr 0
		.amdhsa_user_sgpr_kernarg_segment_ptr 1
		.amdhsa_user_sgpr_dispatch_id 0
		.amdhsa_user_sgpr_flat_scratch_init 0
		.amdhsa_user_sgpr_private_segment_size 0
		.amdhsa_wavefront_size32 1
		.amdhsa_uses_dynamic_stack 0
		.amdhsa_system_sgpr_private_segment_wavefront_offset 0
		.amdhsa_system_sgpr_workgroup_id_x 1
		.amdhsa_system_sgpr_workgroup_id_y 0
		.amdhsa_system_sgpr_workgroup_id_z 0
		.amdhsa_system_sgpr_workgroup_info 0
		.amdhsa_system_vgpr_workitem_id 0
		.amdhsa_next_free_vgpr 1
		.amdhsa_next_free_sgpr 1
		.amdhsa_reserve_vcc 0
		.amdhsa_reserve_flat_scratch 0
		.amdhsa_float_round_mode_32 0
		.amdhsa_float_round_mode_16_64 0
		.amdhsa_float_denorm_mode_32 3
		.amdhsa_float_denorm_mode_16_64 3
		.amdhsa_dx10_clamp 1
		.amdhsa_ieee_mode 1
		.amdhsa_fp16_overflow 0
		.amdhsa_workgroup_processor_mode 1
		.amdhsa_memory_ordered 1
		.amdhsa_forward_progress 1
		.amdhsa_shared_vgpr_count 0
		.amdhsa_exception_fp_ieee_invalid_op 0
		.amdhsa_exception_fp_denorm_src 0
		.amdhsa_exception_fp_ieee_div_zero 0
		.amdhsa_exception_fp_ieee_overflow 0
		.amdhsa_exception_fp_ieee_underflow 0
		.amdhsa_exception_fp_ieee_inexact 0
		.amdhsa_exception_int_div_zero 0
	.end_amdhsa_kernel
	.section	.text._ZN7rocprim17ROCPRIM_400000_NS6detail17trampoline_kernelINS0_14default_configENS1_32segmented_reduce_config_selectorIN3c104HalfEEEZNS1_21segmented_reduce_implIS3_PKS6_PS6_PKiS6_N6hipcub16HIPCUB_304000_NS6detail27convert_result_type_wrapperISA_SB_N2at6native12_GLOBAL__N_19CustomMaxEEEEE10hipError_tPvRmT0_T1_jT2_SS_T4_T3_P12ihipStream_tbEUlT_E_NS1_11comp_targetILNS1_3genE3ELNS1_11target_archE908ELNS1_3gpuE7ELNS1_3repE0EEENS1_30default_config_static_selectorELNS0_4arch9wavefront6targetE0EEEvSR_,"axG",@progbits,_ZN7rocprim17ROCPRIM_400000_NS6detail17trampoline_kernelINS0_14default_configENS1_32segmented_reduce_config_selectorIN3c104HalfEEEZNS1_21segmented_reduce_implIS3_PKS6_PS6_PKiS6_N6hipcub16HIPCUB_304000_NS6detail27convert_result_type_wrapperISA_SB_N2at6native12_GLOBAL__N_19CustomMaxEEEEE10hipError_tPvRmT0_T1_jT2_SS_T4_T3_P12ihipStream_tbEUlT_E_NS1_11comp_targetILNS1_3genE3ELNS1_11target_archE908ELNS1_3gpuE7ELNS1_3repE0EEENS1_30default_config_static_selectorELNS0_4arch9wavefront6targetE0EEEvSR_,comdat
.Lfunc_end81:
	.size	_ZN7rocprim17ROCPRIM_400000_NS6detail17trampoline_kernelINS0_14default_configENS1_32segmented_reduce_config_selectorIN3c104HalfEEEZNS1_21segmented_reduce_implIS3_PKS6_PS6_PKiS6_N6hipcub16HIPCUB_304000_NS6detail27convert_result_type_wrapperISA_SB_N2at6native12_GLOBAL__N_19CustomMaxEEEEE10hipError_tPvRmT0_T1_jT2_SS_T4_T3_P12ihipStream_tbEUlT_E_NS1_11comp_targetILNS1_3genE3ELNS1_11target_archE908ELNS1_3gpuE7ELNS1_3repE0EEENS1_30default_config_static_selectorELNS0_4arch9wavefront6targetE0EEEvSR_, .Lfunc_end81-_ZN7rocprim17ROCPRIM_400000_NS6detail17trampoline_kernelINS0_14default_configENS1_32segmented_reduce_config_selectorIN3c104HalfEEEZNS1_21segmented_reduce_implIS3_PKS6_PS6_PKiS6_N6hipcub16HIPCUB_304000_NS6detail27convert_result_type_wrapperISA_SB_N2at6native12_GLOBAL__N_19CustomMaxEEEEE10hipError_tPvRmT0_T1_jT2_SS_T4_T3_P12ihipStream_tbEUlT_E_NS1_11comp_targetILNS1_3genE3ELNS1_11target_archE908ELNS1_3gpuE7ELNS1_3repE0EEENS1_30default_config_static_selectorELNS0_4arch9wavefront6targetE0EEEvSR_
                                        ; -- End function
	.set _ZN7rocprim17ROCPRIM_400000_NS6detail17trampoline_kernelINS0_14default_configENS1_32segmented_reduce_config_selectorIN3c104HalfEEEZNS1_21segmented_reduce_implIS3_PKS6_PS6_PKiS6_N6hipcub16HIPCUB_304000_NS6detail27convert_result_type_wrapperISA_SB_N2at6native12_GLOBAL__N_19CustomMaxEEEEE10hipError_tPvRmT0_T1_jT2_SS_T4_T3_P12ihipStream_tbEUlT_E_NS1_11comp_targetILNS1_3genE3ELNS1_11target_archE908ELNS1_3gpuE7ELNS1_3repE0EEENS1_30default_config_static_selectorELNS0_4arch9wavefront6targetE0EEEvSR_.num_vgpr, 0
	.set _ZN7rocprim17ROCPRIM_400000_NS6detail17trampoline_kernelINS0_14default_configENS1_32segmented_reduce_config_selectorIN3c104HalfEEEZNS1_21segmented_reduce_implIS3_PKS6_PS6_PKiS6_N6hipcub16HIPCUB_304000_NS6detail27convert_result_type_wrapperISA_SB_N2at6native12_GLOBAL__N_19CustomMaxEEEEE10hipError_tPvRmT0_T1_jT2_SS_T4_T3_P12ihipStream_tbEUlT_E_NS1_11comp_targetILNS1_3genE3ELNS1_11target_archE908ELNS1_3gpuE7ELNS1_3repE0EEENS1_30default_config_static_selectorELNS0_4arch9wavefront6targetE0EEEvSR_.num_agpr, 0
	.set _ZN7rocprim17ROCPRIM_400000_NS6detail17trampoline_kernelINS0_14default_configENS1_32segmented_reduce_config_selectorIN3c104HalfEEEZNS1_21segmented_reduce_implIS3_PKS6_PS6_PKiS6_N6hipcub16HIPCUB_304000_NS6detail27convert_result_type_wrapperISA_SB_N2at6native12_GLOBAL__N_19CustomMaxEEEEE10hipError_tPvRmT0_T1_jT2_SS_T4_T3_P12ihipStream_tbEUlT_E_NS1_11comp_targetILNS1_3genE3ELNS1_11target_archE908ELNS1_3gpuE7ELNS1_3repE0EEENS1_30default_config_static_selectorELNS0_4arch9wavefront6targetE0EEEvSR_.numbered_sgpr, 0
	.set _ZN7rocprim17ROCPRIM_400000_NS6detail17trampoline_kernelINS0_14default_configENS1_32segmented_reduce_config_selectorIN3c104HalfEEEZNS1_21segmented_reduce_implIS3_PKS6_PS6_PKiS6_N6hipcub16HIPCUB_304000_NS6detail27convert_result_type_wrapperISA_SB_N2at6native12_GLOBAL__N_19CustomMaxEEEEE10hipError_tPvRmT0_T1_jT2_SS_T4_T3_P12ihipStream_tbEUlT_E_NS1_11comp_targetILNS1_3genE3ELNS1_11target_archE908ELNS1_3gpuE7ELNS1_3repE0EEENS1_30default_config_static_selectorELNS0_4arch9wavefront6targetE0EEEvSR_.num_named_barrier, 0
	.set _ZN7rocprim17ROCPRIM_400000_NS6detail17trampoline_kernelINS0_14default_configENS1_32segmented_reduce_config_selectorIN3c104HalfEEEZNS1_21segmented_reduce_implIS3_PKS6_PS6_PKiS6_N6hipcub16HIPCUB_304000_NS6detail27convert_result_type_wrapperISA_SB_N2at6native12_GLOBAL__N_19CustomMaxEEEEE10hipError_tPvRmT0_T1_jT2_SS_T4_T3_P12ihipStream_tbEUlT_E_NS1_11comp_targetILNS1_3genE3ELNS1_11target_archE908ELNS1_3gpuE7ELNS1_3repE0EEENS1_30default_config_static_selectorELNS0_4arch9wavefront6targetE0EEEvSR_.private_seg_size, 0
	.set _ZN7rocprim17ROCPRIM_400000_NS6detail17trampoline_kernelINS0_14default_configENS1_32segmented_reduce_config_selectorIN3c104HalfEEEZNS1_21segmented_reduce_implIS3_PKS6_PS6_PKiS6_N6hipcub16HIPCUB_304000_NS6detail27convert_result_type_wrapperISA_SB_N2at6native12_GLOBAL__N_19CustomMaxEEEEE10hipError_tPvRmT0_T1_jT2_SS_T4_T3_P12ihipStream_tbEUlT_E_NS1_11comp_targetILNS1_3genE3ELNS1_11target_archE908ELNS1_3gpuE7ELNS1_3repE0EEENS1_30default_config_static_selectorELNS0_4arch9wavefront6targetE0EEEvSR_.uses_vcc, 0
	.set _ZN7rocprim17ROCPRIM_400000_NS6detail17trampoline_kernelINS0_14default_configENS1_32segmented_reduce_config_selectorIN3c104HalfEEEZNS1_21segmented_reduce_implIS3_PKS6_PS6_PKiS6_N6hipcub16HIPCUB_304000_NS6detail27convert_result_type_wrapperISA_SB_N2at6native12_GLOBAL__N_19CustomMaxEEEEE10hipError_tPvRmT0_T1_jT2_SS_T4_T3_P12ihipStream_tbEUlT_E_NS1_11comp_targetILNS1_3genE3ELNS1_11target_archE908ELNS1_3gpuE7ELNS1_3repE0EEENS1_30default_config_static_selectorELNS0_4arch9wavefront6targetE0EEEvSR_.uses_flat_scratch, 0
	.set _ZN7rocprim17ROCPRIM_400000_NS6detail17trampoline_kernelINS0_14default_configENS1_32segmented_reduce_config_selectorIN3c104HalfEEEZNS1_21segmented_reduce_implIS3_PKS6_PS6_PKiS6_N6hipcub16HIPCUB_304000_NS6detail27convert_result_type_wrapperISA_SB_N2at6native12_GLOBAL__N_19CustomMaxEEEEE10hipError_tPvRmT0_T1_jT2_SS_T4_T3_P12ihipStream_tbEUlT_E_NS1_11comp_targetILNS1_3genE3ELNS1_11target_archE908ELNS1_3gpuE7ELNS1_3repE0EEENS1_30default_config_static_selectorELNS0_4arch9wavefront6targetE0EEEvSR_.has_dyn_sized_stack, 0
	.set _ZN7rocprim17ROCPRIM_400000_NS6detail17trampoline_kernelINS0_14default_configENS1_32segmented_reduce_config_selectorIN3c104HalfEEEZNS1_21segmented_reduce_implIS3_PKS6_PS6_PKiS6_N6hipcub16HIPCUB_304000_NS6detail27convert_result_type_wrapperISA_SB_N2at6native12_GLOBAL__N_19CustomMaxEEEEE10hipError_tPvRmT0_T1_jT2_SS_T4_T3_P12ihipStream_tbEUlT_E_NS1_11comp_targetILNS1_3genE3ELNS1_11target_archE908ELNS1_3gpuE7ELNS1_3repE0EEENS1_30default_config_static_selectorELNS0_4arch9wavefront6targetE0EEEvSR_.has_recursion, 0
	.set _ZN7rocprim17ROCPRIM_400000_NS6detail17trampoline_kernelINS0_14default_configENS1_32segmented_reduce_config_selectorIN3c104HalfEEEZNS1_21segmented_reduce_implIS3_PKS6_PS6_PKiS6_N6hipcub16HIPCUB_304000_NS6detail27convert_result_type_wrapperISA_SB_N2at6native12_GLOBAL__N_19CustomMaxEEEEE10hipError_tPvRmT0_T1_jT2_SS_T4_T3_P12ihipStream_tbEUlT_E_NS1_11comp_targetILNS1_3genE3ELNS1_11target_archE908ELNS1_3gpuE7ELNS1_3repE0EEENS1_30default_config_static_selectorELNS0_4arch9wavefront6targetE0EEEvSR_.has_indirect_call, 0
	.section	.AMDGPU.csdata,"",@progbits
; Kernel info:
; codeLenInByte = 0
; TotalNumSgprs: 0
; NumVgprs: 0
; ScratchSize: 0
; MemoryBound: 0
; FloatMode: 240
; IeeeMode: 1
; LDSByteSize: 0 bytes/workgroup (compile time only)
; SGPRBlocks: 0
; VGPRBlocks: 0
; NumSGPRsForWavesPerEU: 1
; NumVGPRsForWavesPerEU: 1
; Occupancy: 16
; WaveLimiterHint : 0
; COMPUTE_PGM_RSRC2:SCRATCH_EN: 0
; COMPUTE_PGM_RSRC2:USER_SGPR: 6
; COMPUTE_PGM_RSRC2:TRAP_HANDLER: 0
; COMPUTE_PGM_RSRC2:TGID_X_EN: 1
; COMPUTE_PGM_RSRC2:TGID_Y_EN: 0
; COMPUTE_PGM_RSRC2:TGID_Z_EN: 0
; COMPUTE_PGM_RSRC2:TIDIG_COMP_CNT: 0
	.section	.text._ZN7rocprim17ROCPRIM_400000_NS6detail17trampoline_kernelINS0_14default_configENS1_32segmented_reduce_config_selectorIN3c104HalfEEEZNS1_21segmented_reduce_implIS3_PKS6_PS6_PKiS6_N6hipcub16HIPCUB_304000_NS6detail27convert_result_type_wrapperISA_SB_N2at6native12_GLOBAL__N_19CustomMaxEEEEE10hipError_tPvRmT0_T1_jT2_SS_T4_T3_P12ihipStream_tbEUlT_E_NS1_11comp_targetILNS1_3genE2ELNS1_11target_archE906ELNS1_3gpuE6ELNS1_3repE0EEENS1_30default_config_static_selectorELNS0_4arch9wavefront6targetE0EEEvSR_,"axG",@progbits,_ZN7rocprim17ROCPRIM_400000_NS6detail17trampoline_kernelINS0_14default_configENS1_32segmented_reduce_config_selectorIN3c104HalfEEEZNS1_21segmented_reduce_implIS3_PKS6_PS6_PKiS6_N6hipcub16HIPCUB_304000_NS6detail27convert_result_type_wrapperISA_SB_N2at6native12_GLOBAL__N_19CustomMaxEEEEE10hipError_tPvRmT0_T1_jT2_SS_T4_T3_P12ihipStream_tbEUlT_E_NS1_11comp_targetILNS1_3genE2ELNS1_11target_archE906ELNS1_3gpuE6ELNS1_3repE0EEENS1_30default_config_static_selectorELNS0_4arch9wavefront6targetE0EEEvSR_,comdat
	.globl	_ZN7rocprim17ROCPRIM_400000_NS6detail17trampoline_kernelINS0_14default_configENS1_32segmented_reduce_config_selectorIN3c104HalfEEEZNS1_21segmented_reduce_implIS3_PKS6_PS6_PKiS6_N6hipcub16HIPCUB_304000_NS6detail27convert_result_type_wrapperISA_SB_N2at6native12_GLOBAL__N_19CustomMaxEEEEE10hipError_tPvRmT0_T1_jT2_SS_T4_T3_P12ihipStream_tbEUlT_E_NS1_11comp_targetILNS1_3genE2ELNS1_11target_archE906ELNS1_3gpuE6ELNS1_3repE0EEENS1_30default_config_static_selectorELNS0_4arch9wavefront6targetE0EEEvSR_ ; -- Begin function _ZN7rocprim17ROCPRIM_400000_NS6detail17trampoline_kernelINS0_14default_configENS1_32segmented_reduce_config_selectorIN3c104HalfEEEZNS1_21segmented_reduce_implIS3_PKS6_PS6_PKiS6_N6hipcub16HIPCUB_304000_NS6detail27convert_result_type_wrapperISA_SB_N2at6native12_GLOBAL__N_19CustomMaxEEEEE10hipError_tPvRmT0_T1_jT2_SS_T4_T3_P12ihipStream_tbEUlT_E_NS1_11comp_targetILNS1_3genE2ELNS1_11target_archE906ELNS1_3gpuE6ELNS1_3repE0EEENS1_30default_config_static_selectorELNS0_4arch9wavefront6targetE0EEEvSR_
	.p2align	8
	.type	_ZN7rocprim17ROCPRIM_400000_NS6detail17trampoline_kernelINS0_14default_configENS1_32segmented_reduce_config_selectorIN3c104HalfEEEZNS1_21segmented_reduce_implIS3_PKS6_PS6_PKiS6_N6hipcub16HIPCUB_304000_NS6detail27convert_result_type_wrapperISA_SB_N2at6native12_GLOBAL__N_19CustomMaxEEEEE10hipError_tPvRmT0_T1_jT2_SS_T4_T3_P12ihipStream_tbEUlT_E_NS1_11comp_targetILNS1_3genE2ELNS1_11target_archE906ELNS1_3gpuE6ELNS1_3repE0EEENS1_30default_config_static_selectorELNS0_4arch9wavefront6targetE0EEEvSR_,@function
_ZN7rocprim17ROCPRIM_400000_NS6detail17trampoline_kernelINS0_14default_configENS1_32segmented_reduce_config_selectorIN3c104HalfEEEZNS1_21segmented_reduce_implIS3_PKS6_PS6_PKiS6_N6hipcub16HIPCUB_304000_NS6detail27convert_result_type_wrapperISA_SB_N2at6native12_GLOBAL__N_19CustomMaxEEEEE10hipError_tPvRmT0_T1_jT2_SS_T4_T3_P12ihipStream_tbEUlT_E_NS1_11comp_targetILNS1_3genE2ELNS1_11target_archE906ELNS1_3gpuE6ELNS1_3repE0EEENS1_30default_config_static_selectorELNS0_4arch9wavefront6targetE0EEEvSR_: ; @_ZN7rocprim17ROCPRIM_400000_NS6detail17trampoline_kernelINS0_14default_configENS1_32segmented_reduce_config_selectorIN3c104HalfEEEZNS1_21segmented_reduce_implIS3_PKS6_PS6_PKiS6_N6hipcub16HIPCUB_304000_NS6detail27convert_result_type_wrapperISA_SB_N2at6native12_GLOBAL__N_19CustomMaxEEEEE10hipError_tPvRmT0_T1_jT2_SS_T4_T3_P12ihipStream_tbEUlT_E_NS1_11comp_targetILNS1_3genE2ELNS1_11target_archE906ELNS1_3gpuE6ELNS1_3repE0EEENS1_30default_config_static_selectorELNS0_4arch9wavefront6targetE0EEEvSR_
; %bb.0:
	.section	.rodata,"a",@progbits
	.p2align	6, 0x0
	.amdhsa_kernel _ZN7rocprim17ROCPRIM_400000_NS6detail17trampoline_kernelINS0_14default_configENS1_32segmented_reduce_config_selectorIN3c104HalfEEEZNS1_21segmented_reduce_implIS3_PKS6_PS6_PKiS6_N6hipcub16HIPCUB_304000_NS6detail27convert_result_type_wrapperISA_SB_N2at6native12_GLOBAL__N_19CustomMaxEEEEE10hipError_tPvRmT0_T1_jT2_SS_T4_T3_P12ihipStream_tbEUlT_E_NS1_11comp_targetILNS1_3genE2ELNS1_11target_archE906ELNS1_3gpuE6ELNS1_3repE0EEENS1_30default_config_static_selectorELNS0_4arch9wavefront6targetE0EEEvSR_
		.amdhsa_group_segment_fixed_size 0
		.amdhsa_private_segment_fixed_size 0
		.amdhsa_kernarg_size 48
		.amdhsa_user_sgpr_count 6
		.amdhsa_user_sgpr_private_segment_buffer 1
		.amdhsa_user_sgpr_dispatch_ptr 0
		.amdhsa_user_sgpr_queue_ptr 0
		.amdhsa_user_sgpr_kernarg_segment_ptr 1
		.amdhsa_user_sgpr_dispatch_id 0
		.amdhsa_user_sgpr_flat_scratch_init 0
		.amdhsa_user_sgpr_private_segment_size 0
		.amdhsa_wavefront_size32 1
		.amdhsa_uses_dynamic_stack 0
		.amdhsa_system_sgpr_private_segment_wavefront_offset 0
		.amdhsa_system_sgpr_workgroup_id_x 1
		.amdhsa_system_sgpr_workgroup_id_y 0
		.amdhsa_system_sgpr_workgroup_id_z 0
		.amdhsa_system_sgpr_workgroup_info 0
		.amdhsa_system_vgpr_workitem_id 0
		.amdhsa_next_free_vgpr 1
		.amdhsa_next_free_sgpr 1
		.amdhsa_reserve_vcc 0
		.amdhsa_reserve_flat_scratch 0
		.amdhsa_float_round_mode_32 0
		.amdhsa_float_round_mode_16_64 0
		.amdhsa_float_denorm_mode_32 3
		.amdhsa_float_denorm_mode_16_64 3
		.amdhsa_dx10_clamp 1
		.amdhsa_ieee_mode 1
		.amdhsa_fp16_overflow 0
		.amdhsa_workgroup_processor_mode 1
		.amdhsa_memory_ordered 1
		.amdhsa_forward_progress 1
		.amdhsa_shared_vgpr_count 0
		.amdhsa_exception_fp_ieee_invalid_op 0
		.amdhsa_exception_fp_denorm_src 0
		.amdhsa_exception_fp_ieee_div_zero 0
		.amdhsa_exception_fp_ieee_overflow 0
		.amdhsa_exception_fp_ieee_underflow 0
		.amdhsa_exception_fp_ieee_inexact 0
		.amdhsa_exception_int_div_zero 0
	.end_amdhsa_kernel
	.section	.text._ZN7rocprim17ROCPRIM_400000_NS6detail17trampoline_kernelINS0_14default_configENS1_32segmented_reduce_config_selectorIN3c104HalfEEEZNS1_21segmented_reduce_implIS3_PKS6_PS6_PKiS6_N6hipcub16HIPCUB_304000_NS6detail27convert_result_type_wrapperISA_SB_N2at6native12_GLOBAL__N_19CustomMaxEEEEE10hipError_tPvRmT0_T1_jT2_SS_T4_T3_P12ihipStream_tbEUlT_E_NS1_11comp_targetILNS1_3genE2ELNS1_11target_archE906ELNS1_3gpuE6ELNS1_3repE0EEENS1_30default_config_static_selectorELNS0_4arch9wavefront6targetE0EEEvSR_,"axG",@progbits,_ZN7rocprim17ROCPRIM_400000_NS6detail17trampoline_kernelINS0_14default_configENS1_32segmented_reduce_config_selectorIN3c104HalfEEEZNS1_21segmented_reduce_implIS3_PKS6_PS6_PKiS6_N6hipcub16HIPCUB_304000_NS6detail27convert_result_type_wrapperISA_SB_N2at6native12_GLOBAL__N_19CustomMaxEEEEE10hipError_tPvRmT0_T1_jT2_SS_T4_T3_P12ihipStream_tbEUlT_E_NS1_11comp_targetILNS1_3genE2ELNS1_11target_archE906ELNS1_3gpuE6ELNS1_3repE0EEENS1_30default_config_static_selectorELNS0_4arch9wavefront6targetE0EEEvSR_,comdat
.Lfunc_end82:
	.size	_ZN7rocprim17ROCPRIM_400000_NS6detail17trampoline_kernelINS0_14default_configENS1_32segmented_reduce_config_selectorIN3c104HalfEEEZNS1_21segmented_reduce_implIS3_PKS6_PS6_PKiS6_N6hipcub16HIPCUB_304000_NS6detail27convert_result_type_wrapperISA_SB_N2at6native12_GLOBAL__N_19CustomMaxEEEEE10hipError_tPvRmT0_T1_jT2_SS_T4_T3_P12ihipStream_tbEUlT_E_NS1_11comp_targetILNS1_3genE2ELNS1_11target_archE906ELNS1_3gpuE6ELNS1_3repE0EEENS1_30default_config_static_selectorELNS0_4arch9wavefront6targetE0EEEvSR_, .Lfunc_end82-_ZN7rocprim17ROCPRIM_400000_NS6detail17trampoline_kernelINS0_14default_configENS1_32segmented_reduce_config_selectorIN3c104HalfEEEZNS1_21segmented_reduce_implIS3_PKS6_PS6_PKiS6_N6hipcub16HIPCUB_304000_NS6detail27convert_result_type_wrapperISA_SB_N2at6native12_GLOBAL__N_19CustomMaxEEEEE10hipError_tPvRmT0_T1_jT2_SS_T4_T3_P12ihipStream_tbEUlT_E_NS1_11comp_targetILNS1_3genE2ELNS1_11target_archE906ELNS1_3gpuE6ELNS1_3repE0EEENS1_30default_config_static_selectorELNS0_4arch9wavefront6targetE0EEEvSR_
                                        ; -- End function
	.set _ZN7rocprim17ROCPRIM_400000_NS6detail17trampoline_kernelINS0_14default_configENS1_32segmented_reduce_config_selectorIN3c104HalfEEEZNS1_21segmented_reduce_implIS3_PKS6_PS6_PKiS6_N6hipcub16HIPCUB_304000_NS6detail27convert_result_type_wrapperISA_SB_N2at6native12_GLOBAL__N_19CustomMaxEEEEE10hipError_tPvRmT0_T1_jT2_SS_T4_T3_P12ihipStream_tbEUlT_E_NS1_11comp_targetILNS1_3genE2ELNS1_11target_archE906ELNS1_3gpuE6ELNS1_3repE0EEENS1_30default_config_static_selectorELNS0_4arch9wavefront6targetE0EEEvSR_.num_vgpr, 0
	.set _ZN7rocprim17ROCPRIM_400000_NS6detail17trampoline_kernelINS0_14default_configENS1_32segmented_reduce_config_selectorIN3c104HalfEEEZNS1_21segmented_reduce_implIS3_PKS6_PS6_PKiS6_N6hipcub16HIPCUB_304000_NS6detail27convert_result_type_wrapperISA_SB_N2at6native12_GLOBAL__N_19CustomMaxEEEEE10hipError_tPvRmT0_T1_jT2_SS_T4_T3_P12ihipStream_tbEUlT_E_NS1_11comp_targetILNS1_3genE2ELNS1_11target_archE906ELNS1_3gpuE6ELNS1_3repE0EEENS1_30default_config_static_selectorELNS0_4arch9wavefront6targetE0EEEvSR_.num_agpr, 0
	.set _ZN7rocprim17ROCPRIM_400000_NS6detail17trampoline_kernelINS0_14default_configENS1_32segmented_reduce_config_selectorIN3c104HalfEEEZNS1_21segmented_reduce_implIS3_PKS6_PS6_PKiS6_N6hipcub16HIPCUB_304000_NS6detail27convert_result_type_wrapperISA_SB_N2at6native12_GLOBAL__N_19CustomMaxEEEEE10hipError_tPvRmT0_T1_jT2_SS_T4_T3_P12ihipStream_tbEUlT_E_NS1_11comp_targetILNS1_3genE2ELNS1_11target_archE906ELNS1_3gpuE6ELNS1_3repE0EEENS1_30default_config_static_selectorELNS0_4arch9wavefront6targetE0EEEvSR_.numbered_sgpr, 0
	.set _ZN7rocprim17ROCPRIM_400000_NS6detail17trampoline_kernelINS0_14default_configENS1_32segmented_reduce_config_selectorIN3c104HalfEEEZNS1_21segmented_reduce_implIS3_PKS6_PS6_PKiS6_N6hipcub16HIPCUB_304000_NS6detail27convert_result_type_wrapperISA_SB_N2at6native12_GLOBAL__N_19CustomMaxEEEEE10hipError_tPvRmT0_T1_jT2_SS_T4_T3_P12ihipStream_tbEUlT_E_NS1_11comp_targetILNS1_3genE2ELNS1_11target_archE906ELNS1_3gpuE6ELNS1_3repE0EEENS1_30default_config_static_selectorELNS0_4arch9wavefront6targetE0EEEvSR_.num_named_barrier, 0
	.set _ZN7rocprim17ROCPRIM_400000_NS6detail17trampoline_kernelINS0_14default_configENS1_32segmented_reduce_config_selectorIN3c104HalfEEEZNS1_21segmented_reduce_implIS3_PKS6_PS6_PKiS6_N6hipcub16HIPCUB_304000_NS6detail27convert_result_type_wrapperISA_SB_N2at6native12_GLOBAL__N_19CustomMaxEEEEE10hipError_tPvRmT0_T1_jT2_SS_T4_T3_P12ihipStream_tbEUlT_E_NS1_11comp_targetILNS1_3genE2ELNS1_11target_archE906ELNS1_3gpuE6ELNS1_3repE0EEENS1_30default_config_static_selectorELNS0_4arch9wavefront6targetE0EEEvSR_.private_seg_size, 0
	.set _ZN7rocprim17ROCPRIM_400000_NS6detail17trampoline_kernelINS0_14default_configENS1_32segmented_reduce_config_selectorIN3c104HalfEEEZNS1_21segmented_reduce_implIS3_PKS6_PS6_PKiS6_N6hipcub16HIPCUB_304000_NS6detail27convert_result_type_wrapperISA_SB_N2at6native12_GLOBAL__N_19CustomMaxEEEEE10hipError_tPvRmT0_T1_jT2_SS_T4_T3_P12ihipStream_tbEUlT_E_NS1_11comp_targetILNS1_3genE2ELNS1_11target_archE906ELNS1_3gpuE6ELNS1_3repE0EEENS1_30default_config_static_selectorELNS0_4arch9wavefront6targetE0EEEvSR_.uses_vcc, 0
	.set _ZN7rocprim17ROCPRIM_400000_NS6detail17trampoline_kernelINS0_14default_configENS1_32segmented_reduce_config_selectorIN3c104HalfEEEZNS1_21segmented_reduce_implIS3_PKS6_PS6_PKiS6_N6hipcub16HIPCUB_304000_NS6detail27convert_result_type_wrapperISA_SB_N2at6native12_GLOBAL__N_19CustomMaxEEEEE10hipError_tPvRmT0_T1_jT2_SS_T4_T3_P12ihipStream_tbEUlT_E_NS1_11comp_targetILNS1_3genE2ELNS1_11target_archE906ELNS1_3gpuE6ELNS1_3repE0EEENS1_30default_config_static_selectorELNS0_4arch9wavefront6targetE0EEEvSR_.uses_flat_scratch, 0
	.set _ZN7rocprim17ROCPRIM_400000_NS6detail17trampoline_kernelINS0_14default_configENS1_32segmented_reduce_config_selectorIN3c104HalfEEEZNS1_21segmented_reduce_implIS3_PKS6_PS6_PKiS6_N6hipcub16HIPCUB_304000_NS6detail27convert_result_type_wrapperISA_SB_N2at6native12_GLOBAL__N_19CustomMaxEEEEE10hipError_tPvRmT0_T1_jT2_SS_T4_T3_P12ihipStream_tbEUlT_E_NS1_11comp_targetILNS1_3genE2ELNS1_11target_archE906ELNS1_3gpuE6ELNS1_3repE0EEENS1_30default_config_static_selectorELNS0_4arch9wavefront6targetE0EEEvSR_.has_dyn_sized_stack, 0
	.set _ZN7rocprim17ROCPRIM_400000_NS6detail17trampoline_kernelINS0_14default_configENS1_32segmented_reduce_config_selectorIN3c104HalfEEEZNS1_21segmented_reduce_implIS3_PKS6_PS6_PKiS6_N6hipcub16HIPCUB_304000_NS6detail27convert_result_type_wrapperISA_SB_N2at6native12_GLOBAL__N_19CustomMaxEEEEE10hipError_tPvRmT0_T1_jT2_SS_T4_T3_P12ihipStream_tbEUlT_E_NS1_11comp_targetILNS1_3genE2ELNS1_11target_archE906ELNS1_3gpuE6ELNS1_3repE0EEENS1_30default_config_static_selectorELNS0_4arch9wavefront6targetE0EEEvSR_.has_recursion, 0
	.set _ZN7rocprim17ROCPRIM_400000_NS6detail17trampoline_kernelINS0_14default_configENS1_32segmented_reduce_config_selectorIN3c104HalfEEEZNS1_21segmented_reduce_implIS3_PKS6_PS6_PKiS6_N6hipcub16HIPCUB_304000_NS6detail27convert_result_type_wrapperISA_SB_N2at6native12_GLOBAL__N_19CustomMaxEEEEE10hipError_tPvRmT0_T1_jT2_SS_T4_T3_P12ihipStream_tbEUlT_E_NS1_11comp_targetILNS1_3genE2ELNS1_11target_archE906ELNS1_3gpuE6ELNS1_3repE0EEENS1_30default_config_static_selectorELNS0_4arch9wavefront6targetE0EEEvSR_.has_indirect_call, 0
	.section	.AMDGPU.csdata,"",@progbits
; Kernel info:
; codeLenInByte = 0
; TotalNumSgprs: 0
; NumVgprs: 0
; ScratchSize: 0
; MemoryBound: 0
; FloatMode: 240
; IeeeMode: 1
; LDSByteSize: 0 bytes/workgroup (compile time only)
; SGPRBlocks: 0
; VGPRBlocks: 0
; NumSGPRsForWavesPerEU: 1
; NumVGPRsForWavesPerEU: 1
; Occupancy: 16
; WaveLimiterHint : 0
; COMPUTE_PGM_RSRC2:SCRATCH_EN: 0
; COMPUTE_PGM_RSRC2:USER_SGPR: 6
; COMPUTE_PGM_RSRC2:TRAP_HANDLER: 0
; COMPUTE_PGM_RSRC2:TGID_X_EN: 1
; COMPUTE_PGM_RSRC2:TGID_Y_EN: 0
; COMPUTE_PGM_RSRC2:TGID_Z_EN: 0
; COMPUTE_PGM_RSRC2:TIDIG_COMP_CNT: 0
	.section	.text._ZN7rocprim17ROCPRIM_400000_NS6detail17trampoline_kernelINS0_14default_configENS1_32segmented_reduce_config_selectorIN3c104HalfEEEZNS1_21segmented_reduce_implIS3_PKS6_PS6_PKiS6_N6hipcub16HIPCUB_304000_NS6detail27convert_result_type_wrapperISA_SB_N2at6native12_GLOBAL__N_19CustomMaxEEEEE10hipError_tPvRmT0_T1_jT2_SS_T4_T3_P12ihipStream_tbEUlT_E_NS1_11comp_targetILNS1_3genE9ELNS1_11target_archE1100ELNS1_3gpuE3ELNS1_3repE0EEENS1_30default_config_static_selectorELNS0_4arch9wavefront6targetE0EEEvSR_,"axG",@progbits,_ZN7rocprim17ROCPRIM_400000_NS6detail17trampoline_kernelINS0_14default_configENS1_32segmented_reduce_config_selectorIN3c104HalfEEEZNS1_21segmented_reduce_implIS3_PKS6_PS6_PKiS6_N6hipcub16HIPCUB_304000_NS6detail27convert_result_type_wrapperISA_SB_N2at6native12_GLOBAL__N_19CustomMaxEEEEE10hipError_tPvRmT0_T1_jT2_SS_T4_T3_P12ihipStream_tbEUlT_E_NS1_11comp_targetILNS1_3genE9ELNS1_11target_archE1100ELNS1_3gpuE3ELNS1_3repE0EEENS1_30default_config_static_selectorELNS0_4arch9wavefront6targetE0EEEvSR_,comdat
	.globl	_ZN7rocprim17ROCPRIM_400000_NS6detail17trampoline_kernelINS0_14default_configENS1_32segmented_reduce_config_selectorIN3c104HalfEEEZNS1_21segmented_reduce_implIS3_PKS6_PS6_PKiS6_N6hipcub16HIPCUB_304000_NS6detail27convert_result_type_wrapperISA_SB_N2at6native12_GLOBAL__N_19CustomMaxEEEEE10hipError_tPvRmT0_T1_jT2_SS_T4_T3_P12ihipStream_tbEUlT_E_NS1_11comp_targetILNS1_3genE9ELNS1_11target_archE1100ELNS1_3gpuE3ELNS1_3repE0EEENS1_30default_config_static_selectorELNS0_4arch9wavefront6targetE0EEEvSR_ ; -- Begin function _ZN7rocprim17ROCPRIM_400000_NS6detail17trampoline_kernelINS0_14default_configENS1_32segmented_reduce_config_selectorIN3c104HalfEEEZNS1_21segmented_reduce_implIS3_PKS6_PS6_PKiS6_N6hipcub16HIPCUB_304000_NS6detail27convert_result_type_wrapperISA_SB_N2at6native12_GLOBAL__N_19CustomMaxEEEEE10hipError_tPvRmT0_T1_jT2_SS_T4_T3_P12ihipStream_tbEUlT_E_NS1_11comp_targetILNS1_3genE9ELNS1_11target_archE1100ELNS1_3gpuE3ELNS1_3repE0EEENS1_30default_config_static_selectorELNS0_4arch9wavefront6targetE0EEEvSR_
	.p2align	8
	.type	_ZN7rocprim17ROCPRIM_400000_NS6detail17trampoline_kernelINS0_14default_configENS1_32segmented_reduce_config_selectorIN3c104HalfEEEZNS1_21segmented_reduce_implIS3_PKS6_PS6_PKiS6_N6hipcub16HIPCUB_304000_NS6detail27convert_result_type_wrapperISA_SB_N2at6native12_GLOBAL__N_19CustomMaxEEEEE10hipError_tPvRmT0_T1_jT2_SS_T4_T3_P12ihipStream_tbEUlT_E_NS1_11comp_targetILNS1_3genE9ELNS1_11target_archE1100ELNS1_3gpuE3ELNS1_3repE0EEENS1_30default_config_static_selectorELNS0_4arch9wavefront6targetE0EEEvSR_,@function
_ZN7rocprim17ROCPRIM_400000_NS6detail17trampoline_kernelINS0_14default_configENS1_32segmented_reduce_config_selectorIN3c104HalfEEEZNS1_21segmented_reduce_implIS3_PKS6_PS6_PKiS6_N6hipcub16HIPCUB_304000_NS6detail27convert_result_type_wrapperISA_SB_N2at6native12_GLOBAL__N_19CustomMaxEEEEE10hipError_tPvRmT0_T1_jT2_SS_T4_T3_P12ihipStream_tbEUlT_E_NS1_11comp_targetILNS1_3genE9ELNS1_11target_archE1100ELNS1_3gpuE3ELNS1_3repE0EEENS1_30default_config_static_selectorELNS0_4arch9wavefront6targetE0EEEvSR_: ; @_ZN7rocprim17ROCPRIM_400000_NS6detail17trampoline_kernelINS0_14default_configENS1_32segmented_reduce_config_selectorIN3c104HalfEEEZNS1_21segmented_reduce_implIS3_PKS6_PS6_PKiS6_N6hipcub16HIPCUB_304000_NS6detail27convert_result_type_wrapperISA_SB_N2at6native12_GLOBAL__N_19CustomMaxEEEEE10hipError_tPvRmT0_T1_jT2_SS_T4_T3_P12ihipStream_tbEUlT_E_NS1_11comp_targetILNS1_3genE9ELNS1_11target_archE1100ELNS1_3gpuE3ELNS1_3repE0EEENS1_30default_config_static_selectorELNS0_4arch9wavefront6targetE0EEEvSR_
; %bb.0:
	.section	.rodata,"a",@progbits
	.p2align	6, 0x0
	.amdhsa_kernel _ZN7rocprim17ROCPRIM_400000_NS6detail17trampoline_kernelINS0_14default_configENS1_32segmented_reduce_config_selectorIN3c104HalfEEEZNS1_21segmented_reduce_implIS3_PKS6_PS6_PKiS6_N6hipcub16HIPCUB_304000_NS6detail27convert_result_type_wrapperISA_SB_N2at6native12_GLOBAL__N_19CustomMaxEEEEE10hipError_tPvRmT0_T1_jT2_SS_T4_T3_P12ihipStream_tbEUlT_E_NS1_11comp_targetILNS1_3genE9ELNS1_11target_archE1100ELNS1_3gpuE3ELNS1_3repE0EEENS1_30default_config_static_selectorELNS0_4arch9wavefront6targetE0EEEvSR_
		.amdhsa_group_segment_fixed_size 0
		.amdhsa_private_segment_fixed_size 0
		.amdhsa_kernarg_size 48
		.amdhsa_user_sgpr_count 6
		.amdhsa_user_sgpr_private_segment_buffer 1
		.amdhsa_user_sgpr_dispatch_ptr 0
		.amdhsa_user_sgpr_queue_ptr 0
		.amdhsa_user_sgpr_kernarg_segment_ptr 1
		.amdhsa_user_sgpr_dispatch_id 0
		.amdhsa_user_sgpr_flat_scratch_init 0
		.amdhsa_user_sgpr_private_segment_size 0
		.amdhsa_wavefront_size32 1
		.amdhsa_uses_dynamic_stack 0
		.amdhsa_system_sgpr_private_segment_wavefront_offset 0
		.amdhsa_system_sgpr_workgroup_id_x 1
		.amdhsa_system_sgpr_workgroup_id_y 0
		.amdhsa_system_sgpr_workgroup_id_z 0
		.amdhsa_system_sgpr_workgroup_info 0
		.amdhsa_system_vgpr_workitem_id 0
		.amdhsa_next_free_vgpr 1
		.amdhsa_next_free_sgpr 1
		.amdhsa_reserve_vcc 0
		.amdhsa_reserve_flat_scratch 0
		.amdhsa_float_round_mode_32 0
		.amdhsa_float_round_mode_16_64 0
		.amdhsa_float_denorm_mode_32 3
		.amdhsa_float_denorm_mode_16_64 3
		.amdhsa_dx10_clamp 1
		.amdhsa_ieee_mode 1
		.amdhsa_fp16_overflow 0
		.amdhsa_workgroup_processor_mode 1
		.amdhsa_memory_ordered 1
		.amdhsa_forward_progress 1
		.amdhsa_shared_vgpr_count 0
		.amdhsa_exception_fp_ieee_invalid_op 0
		.amdhsa_exception_fp_denorm_src 0
		.amdhsa_exception_fp_ieee_div_zero 0
		.amdhsa_exception_fp_ieee_overflow 0
		.amdhsa_exception_fp_ieee_underflow 0
		.amdhsa_exception_fp_ieee_inexact 0
		.amdhsa_exception_int_div_zero 0
	.end_amdhsa_kernel
	.section	.text._ZN7rocprim17ROCPRIM_400000_NS6detail17trampoline_kernelINS0_14default_configENS1_32segmented_reduce_config_selectorIN3c104HalfEEEZNS1_21segmented_reduce_implIS3_PKS6_PS6_PKiS6_N6hipcub16HIPCUB_304000_NS6detail27convert_result_type_wrapperISA_SB_N2at6native12_GLOBAL__N_19CustomMaxEEEEE10hipError_tPvRmT0_T1_jT2_SS_T4_T3_P12ihipStream_tbEUlT_E_NS1_11comp_targetILNS1_3genE9ELNS1_11target_archE1100ELNS1_3gpuE3ELNS1_3repE0EEENS1_30default_config_static_selectorELNS0_4arch9wavefront6targetE0EEEvSR_,"axG",@progbits,_ZN7rocprim17ROCPRIM_400000_NS6detail17trampoline_kernelINS0_14default_configENS1_32segmented_reduce_config_selectorIN3c104HalfEEEZNS1_21segmented_reduce_implIS3_PKS6_PS6_PKiS6_N6hipcub16HIPCUB_304000_NS6detail27convert_result_type_wrapperISA_SB_N2at6native12_GLOBAL__N_19CustomMaxEEEEE10hipError_tPvRmT0_T1_jT2_SS_T4_T3_P12ihipStream_tbEUlT_E_NS1_11comp_targetILNS1_3genE9ELNS1_11target_archE1100ELNS1_3gpuE3ELNS1_3repE0EEENS1_30default_config_static_selectorELNS0_4arch9wavefront6targetE0EEEvSR_,comdat
.Lfunc_end83:
	.size	_ZN7rocprim17ROCPRIM_400000_NS6detail17trampoline_kernelINS0_14default_configENS1_32segmented_reduce_config_selectorIN3c104HalfEEEZNS1_21segmented_reduce_implIS3_PKS6_PS6_PKiS6_N6hipcub16HIPCUB_304000_NS6detail27convert_result_type_wrapperISA_SB_N2at6native12_GLOBAL__N_19CustomMaxEEEEE10hipError_tPvRmT0_T1_jT2_SS_T4_T3_P12ihipStream_tbEUlT_E_NS1_11comp_targetILNS1_3genE9ELNS1_11target_archE1100ELNS1_3gpuE3ELNS1_3repE0EEENS1_30default_config_static_selectorELNS0_4arch9wavefront6targetE0EEEvSR_, .Lfunc_end83-_ZN7rocprim17ROCPRIM_400000_NS6detail17trampoline_kernelINS0_14default_configENS1_32segmented_reduce_config_selectorIN3c104HalfEEEZNS1_21segmented_reduce_implIS3_PKS6_PS6_PKiS6_N6hipcub16HIPCUB_304000_NS6detail27convert_result_type_wrapperISA_SB_N2at6native12_GLOBAL__N_19CustomMaxEEEEE10hipError_tPvRmT0_T1_jT2_SS_T4_T3_P12ihipStream_tbEUlT_E_NS1_11comp_targetILNS1_3genE9ELNS1_11target_archE1100ELNS1_3gpuE3ELNS1_3repE0EEENS1_30default_config_static_selectorELNS0_4arch9wavefront6targetE0EEEvSR_
                                        ; -- End function
	.set _ZN7rocprim17ROCPRIM_400000_NS6detail17trampoline_kernelINS0_14default_configENS1_32segmented_reduce_config_selectorIN3c104HalfEEEZNS1_21segmented_reduce_implIS3_PKS6_PS6_PKiS6_N6hipcub16HIPCUB_304000_NS6detail27convert_result_type_wrapperISA_SB_N2at6native12_GLOBAL__N_19CustomMaxEEEEE10hipError_tPvRmT0_T1_jT2_SS_T4_T3_P12ihipStream_tbEUlT_E_NS1_11comp_targetILNS1_3genE9ELNS1_11target_archE1100ELNS1_3gpuE3ELNS1_3repE0EEENS1_30default_config_static_selectorELNS0_4arch9wavefront6targetE0EEEvSR_.num_vgpr, 0
	.set _ZN7rocprim17ROCPRIM_400000_NS6detail17trampoline_kernelINS0_14default_configENS1_32segmented_reduce_config_selectorIN3c104HalfEEEZNS1_21segmented_reduce_implIS3_PKS6_PS6_PKiS6_N6hipcub16HIPCUB_304000_NS6detail27convert_result_type_wrapperISA_SB_N2at6native12_GLOBAL__N_19CustomMaxEEEEE10hipError_tPvRmT0_T1_jT2_SS_T4_T3_P12ihipStream_tbEUlT_E_NS1_11comp_targetILNS1_3genE9ELNS1_11target_archE1100ELNS1_3gpuE3ELNS1_3repE0EEENS1_30default_config_static_selectorELNS0_4arch9wavefront6targetE0EEEvSR_.num_agpr, 0
	.set _ZN7rocprim17ROCPRIM_400000_NS6detail17trampoline_kernelINS0_14default_configENS1_32segmented_reduce_config_selectorIN3c104HalfEEEZNS1_21segmented_reduce_implIS3_PKS6_PS6_PKiS6_N6hipcub16HIPCUB_304000_NS6detail27convert_result_type_wrapperISA_SB_N2at6native12_GLOBAL__N_19CustomMaxEEEEE10hipError_tPvRmT0_T1_jT2_SS_T4_T3_P12ihipStream_tbEUlT_E_NS1_11comp_targetILNS1_3genE9ELNS1_11target_archE1100ELNS1_3gpuE3ELNS1_3repE0EEENS1_30default_config_static_selectorELNS0_4arch9wavefront6targetE0EEEvSR_.numbered_sgpr, 0
	.set _ZN7rocprim17ROCPRIM_400000_NS6detail17trampoline_kernelINS0_14default_configENS1_32segmented_reduce_config_selectorIN3c104HalfEEEZNS1_21segmented_reduce_implIS3_PKS6_PS6_PKiS6_N6hipcub16HIPCUB_304000_NS6detail27convert_result_type_wrapperISA_SB_N2at6native12_GLOBAL__N_19CustomMaxEEEEE10hipError_tPvRmT0_T1_jT2_SS_T4_T3_P12ihipStream_tbEUlT_E_NS1_11comp_targetILNS1_3genE9ELNS1_11target_archE1100ELNS1_3gpuE3ELNS1_3repE0EEENS1_30default_config_static_selectorELNS0_4arch9wavefront6targetE0EEEvSR_.num_named_barrier, 0
	.set _ZN7rocprim17ROCPRIM_400000_NS6detail17trampoline_kernelINS0_14default_configENS1_32segmented_reduce_config_selectorIN3c104HalfEEEZNS1_21segmented_reduce_implIS3_PKS6_PS6_PKiS6_N6hipcub16HIPCUB_304000_NS6detail27convert_result_type_wrapperISA_SB_N2at6native12_GLOBAL__N_19CustomMaxEEEEE10hipError_tPvRmT0_T1_jT2_SS_T4_T3_P12ihipStream_tbEUlT_E_NS1_11comp_targetILNS1_3genE9ELNS1_11target_archE1100ELNS1_3gpuE3ELNS1_3repE0EEENS1_30default_config_static_selectorELNS0_4arch9wavefront6targetE0EEEvSR_.private_seg_size, 0
	.set _ZN7rocprim17ROCPRIM_400000_NS6detail17trampoline_kernelINS0_14default_configENS1_32segmented_reduce_config_selectorIN3c104HalfEEEZNS1_21segmented_reduce_implIS3_PKS6_PS6_PKiS6_N6hipcub16HIPCUB_304000_NS6detail27convert_result_type_wrapperISA_SB_N2at6native12_GLOBAL__N_19CustomMaxEEEEE10hipError_tPvRmT0_T1_jT2_SS_T4_T3_P12ihipStream_tbEUlT_E_NS1_11comp_targetILNS1_3genE9ELNS1_11target_archE1100ELNS1_3gpuE3ELNS1_3repE0EEENS1_30default_config_static_selectorELNS0_4arch9wavefront6targetE0EEEvSR_.uses_vcc, 0
	.set _ZN7rocprim17ROCPRIM_400000_NS6detail17trampoline_kernelINS0_14default_configENS1_32segmented_reduce_config_selectorIN3c104HalfEEEZNS1_21segmented_reduce_implIS3_PKS6_PS6_PKiS6_N6hipcub16HIPCUB_304000_NS6detail27convert_result_type_wrapperISA_SB_N2at6native12_GLOBAL__N_19CustomMaxEEEEE10hipError_tPvRmT0_T1_jT2_SS_T4_T3_P12ihipStream_tbEUlT_E_NS1_11comp_targetILNS1_3genE9ELNS1_11target_archE1100ELNS1_3gpuE3ELNS1_3repE0EEENS1_30default_config_static_selectorELNS0_4arch9wavefront6targetE0EEEvSR_.uses_flat_scratch, 0
	.set _ZN7rocprim17ROCPRIM_400000_NS6detail17trampoline_kernelINS0_14default_configENS1_32segmented_reduce_config_selectorIN3c104HalfEEEZNS1_21segmented_reduce_implIS3_PKS6_PS6_PKiS6_N6hipcub16HIPCUB_304000_NS6detail27convert_result_type_wrapperISA_SB_N2at6native12_GLOBAL__N_19CustomMaxEEEEE10hipError_tPvRmT0_T1_jT2_SS_T4_T3_P12ihipStream_tbEUlT_E_NS1_11comp_targetILNS1_3genE9ELNS1_11target_archE1100ELNS1_3gpuE3ELNS1_3repE0EEENS1_30default_config_static_selectorELNS0_4arch9wavefront6targetE0EEEvSR_.has_dyn_sized_stack, 0
	.set _ZN7rocprim17ROCPRIM_400000_NS6detail17trampoline_kernelINS0_14default_configENS1_32segmented_reduce_config_selectorIN3c104HalfEEEZNS1_21segmented_reduce_implIS3_PKS6_PS6_PKiS6_N6hipcub16HIPCUB_304000_NS6detail27convert_result_type_wrapperISA_SB_N2at6native12_GLOBAL__N_19CustomMaxEEEEE10hipError_tPvRmT0_T1_jT2_SS_T4_T3_P12ihipStream_tbEUlT_E_NS1_11comp_targetILNS1_3genE9ELNS1_11target_archE1100ELNS1_3gpuE3ELNS1_3repE0EEENS1_30default_config_static_selectorELNS0_4arch9wavefront6targetE0EEEvSR_.has_recursion, 0
	.set _ZN7rocprim17ROCPRIM_400000_NS6detail17trampoline_kernelINS0_14default_configENS1_32segmented_reduce_config_selectorIN3c104HalfEEEZNS1_21segmented_reduce_implIS3_PKS6_PS6_PKiS6_N6hipcub16HIPCUB_304000_NS6detail27convert_result_type_wrapperISA_SB_N2at6native12_GLOBAL__N_19CustomMaxEEEEE10hipError_tPvRmT0_T1_jT2_SS_T4_T3_P12ihipStream_tbEUlT_E_NS1_11comp_targetILNS1_3genE9ELNS1_11target_archE1100ELNS1_3gpuE3ELNS1_3repE0EEENS1_30default_config_static_selectorELNS0_4arch9wavefront6targetE0EEEvSR_.has_indirect_call, 0
	.section	.AMDGPU.csdata,"",@progbits
; Kernel info:
; codeLenInByte = 0
; TotalNumSgprs: 0
; NumVgprs: 0
; ScratchSize: 0
; MemoryBound: 0
; FloatMode: 240
; IeeeMode: 1
; LDSByteSize: 0 bytes/workgroup (compile time only)
; SGPRBlocks: 0
; VGPRBlocks: 0
; NumSGPRsForWavesPerEU: 1
; NumVGPRsForWavesPerEU: 1
; Occupancy: 16
; WaveLimiterHint : 0
; COMPUTE_PGM_RSRC2:SCRATCH_EN: 0
; COMPUTE_PGM_RSRC2:USER_SGPR: 6
; COMPUTE_PGM_RSRC2:TRAP_HANDLER: 0
; COMPUTE_PGM_RSRC2:TGID_X_EN: 1
; COMPUTE_PGM_RSRC2:TGID_Y_EN: 0
; COMPUTE_PGM_RSRC2:TGID_Z_EN: 0
; COMPUTE_PGM_RSRC2:TIDIG_COMP_CNT: 0
	.section	.text._ZN7rocprim17ROCPRIM_400000_NS6detail17trampoline_kernelINS0_14default_configENS1_32segmented_reduce_config_selectorIN3c104HalfEEEZNS1_21segmented_reduce_implIS3_PKS6_PS6_PKiS6_N6hipcub16HIPCUB_304000_NS6detail27convert_result_type_wrapperISA_SB_N2at6native12_GLOBAL__N_19CustomMaxEEEEE10hipError_tPvRmT0_T1_jT2_SS_T4_T3_P12ihipStream_tbEUlT_E_NS1_11comp_targetILNS1_3genE8ELNS1_11target_archE1030ELNS1_3gpuE2ELNS1_3repE0EEENS1_30default_config_static_selectorELNS0_4arch9wavefront6targetE0EEEvSR_,"axG",@progbits,_ZN7rocprim17ROCPRIM_400000_NS6detail17trampoline_kernelINS0_14default_configENS1_32segmented_reduce_config_selectorIN3c104HalfEEEZNS1_21segmented_reduce_implIS3_PKS6_PS6_PKiS6_N6hipcub16HIPCUB_304000_NS6detail27convert_result_type_wrapperISA_SB_N2at6native12_GLOBAL__N_19CustomMaxEEEEE10hipError_tPvRmT0_T1_jT2_SS_T4_T3_P12ihipStream_tbEUlT_E_NS1_11comp_targetILNS1_3genE8ELNS1_11target_archE1030ELNS1_3gpuE2ELNS1_3repE0EEENS1_30default_config_static_selectorELNS0_4arch9wavefront6targetE0EEEvSR_,comdat
	.globl	_ZN7rocprim17ROCPRIM_400000_NS6detail17trampoline_kernelINS0_14default_configENS1_32segmented_reduce_config_selectorIN3c104HalfEEEZNS1_21segmented_reduce_implIS3_PKS6_PS6_PKiS6_N6hipcub16HIPCUB_304000_NS6detail27convert_result_type_wrapperISA_SB_N2at6native12_GLOBAL__N_19CustomMaxEEEEE10hipError_tPvRmT0_T1_jT2_SS_T4_T3_P12ihipStream_tbEUlT_E_NS1_11comp_targetILNS1_3genE8ELNS1_11target_archE1030ELNS1_3gpuE2ELNS1_3repE0EEENS1_30default_config_static_selectorELNS0_4arch9wavefront6targetE0EEEvSR_ ; -- Begin function _ZN7rocprim17ROCPRIM_400000_NS6detail17trampoline_kernelINS0_14default_configENS1_32segmented_reduce_config_selectorIN3c104HalfEEEZNS1_21segmented_reduce_implIS3_PKS6_PS6_PKiS6_N6hipcub16HIPCUB_304000_NS6detail27convert_result_type_wrapperISA_SB_N2at6native12_GLOBAL__N_19CustomMaxEEEEE10hipError_tPvRmT0_T1_jT2_SS_T4_T3_P12ihipStream_tbEUlT_E_NS1_11comp_targetILNS1_3genE8ELNS1_11target_archE1030ELNS1_3gpuE2ELNS1_3repE0EEENS1_30default_config_static_selectorELNS0_4arch9wavefront6targetE0EEEvSR_
	.p2align	8
	.type	_ZN7rocprim17ROCPRIM_400000_NS6detail17trampoline_kernelINS0_14default_configENS1_32segmented_reduce_config_selectorIN3c104HalfEEEZNS1_21segmented_reduce_implIS3_PKS6_PS6_PKiS6_N6hipcub16HIPCUB_304000_NS6detail27convert_result_type_wrapperISA_SB_N2at6native12_GLOBAL__N_19CustomMaxEEEEE10hipError_tPvRmT0_T1_jT2_SS_T4_T3_P12ihipStream_tbEUlT_E_NS1_11comp_targetILNS1_3genE8ELNS1_11target_archE1030ELNS1_3gpuE2ELNS1_3repE0EEENS1_30default_config_static_selectorELNS0_4arch9wavefront6targetE0EEEvSR_,@function
_ZN7rocprim17ROCPRIM_400000_NS6detail17trampoline_kernelINS0_14default_configENS1_32segmented_reduce_config_selectorIN3c104HalfEEEZNS1_21segmented_reduce_implIS3_PKS6_PS6_PKiS6_N6hipcub16HIPCUB_304000_NS6detail27convert_result_type_wrapperISA_SB_N2at6native12_GLOBAL__N_19CustomMaxEEEEE10hipError_tPvRmT0_T1_jT2_SS_T4_T3_P12ihipStream_tbEUlT_E_NS1_11comp_targetILNS1_3genE8ELNS1_11target_archE1030ELNS1_3gpuE2ELNS1_3repE0EEENS1_30default_config_static_selectorELNS0_4arch9wavefront6targetE0EEEvSR_: ; @_ZN7rocprim17ROCPRIM_400000_NS6detail17trampoline_kernelINS0_14default_configENS1_32segmented_reduce_config_selectorIN3c104HalfEEEZNS1_21segmented_reduce_implIS3_PKS6_PS6_PKiS6_N6hipcub16HIPCUB_304000_NS6detail27convert_result_type_wrapperISA_SB_N2at6native12_GLOBAL__N_19CustomMaxEEEEE10hipError_tPvRmT0_T1_jT2_SS_T4_T3_P12ihipStream_tbEUlT_E_NS1_11comp_targetILNS1_3genE8ELNS1_11target_archE1030ELNS1_3gpuE2ELNS1_3repE0EEENS1_30default_config_static_selectorELNS0_4arch9wavefront6targetE0EEEvSR_
; %bb.0:
	s_clause 0x2
	s_load_dwordx8 s[12:19], s[4:5], 0x0
	s_load_dword s8, s[4:5], 0x28
	s_load_dwordx2 s[0:1], s[4:5], 0x20
	s_mov_b32 s7, 0
	v_cmp_eq_u32_e32 vcc_lo, 0, v0
	s_mov_b32 s20, s7
	s_waitcnt lgkmcnt(0)
	s_lshl_b64 s[2:3], s[16:17], 2
	s_lshr_b32 s9, s8, 16
	s_add_u32 s4, s18, s2
	s_addc_u32 s5, s19, s3
	s_add_u32 s8, s0, s2
	s_addc_u32 s10, s1, s3
	s_lshl_b64 s[0:1], s[6:7], 2
	s_add_u32 s2, s4, s0
	s_addc_u32 s3, s5, s1
	s_add_u32 s0, s8, s0
	s_addc_u32 s1, s10, s1
	s_load_dword s10, s[2:3], 0x0
	s_load_dword s21, s[0:1], 0x0
	s_mov_b32 s0, -1
	s_waitcnt lgkmcnt(0)
	s_cmp_gt_i32 s21, s10
	s_cbranch_scc1 .LBB84_2
; %bb.1:
	s_mov_b32 s0, 0
	s_and_b32 s20, vcc_lo, exec_lo
.LBB84_2:
	s_andn2_b32 vcc_lo, exec_lo, s0
	s_cbranch_vccnz .LBB84_67
; %bb.3:
	s_add_i32 s0, s10, 0x800
	s_cmp_le_i32 s0, s21
	s_cbranch_scc0 .LBB84_68
; %bb.4:
	s_ashr_i32 s11, s10, 31
	v_lshlrev_b32_e32 v10, 1, v0
	s_lshl_b64 s[2:3], s[10:11], 1
	s_add_u32 s2, s12, s2
	s_addc_u32 s3, s13, s3
	v_add_co_u32 v1, s1, s2, v10
	v_add_co_ci_u32_e64 v2, null, s3, 0, s1
	s_mov_b32 s1, exec_lo
	v_add_co_u32 v11, vcc_lo, 0x800, v1
	v_add_co_ci_u32_e64 v12, null, 0, v2, vcc_lo
	s_clause 0x7
	global_load_ushort v9, v10, s[2:3]
	global_load_ushort v8, v10, s[2:3] offset:512
	global_load_ushort v7, v10, s[2:3] offset:1024
	;; [unrolled: 1-line block ×3, first 2 shown]
	global_load_ushort v5, v[11:12], off
	global_load_ushort v3, v[11:12], off offset:512
	global_load_ushort v2, v[11:12], off offset:1024
	;; [unrolled: 1-line block ×3, first 2 shown]
	s_waitcnt vmcnt(7)
	v_mov_b32_e32 v4, v9
	v_cmpx_o_f16_e32 v9, v9
	s_cbranch_execz .LBB84_8
; %bb.5:
	s_waitcnt vmcnt(6)
	v_mov_b32_e32 v4, v8
	s_mov_b32 s2, exec_lo
	v_cmpx_o_f16_e32 v8, v8
; %bb.6:
	v_cmp_gt_f16_e32 vcc_lo, v8, v9
	v_cndmask_b32_e32 v4, v9, v8, vcc_lo
; %bb.7:
	s_or_b32 exec_lo, exec_lo, s2
.LBB84_8:
	s_or_b32 exec_lo, exec_lo, s1
	s_mov_b32 s1, exec_lo
	v_cmpx_o_f16_e32 v4, v4
	s_cbranch_execz .LBB84_12
; %bb.9:
	s_waitcnt vmcnt(5)
	v_mov_b32_e32 v11, v7
	s_mov_b32 s2, exec_lo
	v_cmpx_o_f16_e32 v7, v7
; %bb.10:
	v_cmp_lt_f16_e32 vcc_lo, v4, v7
	v_cndmask_b32_e32 v11, v4, v7, vcc_lo
; %bb.11:
	s_or_b32 exec_lo, exec_lo, s2
	v_mov_b32_e32 v4, v11
.LBB84_12:
	s_or_b32 exec_lo, exec_lo, s1
	s_mov_b32 s1, exec_lo
	v_cmpx_o_f16_e32 v4, v4
	s_cbranch_execz .LBB84_16
; %bb.13:
	s_waitcnt vmcnt(4)
	v_mov_b32_e32 v11, v6
	s_mov_b32 s2, exec_lo
	v_cmpx_o_f16_e32 v6, v6
; %bb.14:
	v_cmp_lt_f16_e32 vcc_lo, v4, v6
	v_cndmask_b32_e32 v11, v4, v6, vcc_lo
; %bb.15:
	s_or_b32 exec_lo, exec_lo, s2
	v_mov_b32_e32 v4, v11
.LBB84_16:
	s_or_b32 exec_lo, exec_lo, s1
	s_mov_b32 s1, exec_lo
	v_cmpx_o_f16_e32 v4, v4
	s_cbranch_execz .LBB84_20
; %bb.17:
	s_waitcnt vmcnt(3)
	v_mov_b32_e32 v11, v5
	s_mov_b32 s2, exec_lo
	v_cmpx_o_f16_e32 v5, v5
; %bb.18:
	v_cmp_lt_f16_e32 vcc_lo, v4, v5
	v_cndmask_b32_e32 v11, v4, v5, vcc_lo
; %bb.19:
	s_or_b32 exec_lo, exec_lo, s2
	v_mov_b32_e32 v4, v11
.LBB84_20:
	s_or_b32 exec_lo, exec_lo, s1
	s_mov_b32 s1, exec_lo
	v_cmpx_o_f16_e32 v4, v4
	s_cbranch_execz .LBB84_24
; %bb.21:
	s_waitcnt vmcnt(2)
	v_mov_b32_e32 v11, v3
	s_mov_b32 s2, exec_lo
	v_cmpx_o_f16_e32 v3, v3
; %bb.22:
	v_cmp_lt_f16_e32 vcc_lo, v4, v3
	v_cndmask_b32_e32 v11, v4, v3, vcc_lo
; %bb.23:
	s_or_b32 exec_lo, exec_lo, s2
	v_mov_b32_e32 v4, v11
.LBB84_24:
	s_or_b32 exec_lo, exec_lo, s1
	s_mov_b32 s1, exec_lo
	v_cmpx_o_f16_e32 v4, v4
	s_cbranch_execz .LBB84_28
; %bb.25:
	s_waitcnt vmcnt(1)
	v_mov_b32_e32 v11, v2
	s_mov_b32 s2, exec_lo
	v_cmpx_o_f16_e32 v2, v2
; %bb.26:
	v_cmp_lt_f16_e32 vcc_lo, v4, v2
	v_cndmask_b32_e32 v11, v4, v2, vcc_lo
; %bb.27:
	s_or_b32 exec_lo, exec_lo, s2
	v_mov_b32_e32 v4, v11
.LBB84_28:
	s_or_b32 exec_lo, exec_lo, s1
	s_mov_b32 s1, exec_lo
	v_cmpx_o_f16_e32 v4, v4
	s_cbranch_execz .LBB84_32
; %bb.29:
	s_waitcnt vmcnt(0)
	v_mov_b32_e32 v11, v1
	s_mov_b32 s2, exec_lo
	v_cmpx_o_f16_e32 v1, v1
; %bb.30:
	v_cmp_lt_f16_e32 vcc_lo, v4, v1
	v_cndmask_b32_e32 v11, v4, v1, vcc_lo
; %bb.31:
	s_or_b32 exec_lo, exec_lo, s2
	v_mov_b32_e32 v4, v11
.LBB84_32:
	s_or_b32 exec_lo, exec_lo, s1
	s_add_i32 s1, s10, 0x1000
	s_cmp_ge_i32 s1, s21
	s_cbranch_scc1 .LBB84_69
; %bb.33:
	v_add_co_u32 v11, s1, s12, v10
	v_add_co_ci_u32_e64 v12, null, s13, 0, s1
	s_branch .LBB84_36
.LBB84_34:                              ;   in Loop: Header=BB84_36 Depth=1
	s_or_b32 exec_lo, exec_lo, s2
	v_mov_b32_e32 v4, v14
.LBB84_35:                              ;   in Loop: Header=BB84_36 Depth=1
	s_or_b32 exec_lo, exec_lo, s1
	s_add_i32 s1, s0, 0x1000
	s_addk_i32 s0, 0x800
	s_cmp_lt_i32 s1, s21
	s_cbranch_scc0 .LBB84_69
.LBB84_36:                              ; =>This Inner Loop Header: Depth=1
	s_ashr_i32 s1, s0, 31
	s_lshl_b64 s[2:3], s[0:1], 1
	s_mov_b32 s1, exec_lo
	s_waitcnt vmcnt(0)
	v_add_co_u32 v1, vcc_lo, v11, s2
	v_add_co_ci_u32_e64 v2, null, s3, v12, vcc_lo
	v_add_co_u32 v13, vcc_lo, 0x800, v1
	v_add_co_ci_u32_e64 v14, null, 0, v2, vcc_lo
	s_clause 0x7
	global_load_ushort v9, v[1:2], off
	global_load_ushort v8, v[1:2], off offset:512
	global_load_ushort v7, v[1:2], off offset:1024
	;; [unrolled: 1-line block ×3, first 2 shown]
	global_load_ushort v5, v[13:14], off
	global_load_ushort v3, v[13:14], off offset:512
	global_load_ushort v2, v[13:14], off offset:1024
	;; [unrolled: 1-line block ×3, first 2 shown]
	v_mov_b32_e32 v13, v4
	v_cmpx_o_f16_e32 v4, v4
	s_cbranch_execz .LBB84_40
; %bb.37:                               ;   in Loop: Header=BB84_36 Depth=1
	s_waitcnt vmcnt(7)
	v_mov_b32_e32 v13, v9
	s_mov_b32 s2, exec_lo
	v_cmpx_o_f16_e32 v9, v9
; %bb.38:                               ;   in Loop: Header=BB84_36 Depth=1
	v_cmp_gt_f16_e32 vcc_lo, v9, v4
	v_cndmask_b32_e32 v13, v4, v9, vcc_lo
; %bb.39:                               ;   in Loop: Header=BB84_36 Depth=1
	s_or_b32 exec_lo, exec_lo, s2
	v_mov_b32_e32 v4, v13
.LBB84_40:                              ;   in Loop: Header=BB84_36 Depth=1
	s_or_b32 exec_lo, exec_lo, s1
	s_mov_b32 s1, exec_lo
	v_cmpx_o_f16_e32 v13, v13
	s_cbranch_execz .LBB84_44
; %bb.41:                               ;   in Loop: Header=BB84_36 Depth=1
	s_waitcnt vmcnt(6)
	v_mov_b32_e32 v14, v8
	s_mov_b32 s2, exec_lo
	v_cmpx_o_f16_e32 v8, v8
; %bb.42:                               ;   in Loop: Header=BB84_36 Depth=1
	v_cmp_lt_f16_e32 vcc_lo, v13, v8
	v_cndmask_b32_e32 v14, v4, v8, vcc_lo
; %bb.43:                               ;   in Loop: Header=BB84_36 Depth=1
	s_or_b32 exec_lo, exec_lo, s2
	v_mov_b32_e32 v13, v14
	v_mov_b32_e32 v4, v14
.LBB84_44:                              ;   in Loop: Header=BB84_36 Depth=1
	s_or_b32 exec_lo, exec_lo, s1
	s_mov_b32 s1, exec_lo
	v_cmpx_o_f16_e32 v13, v13
	s_cbranch_execz .LBB84_48
; %bb.45:                               ;   in Loop: Header=BB84_36 Depth=1
	s_waitcnt vmcnt(5)
	v_mov_b32_e32 v14, v7
	s_mov_b32 s2, exec_lo
	v_cmpx_o_f16_e32 v7, v7
; %bb.46:                               ;   in Loop: Header=BB84_36 Depth=1
	v_cmp_lt_f16_e32 vcc_lo, v13, v7
	v_cndmask_b32_e32 v14, v4, v7, vcc_lo
; %bb.47:                               ;   in Loop: Header=BB84_36 Depth=1
	s_or_b32 exec_lo, exec_lo, s2
	v_mov_b32_e32 v13, v14
	v_mov_b32_e32 v4, v14
.LBB84_48:                              ;   in Loop: Header=BB84_36 Depth=1
	;; [unrolled: 17-line block ×6, first 2 shown]
	s_or_b32 exec_lo, exec_lo, s1
	s_mov_b32 s1, exec_lo
	v_cmpx_o_f16_e32 v13, v13
	s_cbranch_execz .LBB84_35
; %bb.65:                               ;   in Loop: Header=BB84_36 Depth=1
	s_waitcnt vmcnt(0)
	v_mov_b32_e32 v14, v1
	s_mov_b32 s2, exec_lo
	v_cmpx_o_f16_e32 v1, v1
	s_cbranch_execz .LBB84_34
; %bb.66:                               ;   in Loop: Header=BB84_36 Depth=1
	v_cmp_lt_f16_e32 vcc_lo, v13, v1
	v_cndmask_b32_e32 v14, v4, v1, vcc_lo
	s_branch .LBB84_34
.LBB84_67:
	v_mov_b32_e32 v1, s9
	s_and_saveexec_b32 s0, s20
	s_cbranch_execnz .LBB84_279
	s_branch .LBB84_280
.LBB84_68:
                                        ; implicit-def: $vgpr2
	s_cbranch_execnz .LBB84_170
	s_branch .LBB84_272
.LBB84_69:
	s_ashr_i32 s1, s0, 31
	s_sub_i32 s11, s21, s0
	s_lshl_b64 s[0:1], s[0:1], 1
	v_cmp_gt_u32_e64 s8, s11, v0
	s_add_u32 s18, s12, s0
	s_addc_u32 s19, s13, s1
	s_and_saveexec_b32 s0, s8
	s_cbranch_execz .LBB84_71
; %bb.70:
	global_load_ushort v9, v10, s[18:19]
.LBB84_71:
	s_or_b32 exec_lo, exec_lo, s0
	v_or_b32_e32 v11, 0x100, v0
	v_cmp_gt_u32_e64 s5, s11, v11
	s_and_saveexec_b32 s0, s5
	s_cbranch_execz .LBB84_73
; %bb.72:
	global_load_ushort v8, v10, s[18:19] offset:512
.LBB84_73:
	s_or_b32 exec_lo, exec_lo, s0
	v_or_b32_e32 v11, 0x200, v0
	v_cmp_gt_u32_e64 s4, s11, v11
	s_and_saveexec_b32 s0, s4
	s_cbranch_execz .LBB84_75
; %bb.74:
	global_load_ushort v7, v10, s[18:19] offset:1024
.LBB84_75:
	s_or_b32 exec_lo, exec_lo, s0
	v_or_b32_e32 v11, 0x300, v0
	v_cmp_gt_u32_e64 s3, s11, v11
	s_and_saveexec_b32 s0, s3
	s_cbranch_execz .LBB84_77
; %bb.76:
	global_load_ushort v6, v10, s[18:19] offset:1536
.LBB84_77:
	s_or_b32 exec_lo, exec_lo, s0
	v_or_b32_e32 v10, 0x400, v0
	v_cmp_gt_u32_e64 s2, s11, v10
	s_and_saveexec_b32 s0, s2
	s_cbranch_execz .LBB84_79
; %bb.78:
	s_waitcnt vmcnt(3)
	v_lshlrev_b32_e32 v5, 1, v10
	global_load_ushort v5, v5, s[18:19]
.LBB84_79:
	s_or_b32 exec_lo, exec_lo, s0
	v_or_b32_e32 v10, 0x500, v0
	v_cmp_gt_u32_e64 s1, s11, v10
	s_and_saveexec_b32 s0, s1
	s_cbranch_execz .LBB84_81
; %bb.80:
	s_waitcnt vmcnt(2)
	v_lshlrev_b32_e32 v3, 1, v10
	global_load_ushort v3, v3, s[18:19]
.LBB84_81:
	;; [unrolled: 10-line block ×3, first 2 shown]
	s_or_b32 exec_lo, exec_lo, s22
	v_or_b32_e32 v10, 0x700, v0
	v_cmp_gt_u32_e32 vcc_lo, s11, v10
	s_and_saveexec_b32 s11, vcc_lo
	s_cbranch_execnz .LBB84_92
; %bb.84:
	s_or_b32 exec_lo, exec_lo, s11
	s_and_saveexec_b32 s11, s8
	s_cbranch_execnz .LBB84_93
.LBB84_85:
	s_or_b32 exec_lo, exec_lo, s11
	s_and_saveexec_b32 s8, s5
	s_cbranch_execnz .LBB84_98
.LBB84_86:
	s_or_b32 exec_lo, exec_lo, s8
	s_and_saveexec_b32 s5, s4
	s_cbranch_execnz .LBB84_103
.LBB84_87:
	s_or_b32 exec_lo, exec_lo, s5
	s_and_saveexec_b32 s4, s3
	s_cbranch_execnz .LBB84_108
.LBB84_88:
	s_or_b32 exec_lo, exec_lo, s4
	s_and_saveexec_b32 s3, s2
	s_cbranch_execnz .LBB84_113
.LBB84_89:
	s_or_b32 exec_lo, exec_lo, s3
	s_and_saveexec_b32 s2, s1
	s_cbranch_execnz .LBB84_118
.LBB84_90:
	s_or_b32 exec_lo, exec_lo, s2
	s_and_saveexec_b32 s1, s0
	s_cbranch_execnz .LBB84_123
.LBB84_91:
	s_or_b32 exec_lo, exec_lo, s1
	s_and_saveexec_b32 s0, vcc_lo
	s_cbranch_execnz .LBB84_128
	s_branch .LBB84_133
.LBB84_92:
	s_waitcnt vmcnt(0)
	v_lshlrev_b32_e32 v1, 1, v10
	global_load_ushort v1, v1, s[18:19]
	s_or_b32 exec_lo, exec_lo, s11
	s_and_saveexec_b32 s11, s8
	s_cbranch_execz .LBB84_85
.LBB84_93:
	s_mov_b32 s18, exec_lo
	v_cmpx_o_f16_e32 v4, v4
	s_cbranch_execz .LBB84_97
; %bb.94:
	s_mov_b32 s19, exec_lo
	s_waitcnt vmcnt(0)
	v_cmpx_o_f16_e32 v9, v9
; %bb.95:
	v_cmp_gt_f16_e64 s8, v9, v4
	v_cndmask_b32_e64 v9, v4, v9, s8
; %bb.96:
	s_or_b32 exec_lo, exec_lo, s19
	v_mov_b32_e32 v4, v9
.LBB84_97:
	s_or_b32 exec_lo, exec_lo, s18
	s_or_b32 exec_lo, exec_lo, s11
	s_and_saveexec_b32 s8, s5
	s_cbranch_execz .LBB84_86
.LBB84_98:
	s_mov_b32 s11, exec_lo
	v_cmpx_o_f16_e32 v4, v4
	s_cbranch_execz .LBB84_102
; %bb.99:
	s_mov_b32 s18, exec_lo
	s_waitcnt vmcnt(0)
	v_cmpx_o_f16_e32 v8, v8
; %bb.100:
	v_cmp_gt_f16_e64 s5, v8, v4
	v_cndmask_b32_e64 v8, v4, v8, s5
; %bb.101:
	s_or_b32 exec_lo, exec_lo, s18
	v_mov_b32_e32 v4, v8
.LBB84_102:
	s_or_b32 exec_lo, exec_lo, s11
	s_or_b32 exec_lo, exec_lo, s8
	s_and_saveexec_b32 s5, s4
	s_cbranch_execz .LBB84_87
.LBB84_103:
	s_mov_b32 s8, exec_lo
	v_cmpx_o_f16_e32 v4, v4
	s_cbranch_execz .LBB84_107
; %bb.104:
	s_mov_b32 s11, exec_lo
	s_waitcnt vmcnt(0)
	v_cmpx_o_f16_e32 v7, v7
; %bb.105:
	v_cmp_gt_f16_e64 s4, v7, v4
	v_cndmask_b32_e64 v7, v4, v7, s4
; %bb.106:
	s_or_b32 exec_lo, exec_lo, s11
	v_mov_b32_e32 v4, v7
.LBB84_107:
	s_or_b32 exec_lo, exec_lo, s8
	s_or_b32 exec_lo, exec_lo, s5
	s_and_saveexec_b32 s4, s3
	s_cbranch_execz .LBB84_88
.LBB84_108:
	s_mov_b32 s5, exec_lo
	v_cmpx_o_f16_e32 v4, v4
	s_cbranch_execz .LBB84_112
; %bb.109:
	s_mov_b32 s8, exec_lo
	s_waitcnt vmcnt(0)
	v_cmpx_o_f16_e32 v6, v6
; %bb.110:
	v_cmp_gt_f16_e64 s3, v6, v4
	v_cndmask_b32_e64 v6, v4, v6, s3
; %bb.111:
	s_or_b32 exec_lo, exec_lo, s8
	v_mov_b32_e32 v4, v6
.LBB84_112:
	s_or_b32 exec_lo, exec_lo, s5
	s_or_b32 exec_lo, exec_lo, s4
	s_and_saveexec_b32 s3, s2
	s_cbranch_execz .LBB84_89
.LBB84_113:
	s_mov_b32 s4, exec_lo
	v_cmpx_o_f16_e32 v4, v4
	s_cbranch_execz .LBB84_117
; %bb.114:
	s_mov_b32 s5, exec_lo
	s_waitcnt vmcnt(0)
	v_cmpx_o_f16_e32 v5, v5
; %bb.115:
	v_cmp_gt_f16_e64 s2, v5, v4
	v_cndmask_b32_e64 v5, v4, v5, s2
; %bb.116:
	s_or_b32 exec_lo, exec_lo, s5
	v_mov_b32_e32 v4, v5
.LBB84_117:
	s_or_b32 exec_lo, exec_lo, s4
	s_or_b32 exec_lo, exec_lo, s3
	s_and_saveexec_b32 s2, s1
	s_cbranch_execz .LBB84_90
.LBB84_118:
	s_mov_b32 s3, exec_lo
	v_cmpx_o_f16_e32 v4, v4
	s_cbranch_execz .LBB84_122
; %bb.119:
	s_mov_b32 s4, exec_lo
	s_waitcnt vmcnt(0)
	v_cmpx_o_f16_e32 v3, v3
; %bb.120:
	v_cmp_gt_f16_e64 s1, v3, v4
	v_cndmask_b32_e64 v3, v4, v3, s1
; %bb.121:
	s_or_b32 exec_lo, exec_lo, s4
	v_mov_b32_e32 v4, v3
.LBB84_122:
	s_or_b32 exec_lo, exec_lo, s3
	s_or_b32 exec_lo, exec_lo, s2
	s_and_saveexec_b32 s1, s0
	s_cbranch_execz .LBB84_91
.LBB84_123:
	s_mov_b32 s2, exec_lo
	v_cmpx_o_f16_e32 v4, v4
	s_cbranch_execz .LBB84_127
; %bb.124:
	s_mov_b32 s3, exec_lo
	s_waitcnt vmcnt(0)
	v_cmpx_o_f16_e32 v2, v2
; %bb.125:
	v_cmp_gt_f16_e64 s0, v2, v4
	v_cndmask_b32_e64 v2, v4, v2, s0
; %bb.126:
	s_or_b32 exec_lo, exec_lo, s3
	v_mov_b32_e32 v4, v2
.LBB84_127:
	s_or_b32 exec_lo, exec_lo, s2
	s_or_b32 exec_lo, exec_lo, s1
	s_and_saveexec_b32 s0, vcc_lo
	s_cbranch_execz .LBB84_133
.LBB84_128:
	s_mov_b32 s1, exec_lo
	v_cmpx_o_f16_e32 v4, v4
	s_cbranch_execz .LBB84_132
; %bb.129:
	s_mov_b32 s2, exec_lo
	s_waitcnt vmcnt(0)
	v_cmpx_o_f16_e32 v1, v1
; %bb.130:
	v_cmp_gt_f16_e32 vcc_lo, v1, v4
	v_cndmask_b32_e32 v1, v4, v1, vcc_lo
; %bb.131:
	s_or_b32 exec_lo, exec_lo, s2
	v_mov_b32_e32 v4, v1
.LBB84_132:
	s_or_b32 exec_lo, exec_lo, s1
.LBB84_133:
	s_or_b32 exec_lo, exec_lo, s0
	s_waitcnt vmcnt(0)
	v_and_b32_e32 v1, 0xffff, v4
	s_mov_b32 s0, exec_lo
	v_mov_b32_dpp v1, v1 quad_perm:[1,0,3,2] row_mask:0xf bank_mask:0xf
	v_cmpx_o_f16_e32 v1, v1
	s_xor_b32 s0, exec_lo, s0
	s_cbranch_execz .LBB84_137
; %bb.134:
	s_mov_b32 s1, exec_lo
	v_cmpx_o_f16_e32 v4, v4
; %bb.135:
	v_cmp_gt_f16_e32 vcc_lo, v4, v1
	v_cndmask_b32_e32 v4, v1, v4, vcc_lo
; %bb.136:
	s_or_b32 exec_lo, exec_lo, s1
	v_mov_b32_e32 v1, v4
.LBB84_137:
	s_or_b32 exec_lo, exec_lo, s0
	v_and_b32_e32 v2, 0xffff, v1
	s_mov_b32 s0, exec_lo
	v_mov_b32_dpp v2, v2 quad_perm:[2,3,0,1] row_mask:0xf bank_mask:0xf
	v_cmpx_o_f16_e32 v2, v2
	s_cbranch_execz .LBB84_141
; %bb.138:
	s_mov_b32 s1, exec_lo
	v_cmpx_o_f16_e32 v1, v1
; %bb.139:
	v_cmp_gt_f16_e32 vcc_lo, v1, v2
	v_cndmask_b32_e32 v1, v2, v1, vcc_lo
; %bb.140:
	s_or_b32 exec_lo, exec_lo, s1
	v_mov_b32_e32 v2, v1
.LBB84_141:
	s_or_b32 exec_lo, exec_lo, s0
	v_and_b32_e32 v1, 0xffff, v2
	s_mov_b32 s0, exec_lo
	v_mov_b32_dpp v1, v1 row_ror:4 row_mask:0xf bank_mask:0xf
	v_cmpx_o_f16_e32 v1, v1
	s_cbranch_execz .LBB84_145
; %bb.142:
	s_mov_b32 s1, exec_lo
	v_cmpx_o_f16_e32 v2, v2
; %bb.143:
	v_cmp_gt_f16_e32 vcc_lo, v2, v1
	v_cndmask_b32_e32 v2, v1, v2, vcc_lo
; %bb.144:
	s_or_b32 exec_lo, exec_lo, s1
	v_mov_b32_e32 v1, v2
.LBB84_145:
	s_or_b32 exec_lo, exec_lo, s0
	v_and_b32_e32 v2, 0xffff, v1
	s_mov_b32 s0, exec_lo
	v_mov_b32_dpp v2, v2 row_ror:8 row_mask:0xf bank_mask:0xf
	v_cmpx_o_f16_e32 v2, v2
	s_cbranch_execz .LBB84_149
; %bb.146:
	s_mov_b32 s1, exec_lo
	v_cmpx_o_f16_e32 v1, v1
; %bb.147:
	v_cmp_gt_f16_e32 vcc_lo, v1, v2
	v_cndmask_b32_e32 v1, v2, v1, vcc_lo
; %bb.148:
	s_or_b32 exec_lo, exec_lo, s1
	v_mov_b32_e32 v2, v1
.LBB84_149:
	s_or_b32 exec_lo, exec_lo, s0
	v_and_b32_e32 v1, 0xffff, v2
	s_mov_b32 s0, exec_lo
	ds_swizzle_b32 v1, v1 offset:swizzle(BROADCAST,32,15)
	s_waitcnt lgkmcnt(0)
	v_cmpx_o_f16_e32 v1, v1
	s_cbranch_execz .LBB84_153
; %bb.150:
	s_mov_b32 s1, exec_lo
	v_cmpx_o_f16_e32 v2, v2
; %bb.151:
	v_cmp_gt_f16_e32 vcc_lo, v2, v1
	v_cndmask_b32_e32 v2, v1, v2, vcc_lo
; %bb.152:
	s_or_b32 exec_lo, exec_lo, s1
	v_mov_b32_e32 v1, v2
.LBB84_153:
	s_or_b32 exec_lo, exec_lo, s0
	v_and_b32_e32 v1, 0xffff, v1
	v_mov_b32_e32 v2, 0
	s_mov_b32 s0, exec_lo
	ds_bpermute_b32 v2, v2, v1 offset:124
	v_mbcnt_lo_u32_b32 v1, -1, 0
	v_cmpx_eq_u32_e32 0, v1
	s_cbranch_execz .LBB84_155
; %bb.154:
	v_lshrrev_b32_e32 v3, 4, v0
	v_and_b32_e32 v3, 14, v3
	s_waitcnt lgkmcnt(0)
	ds_write_b16 v3, v2
.LBB84_155:
	s_or_b32 exec_lo, exec_lo, s0
	s_mov_b32 s0, exec_lo
	s_waitcnt lgkmcnt(0)
	s_barrier
	buffer_gl0_inv
	v_cmpx_gt_u32_e32 32, v0
	s_cbranch_execz .LBB84_169
; %bb.156:
	v_and_b32_e32 v3, 7, v1
	s_mov_b32 s1, exec_lo
	v_lshlrev_b32_e32 v2, 1, v3
	v_cmp_ne_u32_e32 vcc_lo, 7, v3
	ds_read_u16 v2, v2
	v_add_co_ci_u32_e64 v4, null, 0, v1, vcc_lo
	v_lshlrev_b32_e32 v4, 2, v4
	s_waitcnt lgkmcnt(0)
	v_and_b32_e32 v5, 0xffff, v2
	ds_bpermute_b32 v4, v4, v5
	v_cmpx_o_f16_e32 v2, v2
	s_cbranch_execz .LBB84_160
; %bb.157:
	s_mov_b32 s2, exec_lo
	s_waitcnt lgkmcnt(0)
	v_cmpx_o_f16_e32 v4, v4
; %bb.158:
	v_cmp_lt_f16_e32 vcc_lo, v2, v4
	v_cndmask_b32_e32 v4, v2, v4, vcc_lo
; %bb.159:
	s_or_b32 exec_lo, exec_lo, s2
	v_mov_b32_e32 v2, v4
.LBB84_160:
	s_or_b32 exec_lo, exec_lo, s1
	v_cmp_gt_u32_e32 vcc_lo, 6, v3
	s_waitcnt lgkmcnt(0)
	v_and_b32_e32 v4, 0xffff, v2
	s_mov_b32 s1, exec_lo
	v_cndmask_b32_e64 v3, 0, 2, vcc_lo
	v_add_lshl_u32 v3, v3, v1, 2
	v_lshlrev_b32_e32 v1, 2, v1
	ds_bpermute_b32 v3, v3, v4
	v_cmpx_o_f16_e32 v2, v2
	s_cbranch_execz .LBB84_164
; %bb.161:
	s_mov_b32 s2, exec_lo
	s_waitcnt lgkmcnt(0)
	v_cmpx_o_f16_e32 v3, v3
; %bb.162:
	v_cmp_lt_f16_e32 vcc_lo, v2, v3
	v_cndmask_b32_e32 v3, v2, v3, vcc_lo
; %bb.163:
	s_or_b32 exec_lo, exec_lo, s2
	v_mov_b32_e32 v2, v3
.LBB84_164:
	s_or_b32 exec_lo, exec_lo, s1
	v_or_b32_e32 v1, 16, v1
	s_waitcnt lgkmcnt(0)
	v_and_b32_e32 v3, 0xffff, v2
	s_mov_b32 s1, exec_lo
	ds_bpermute_b32 v1, v1, v3
	v_cmpx_o_f16_e32 v2, v2
	s_cbranch_execz .LBB84_168
; %bb.165:
	s_mov_b32 s2, exec_lo
	s_waitcnt lgkmcnt(0)
	v_cmpx_o_f16_e32 v1, v1
; %bb.166:
	v_cmp_lt_f16_e32 vcc_lo, v2, v1
	v_cndmask_b32_e32 v1, v2, v1, vcc_lo
; %bb.167:
	s_or_b32 exec_lo, exec_lo, s2
	v_mov_b32_e32 v2, v1
.LBB84_168:
	s_or_b32 exec_lo, exec_lo, s1
.LBB84_169:
	s_or_b32 exec_lo, exec_lo, s0
	s_branch .LBB84_272
.LBB84_170:
	s_sub_i32 s0, s21, s10
	s_mov_b32 s1, exec_lo
                                        ; implicit-def: $vgpr4
	v_cmpx_gt_u32_e64 s0, v0
	s_cbranch_execz .LBB84_180
; %bb.171:
	s_waitcnt lgkmcnt(0)
	v_add_nc_u32_e32 v1, s10, v0
	s_mov_b32 s2, exec_lo
	v_ashrrev_i32_e32 v2, 31, v1
	v_lshlrev_b64 v[2:3], 1, v[1:2]
	v_add_nc_u32_e32 v1, 0x100, v1
	v_add_co_u32 v2, vcc_lo, s12, v2
	v_add_co_ci_u32_e64 v3, null, s13, v3, vcc_lo
	global_load_ushort v4, v[2:3], off
	v_cmpx_gt_i32_e64 s21, v1
	s_cbranch_execz .LBB84_179
; %bb.172:
	s_mov_b32 s3, 0
	s_inst_prefetch 0x1
	s_branch .LBB84_175
	.p2align	6
.LBB84_173:                             ;   in Loop: Header=BB84_175 Depth=1
	s_or_b32 exec_lo, exec_lo, s5
	v_mov_b32_e32 v4, v2
.LBB84_174:                             ;   in Loop: Header=BB84_175 Depth=1
	s_or_b32 exec_lo, exec_lo, s4
	v_add_nc_u32_e32 v1, 0x100, v1
	v_cmp_le_i32_e32 vcc_lo, s21, v1
	s_or_b32 s3, vcc_lo, s3
	s_andn2_b32 exec_lo, exec_lo, s3
	s_cbranch_execz .LBB84_178
.LBB84_175:                             ; =>This Inner Loop Header: Depth=1
	s_mov_b32 s4, exec_lo
	s_waitcnt vmcnt(0)
	v_cmpx_o_f16_e32 v4, v4
	s_cbranch_execz .LBB84_174
; %bb.176:                              ;   in Loop: Header=BB84_175 Depth=1
	v_ashrrev_i32_e32 v2, 31, v1
	s_mov_b32 s5, exec_lo
	v_lshlrev_b64 v[2:3], 1, v[1:2]
	v_add_co_u32 v2, vcc_lo, s12, v2
	v_add_co_ci_u32_e64 v3, null, s13, v3, vcc_lo
	global_load_ushort v2, v[2:3], off
	s_waitcnt vmcnt(0)
	v_cmpx_o_f16_e32 v2, v2
	s_cbranch_execz .LBB84_173
; %bb.177:                              ;   in Loop: Header=BB84_175 Depth=1
	v_cmp_lt_f16_e32 vcc_lo, v4, v2
	v_cndmask_b32_e32 v2, v4, v2, vcc_lo
	s_branch .LBB84_173
.LBB84_178:
	s_inst_prefetch 0x2
	s_or_b32 exec_lo, exec_lo, s3
.LBB84_179:
	s_or_b32 exec_lo, exec_lo, s2
.LBB84_180:
	s_or_b32 exec_lo, exec_lo, s1
	v_lshrrev_b32_e32 v3, 5, v0
	s_waitcnt lgkmcnt(0)
	v_mbcnt_lo_u32_b32 v1, -1, 0
	s_waitcnt vmcnt(0)
	v_and_b32_e32 v5, 0xffff, v4
	s_cmpk_lt_u32 s0, 0x100
	s_mov_b32 s1, -1
                                        ; implicit-def: $vgpr2
	s_cbranch_scc0 .LBB84_234
; %bb.181:
	v_cmp_ne_u32_e32 vcc_lo, 31, v1
	v_mov_b32_e32 v8, v5
	v_add_co_ci_u32_e64 v2, null, 0, v1, vcc_lo
	v_lshlrev_b32_e32 v2, 2, v2
	ds_bpermute_b32 v7, v2, v5
	v_and_b32_e32 v2, 0xe0, v0
	v_sub_nc_u32_e64 v6, s0, v2 clamp
	v_add_nc_u32_e32 v2, 1, v1
	v_cmp_lt_u32_e32 vcc_lo, v2, v6
	v_mov_b32_e32 v2, v4
	s_and_saveexec_b32 s1, vcc_lo
	s_cbranch_execz .LBB84_187
; %bb.182:
	v_mov_b32_e32 v2, v4
	s_mov_b32 s2, exec_lo
	v_cmpx_o_f16_e32 v4, v4
	s_cbranch_execz .LBB84_186
; %bb.183:
	s_mov_b32 s3, exec_lo
	s_waitcnt lgkmcnt(0)
	v_cmpx_o_f16_e32 v7, v7
; %bb.184:
	v_cmp_lt_f16_e32 vcc_lo, v4, v7
	v_cndmask_b32_e32 v7, v4, v7, vcc_lo
; %bb.185:
	s_or_b32 exec_lo, exec_lo, s3
	v_mov_b32_e32 v2, v7
.LBB84_186:
	s_or_b32 exec_lo, exec_lo, s2
	v_and_b32_e32 v8, 0xffff, v2
.LBB84_187:
	s_or_b32 exec_lo, exec_lo, s1
	v_cmp_gt_u32_e32 vcc_lo, 30, v1
	v_add_nc_u32_e32 v9, 2, v1
	s_mov_b32 s1, exec_lo
	s_waitcnt lgkmcnt(0)
	v_cndmask_b32_e64 v7, 0, 2, vcc_lo
	v_add_lshl_u32 v7, v7, v1, 2
	ds_bpermute_b32 v7, v7, v8
	v_cmpx_lt_u32_e64 v9, v6
	s_cbranch_execz .LBB84_193
; %bb.188:
	s_mov_b32 s2, exec_lo
	v_cmpx_o_f16_e32 v2, v2
	s_cbranch_execz .LBB84_192
; %bb.189:
	s_mov_b32 s3, exec_lo
	s_waitcnt lgkmcnt(0)
	v_cmpx_o_f16_e32 v7, v7
; %bb.190:
	v_cmp_lt_f16_e32 vcc_lo, v2, v7
	v_cndmask_b32_e32 v7, v2, v7, vcc_lo
; %bb.191:
	s_or_b32 exec_lo, exec_lo, s3
	v_mov_b32_e32 v2, v7
.LBB84_192:
	s_or_b32 exec_lo, exec_lo, s2
	v_and_b32_e32 v8, 0xffff, v2
.LBB84_193:
	s_or_b32 exec_lo, exec_lo, s1
	v_cmp_gt_u32_e32 vcc_lo, 28, v1
	v_add_nc_u32_e32 v9, 4, v1
	s_mov_b32 s1, exec_lo
	s_waitcnt lgkmcnt(0)
	v_cndmask_b32_e64 v7, 0, 4, vcc_lo
	v_add_lshl_u32 v7, v7, v1, 2
	ds_bpermute_b32 v7, v7, v8
	v_cmpx_lt_u32_e64 v9, v6
	s_cbranch_execz .LBB84_199
; %bb.194:
	s_mov_b32 s2, exec_lo
	v_cmpx_o_f16_e32 v2, v2
	s_cbranch_execz .LBB84_198
; %bb.195:
	s_mov_b32 s3, exec_lo
	s_waitcnt lgkmcnt(0)
	v_cmpx_o_f16_e32 v7, v7
; %bb.196:
	v_cmp_lt_f16_e32 vcc_lo, v2, v7
	v_cndmask_b32_e32 v7, v2, v7, vcc_lo
; %bb.197:
	s_or_b32 exec_lo, exec_lo, s3
	v_mov_b32_e32 v2, v7
.LBB84_198:
	s_or_b32 exec_lo, exec_lo, s2
	v_and_b32_e32 v8, 0xffff, v2
.LBB84_199:
	;; [unrolled: 28-line block ×3, first 2 shown]
	s_or_b32 exec_lo, exec_lo, s1
	s_waitcnt lgkmcnt(0)
	v_lshlrev_b32_e32 v7, 2, v1
	s_mov_b32 s1, exec_lo
	v_or_b32_e32 v9, 64, v7
	ds_bpermute_b32 v8, v9, v8
	v_add_nc_u32_e32 v9, 16, v1
	v_cmpx_lt_u32_e64 v9, v6
	s_cbranch_execz .LBB84_211
; %bb.206:
	s_mov_b32 s2, exec_lo
	v_cmpx_o_f16_e32 v2, v2
	s_cbranch_execz .LBB84_210
; %bb.207:
	s_mov_b32 s3, exec_lo
	s_waitcnt lgkmcnt(0)
	v_cmpx_o_f16_e32 v8, v8
; %bb.208:
	v_cmp_lt_f16_e32 vcc_lo, v2, v8
	v_cndmask_b32_e32 v8, v2, v8, vcc_lo
; %bb.209:
	s_or_b32 exec_lo, exec_lo, s3
	v_mov_b32_e32 v2, v8
.LBB84_210:
	s_or_b32 exec_lo, exec_lo, s2
.LBB84_211:
	s_or_b32 exec_lo, exec_lo, s1
	s_mov_b32 s1, exec_lo
	v_cmpx_eq_u32_e32 0, v1
; %bb.212:
	v_lshlrev_b32_e32 v6, 1, v3
	ds_write_b16 v6, v2
; %bb.213:
	s_or_b32 exec_lo, exec_lo, s1
	s_mov_b32 s1, exec_lo
	s_waitcnt lgkmcnt(0)
	s_barrier
	buffer_gl0_inv
	v_cmpx_gt_u32_e32 8, v0
	s_cbranch_execz .LBB84_233
; %bb.214:
	v_lshlrev_b32_e32 v2, 1, v1
	v_and_b32_e32 v6, 7, v1
	s_add_i32 s0, s0, 31
	s_mov_b32 s2, exec_lo
	s_lshr_b32 s0, s0, 5
	ds_read_u16 v2, v2
	v_cmp_ne_u32_e32 vcc_lo, 7, v6
	v_add_nc_u32_e32 v10, 1, v6
	v_add_co_ci_u32_e64 v8, null, 0, v1, vcc_lo
	v_lshlrev_b32_e32 v9, 2, v8
	s_waitcnt lgkmcnt(0)
	v_and_b32_e32 v8, 0xffff, v2
	ds_bpermute_b32 v9, v9, v8
	v_cmpx_gt_u32_e64 s0, v10
	s_cbranch_execz .LBB84_220
; %bb.215:
	s_mov_b32 s3, exec_lo
	v_cmpx_o_f16_e32 v2, v2
	s_cbranch_execz .LBB84_219
; %bb.216:
	s_mov_b32 s4, exec_lo
	s_waitcnt lgkmcnt(0)
	v_cmpx_o_f16_e32 v9, v9
; %bb.217:
	v_cmp_lt_f16_e32 vcc_lo, v2, v9
	v_cndmask_b32_e32 v9, v2, v9, vcc_lo
; %bb.218:
	s_or_b32 exec_lo, exec_lo, s4
	v_mov_b32_e32 v2, v9
.LBB84_219:
	s_or_b32 exec_lo, exec_lo, s3
	v_and_b32_e32 v8, 0xffff, v2
.LBB84_220:
	s_or_b32 exec_lo, exec_lo, s2
	v_cmp_gt_u32_e32 vcc_lo, 6, v6
	v_add_nc_u32_e32 v10, 2, v6
	s_mov_b32 s2, exec_lo
	s_waitcnt lgkmcnt(0)
	v_cndmask_b32_e64 v9, 0, 2, vcc_lo
	v_add_lshl_u32 v9, v9, v1, 2
	ds_bpermute_b32 v9, v9, v8
	v_cmpx_gt_u32_e64 s0, v10
	s_cbranch_execz .LBB84_226
; %bb.221:
	s_mov_b32 s3, exec_lo
	v_cmpx_o_f16_e32 v2, v2
	s_cbranch_execz .LBB84_225
; %bb.222:
	s_mov_b32 s4, exec_lo
	s_waitcnt lgkmcnt(0)
	v_cmpx_o_f16_e32 v9, v9
; %bb.223:
	v_cmp_lt_f16_e32 vcc_lo, v2, v9
	v_cndmask_b32_e32 v9, v2, v9, vcc_lo
; %bb.224:
	s_or_b32 exec_lo, exec_lo, s4
	v_mov_b32_e32 v2, v9
.LBB84_225:
	s_or_b32 exec_lo, exec_lo, s3
	v_and_b32_e32 v8, 0xffff, v2
.LBB84_226:
	s_or_b32 exec_lo, exec_lo, s2
	v_or_b32_e32 v7, 16, v7
	v_add_nc_u32_e32 v6, 4, v6
	ds_bpermute_b32 v7, v7, v8
	v_cmp_gt_u32_e32 vcc_lo, s0, v6
	s_and_saveexec_b32 s0, vcc_lo
	s_cbranch_execz .LBB84_232
; %bb.227:
	s_mov_b32 s2, exec_lo
	v_cmpx_o_f16_e32 v2, v2
	s_cbranch_execz .LBB84_231
; %bb.228:
	s_mov_b32 s3, exec_lo
	s_waitcnt lgkmcnt(0)
	v_cmpx_o_f16_e32 v7, v7
; %bb.229:
	v_cmp_lt_f16_e32 vcc_lo, v2, v7
	v_cndmask_b32_e32 v7, v2, v7, vcc_lo
; %bb.230:
	s_or_b32 exec_lo, exec_lo, s3
	v_mov_b32_e32 v2, v7
.LBB84_231:
	s_or_b32 exec_lo, exec_lo, s2
.LBB84_232:
	s_or_b32 exec_lo, exec_lo, s0
.LBB84_233:
	s_or_b32 exec_lo, exec_lo, s1
	s_mov_b32 s1, 0
.LBB84_234:
	s_and_b32 vcc_lo, exec_lo, s1
	s_cbranch_vccz .LBB84_272
; %bb.235:
	v_mov_b32_dpp v2, v5 quad_perm:[1,0,3,2] row_mask:0xf bank_mask:0xf
	s_mov_b32 s0, exec_lo
	v_cmpx_o_f16_e32 v2, v2
	s_cbranch_execz .LBB84_239
; %bb.236:
	s_mov_b32 s1, exec_lo
	v_cmpx_o_f16_e32 v4, v4
; %bb.237:
	v_cmp_gt_f16_e32 vcc_lo, v4, v2
	v_cndmask_b32_e32 v4, v2, v4, vcc_lo
; %bb.238:
	s_or_b32 exec_lo, exec_lo, s1
	v_mov_b32_e32 v2, v4
.LBB84_239:
	s_or_b32 exec_lo, exec_lo, s0
	v_and_b32_e32 v4, 0xffff, v2
	s_mov_b32 s0, exec_lo
	v_mov_b32_dpp v4, v4 quad_perm:[2,3,0,1] row_mask:0xf bank_mask:0xf
	v_cmpx_o_f16_e32 v4, v4
	s_cbranch_execz .LBB84_243
; %bb.240:
	s_mov_b32 s1, exec_lo
	v_cmpx_o_f16_e32 v2, v2
; %bb.241:
	v_cmp_gt_f16_e32 vcc_lo, v2, v4
	v_cndmask_b32_e32 v2, v4, v2, vcc_lo
; %bb.242:
	s_or_b32 exec_lo, exec_lo, s1
	v_mov_b32_e32 v4, v2
.LBB84_243:
	s_or_b32 exec_lo, exec_lo, s0
	v_and_b32_e32 v2, 0xffff, v4
	s_mov_b32 s0, exec_lo
	v_mov_b32_dpp v2, v2 row_ror:4 row_mask:0xf bank_mask:0xf
	v_cmpx_o_f16_e32 v2, v2
	s_cbranch_execz .LBB84_247
; %bb.244:
	s_mov_b32 s1, exec_lo
	v_cmpx_o_f16_e32 v4, v4
; %bb.245:
	v_cmp_gt_f16_e32 vcc_lo, v4, v2
	v_cndmask_b32_e32 v4, v2, v4, vcc_lo
; %bb.246:
	s_or_b32 exec_lo, exec_lo, s1
	v_mov_b32_e32 v2, v4
.LBB84_247:
	s_or_b32 exec_lo, exec_lo, s0
	v_and_b32_e32 v4, 0xffff, v2
	s_mov_b32 s0, exec_lo
	v_mov_b32_dpp v4, v4 row_ror:8 row_mask:0xf bank_mask:0xf
	v_cmpx_o_f16_e32 v4, v4
	s_cbranch_execz .LBB84_251
; %bb.248:
	s_mov_b32 s1, exec_lo
	v_cmpx_o_f16_e32 v2, v2
; %bb.249:
	v_cmp_gt_f16_e32 vcc_lo, v2, v4
	v_cndmask_b32_e32 v2, v4, v2, vcc_lo
; %bb.250:
	s_or_b32 exec_lo, exec_lo, s1
	v_mov_b32_e32 v4, v2
.LBB84_251:
	s_or_b32 exec_lo, exec_lo, s0
	v_and_b32_e32 v2, 0xffff, v4
	s_mov_b32 s0, exec_lo
	ds_swizzle_b32 v2, v2 offset:swizzle(BROADCAST,32,15)
	s_waitcnt lgkmcnt(0)
	v_cmpx_o_f16_e32 v2, v2
	s_cbranch_execz .LBB84_255
; %bb.252:
	s_mov_b32 s1, exec_lo
	v_cmpx_o_f16_e32 v4, v4
; %bb.253:
	v_cmp_gt_f16_e32 vcc_lo, v4, v2
	v_cndmask_b32_e32 v4, v2, v4, vcc_lo
; %bb.254:
	s_or_b32 exec_lo, exec_lo, s1
	v_mov_b32_e32 v2, v4
.LBB84_255:
	s_or_b32 exec_lo, exec_lo, s0
	v_and_b32_e32 v2, 0xffff, v2
	v_mov_b32_e32 v4, 0
	s_mov_b32 s0, exec_lo
	ds_bpermute_b32 v2, v4, v2 offset:124
	v_cmpx_eq_u32_e32 0, v1
	s_cbranch_execz .LBB84_257
; %bb.256:
	v_lshlrev_b32_e32 v3, 1, v3
	s_waitcnt lgkmcnt(0)
	ds_write_b16 v3, v2
.LBB84_257:
	s_or_b32 exec_lo, exec_lo, s0
	s_mov_b32 s0, exec_lo
	s_waitcnt lgkmcnt(0)
	s_barrier
	buffer_gl0_inv
	v_cmpx_gt_u32_e32 32, v0
	s_cbranch_execz .LBB84_271
; %bb.258:
	v_and_b32_e32 v3, 7, v1
	s_mov_b32 s1, exec_lo
	v_lshlrev_b32_e32 v2, 1, v3
	v_cmp_ne_u32_e32 vcc_lo, 7, v3
	ds_read_u16 v2, v2
	v_add_co_ci_u32_e64 v4, null, 0, v1, vcc_lo
	v_lshlrev_b32_e32 v4, 2, v4
	s_waitcnt lgkmcnt(0)
	v_and_b32_e32 v5, 0xffff, v2
	ds_bpermute_b32 v4, v4, v5
	v_cmpx_o_f16_e32 v2, v2
	s_cbranch_execz .LBB84_262
; %bb.259:
	s_mov_b32 s2, exec_lo
	s_waitcnt lgkmcnt(0)
	v_cmpx_o_f16_e32 v4, v4
; %bb.260:
	v_cmp_lt_f16_e32 vcc_lo, v2, v4
	v_cndmask_b32_e32 v4, v2, v4, vcc_lo
; %bb.261:
	s_or_b32 exec_lo, exec_lo, s2
	v_mov_b32_e32 v2, v4
.LBB84_262:
	s_or_b32 exec_lo, exec_lo, s1
	v_cmp_gt_u32_e32 vcc_lo, 6, v3
	s_waitcnt lgkmcnt(0)
	v_and_b32_e32 v4, 0xffff, v2
	s_mov_b32 s1, exec_lo
	v_cndmask_b32_e64 v3, 0, 2, vcc_lo
	v_add_lshl_u32 v3, v3, v1, 2
	v_lshlrev_b32_e32 v1, 2, v1
	ds_bpermute_b32 v3, v3, v4
	v_cmpx_o_f16_e32 v2, v2
	s_cbranch_execz .LBB84_266
; %bb.263:
	s_mov_b32 s2, exec_lo
	s_waitcnt lgkmcnt(0)
	v_cmpx_o_f16_e32 v3, v3
; %bb.264:
	v_cmp_lt_f16_e32 vcc_lo, v2, v3
	v_cndmask_b32_e32 v3, v2, v3, vcc_lo
; %bb.265:
	s_or_b32 exec_lo, exec_lo, s2
	v_mov_b32_e32 v2, v3
.LBB84_266:
	s_or_b32 exec_lo, exec_lo, s1
	v_or_b32_e32 v1, 16, v1
	s_waitcnt lgkmcnt(0)
	v_and_b32_e32 v3, 0xffff, v2
	s_mov_b32 s1, exec_lo
	ds_bpermute_b32 v1, v1, v3
	v_cmpx_o_f16_e32 v2, v2
	s_cbranch_execz .LBB84_270
; %bb.267:
	s_mov_b32 s2, exec_lo
	s_waitcnt lgkmcnt(0)
	v_cmpx_o_f16_e32 v1, v1
; %bb.268:
	v_cmp_lt_f16_e32 vcc_lo, v2, v1
	v_cndmask_b32_e32 v1, v2, v1, vcc_lo
; %bb.269:
	s_or_b32 exec_lo, exec_lo, s2
	v_mov_b32_e32 v2, v1
.LBB84_270:
	s_or_b32 exec_lo, exec_lo, s1
.LBB84_271:
	s_or_b32 exec_lo, exec_lo, s0
.LBB84_272:
	s_mov_b32 s0, exec_lo
                                        ; implicit-def: $vgpr1
	v_cmpx_eq_u32_e32 0, v0
	s_cbranch_execz .LBB84_278
; %bb.273:
	v_cmp_u_f16_e64 s1, s9, s9
	s_waitcnt lgkmcnt(0)
	v_mov_b32_e32 v1, s9
	s_and_b32 vcc_lo, exec_lo, s1
	s_cbranch_vccnz .LBB84_277
; %bb.274:
	s_mov_b32 s1, exec_lo
	v_cmpx_o_f16_e32 v2, v2
; %bb.275:
	v_cmp_lt_f16_e32 vcc_lo, s9, v2
	v_cndmask_b32_e32 v2, s9, v2, vcc_lo
; %bb.276:
	s_or_b32 exec_lo, exec_lo, s1
	v_mov_b32_e32 v1, v2
.LBB84_277:
	s_or_b32 s20, s20, exec_lo
.LBB84_278:
	s_or_b32 exec_lo, exec_lo, s0
	s_and_saveexec_b32 s0, s20
	s_cbranch_execz .LBB84_280
.LBB84_279:
	s_lshl_b64 s[0:1], s[16:17], 1
	v_mov_b32_e32 v0, 0
	s_add_u32 s2, s14, s0
	s_addc_u32 s3, s15, s1
	s_lshl_b64 s[0:1], s[6:7], 1
	s_add_u32 s0, s2, s0
	s_addc_u32 s1, s3, s1
	s_waitcnt lgkmcnt(0)
	global_store_short v0, v1, s[0:1]
.LBB84_280:
	s_endpgm
	.section	.rodata,"a",@progbits
	.p2align	6, 0x0
	.amdhsa_kernel _ZN7rocprim17ROCPRIM_400000_NS6detail17trampoline_kernelINS0_14default_configENS1_32segmented_reduce_config_selectorIN3c104HalfEEEZNS1_21segmented_reduce_implIS3_PKS6_PS6_PKiS6_N6hipcub16HIPCUB_304000_NS6detail27convert_result_type_wrapperISA_SB_N2at6native12_GLOBAL__N_19CustomMaxEEEEE10hipError_tPvRmT0_T1_jT2_SS_T4_T3_P12ihipStream_tbEUlT_E_NS1_11comp_targetILNS1_3genE8ELNS1_11target_archE1030ELNS1_3gpuE2ELNS1_3repE0EEENS1_30default_config_static_selectorELNS0_4arch9wavefront6targetE0EEEvSR_
		.amdhsa_group_segment_fixed_size 16
		.amdhsa_private_segment_fixed_size 0
		.amdhsa_kernarg_size 48
		.amdhsa_user_sgpr_count 6
		.amdhsa_user_sgpr_private_segment_buffer 1
		.amdhsa_user_sgpr_dispatch_ptr 0
		.amdhsa_user_sgpr_queue_ptr 0
		.amdhsa_user_sgpr_kernarg_segment_ptr 1
		.amdhsa_user_sgpr_dispatch_id 0
		.amdhsa_user_sgpr_flat_scratch_init 0
		.amdhsa_user_sgpr_private_segment_size 0
		.amdhsa_wavefront_size32 1
		.amdhsa_uses_dynamic_stack 0
		.amdhsa_system_sgpr_private_segment_wavefront_offset 0
		.amdhsa_system_sgpr_workgroup_id_x 1
		.amdhsa_system_sgpr_workgroup_id_y 0
		.amdhsa_system_sgpr_workgroup_id_z 0
		.amdhsa_system_sgpr_workgroup_info 0
		.amdhsa_system_vgpr_workitem_id 0
		.amdhsa_next_free_vgpr 15
		.amdhsa_next_free_sgpr 23
		.amdhsa_reserve_vcc 1
		.amdhsa_reserve_flat_scratch 0
		.amdhsa_float_round_mode_32 0
		.amdhsa_float_round_mode_16_64 0
		.amdhsa_float_denorm_mode_32 3
		.amdhsa_float_denorm_mode_16_64 3
		.amdhsa_dx10_clamp 1
		.amdhsa_ieee_mode 1
		.amdhsa_fp16_overflow 0
		.amdhsa_workgroup_processor_mode 1
		.amdhsa_memory_ordered 1
		.amdhsa_forward_progress 1
		.amdhsa_shared_vgpr_count 0
		.amdhsa_exception_fp_ieee_invalid_op 0
		.amdhsa_exception_fp_denorm_src 0
		.amdhsa_exception_fp_ieee_div_zero 0
		.amdhsa_exception_fp_ieee_overflow 0
		.amdhsa_exception_fp_ieee_underflow 0
		.amdhsa_exception_fp_ieee_inexact 0
		.amdhsa_exception_int_div_zero 0
	.end_amdhsa_kernel
	.section	.text._ZN7rocprim17ROCPRIM_400000_NS6detail17trampoline_kernelINS0_14default_configENS1_32segmented_reduce_config_selectorIN3c104HalfEEEZNS1_21segmented_reduce_implIS3_PKS6_PS6_PKiS6_N6hipcub16HIPCUB_304000_NS6detail27convert_result_type_wrapperISA_SB_N2at6native12_GLOBAL__N_19CustomMaxEEEEE10hipError_tPvRmT0_T1_jT2_SS_T4_T3_P12ihipStream_tbEUlT_E_NS1_11comp_targetILNS1_3genE8ELNS1_11target_archE1030ELNS1_3gpuE2ELNS1_3repE0EEENS1_30default_config_static_selectorELNS0_4arch9wavefront6targetE0EEEvSR_,"axG",@progbits,_ZN7rocprim17ROCPRIM_400000_NS6detail17trampoline_kernelINS0_14default_configENS1_32segmented_reduce_config_selectorIN3c104HalfEEEZNS1_21segmented_reduce_implIS3_PKS6_PS6_PKiS6_N6hipcub16HIPCUB_304000_NS6detail27convert_result_type_wrapperISA_SB_N2at6native12_GLOBAL__N_19CustomMaxEEEEE10hipError_tPvRmT0_T1_jT2_SS_T4_T3_P12ihipStream_tbEUlT_E_NS1_11comp_targetILNS1_3genE8ELNS1_11target_archE1030ELNS1_3gpuE2ELNS1_3repE0EEENS1_30default_config_static_selectorELNS0_4arch9wavefront6targetE0EEEvSR_,comdat
.Lfunc_end84:
	.size	_ZN7rocprim17ROCPRIM_400000_NS6detail17trampoline_kernelINS0_14default_configENS1_32segmented_reduce_config_selectorIN3c104HalfEEEZNS1_21segmented_reduce_implIS3_PKS6_PS6_PKiS6_N6hipcub16HIPCUB_304000_NS6detail27convert_result_type_wrapperISA_SB_N2at6native12_GLOBAL__N_19CustomMaxEEEEE10hipError_tPvRmT0_T1_jT2_SS_T4_T3_P12ihipStream_tbEUlT_E_NS1_11comp_targetILNS1_3genE8ELNS1_11target_archE1030ELNS1_3gpuE2ELNS1_3repE0EEENS1_30default_config_static_selectorELNS0_4arch9wavefront6targetE0EEEvSR_, .Lfunc_end84-_ZN7rocprim17ROCPRIM_400000_NS6detail17trampoline_kernelINS0_14default_configENS1_32segmented_reduce_config_selectorIN3c104HalfEEEZNS1_21segmented_reduce_implIS3_PKS6_PS6_PKiS6_N6hipcub16HIPCUB_304000_NS6detail27convert_result_type_wrapperISA_SB_N2at6native12_GLOBAL__N_19CustomMaxEEEEE10hipError_tPvRmT0_T1_jT2_SS_T4_T3_P12ihipStream_tbEUlT_E_NS1_11comp_targetILNS1_3genE8ELNS1_11target_archE1030ELNS1_3gpuE2ELNS1_3repE0EEENS1_30default_config_static_selectorELNS0_4arch9wavefront6targetE0EEEvSR_
                                        ; -- End function
	.set _ZN7rocprim17ROCPRIM_400000_NS6detail17trampoline_kernelINS0_14default_configENS1_32segmented_reduce_config_selectorIN3c104HalfEEEZNS1_21segmented_reduce_implIS3_PKS6_PS6_PKiS6_N6hipcub16HIPCUB_304000_NS6detail27convert_result_type_wrapperISA_SB_N2at6native12_GLOBAL__N_19CustomMaxEEEEE10hipError_tPvRmT0_T1_jT2_SS_T4_T3_P12ihipStream_tbEUlT_E_NS1_11comp_targetILNS1_3genE8ELNS1_11target_archE1030ELNS1_3gpuE2ELNS1_3repE0EEENS1_30default_config_static_selectorELNS0_4arch9wavefront6targetE0EEEvSR_.num_vgpr, 15
	.set _ZN7rocprim17ROCPRIM_400000_NS6detail17trampoline_kernelINS0_14default_configENS1_32segmented_reduce_config_selectorIN3c104HalfEEEZNS1_21segmented_reduce_implIS3_PKS6_PS6_PKiS6_N6hipcub16HIPCUB_304000_NS6detail27convert_result_type_wrapperISA_SB_N2at6native12_GLOBAL__N_19CustomMaxEEEEE10hipError_tPvRmT0_T1_jT2_SS_T4_T3_P12ihipStream_tbEUlT_E_NS1_11comp_targetILNS1_3genE8ELNS1_11target_archE1030ELNS1_3gpuE2ELNS1_3repE0EEENS1_30default_config_static_selectorELNS0_4arch9wavefront6targetE0EEEvSR_.num_agpr, 0
	.set _ZN7rocprim17ROCPRIM_400000_NS6detail17trampoline_kernelINS0_14default_configENS1_32segmented_reduce_config_selectorIN3c104HalfEEEZNS1_21segmented_reduce_implIS3_PKS6_PS6_PKiS6_N6hipcub16HIPCUB_304000_NS6detail27convert_result_type_wrapperISA_SB_N2at6native12_GLOBAL__N_19CustomMaxEEEEE10hipError_tPvRmT0_T1_jT2_SS_T4_T3_P12ihipStream_tbEUlT_E_NS1_11comp_targetILNS1_3genE8ELNS1_11target_archE1030ELNS1_3gpuE2ELNS1_3repE0EEENS1_30default_config_static_selectorELNS0_4arch9wavefront6targetE0EEEvSR_.numbered_sgpr, 23
	.set _ZN7rocprim17ROCPRIM_400000_NS6detail17trampoline_kernelINS0_14default_configENS1_32segmented_reduce_config_selectorIN3c104HalfEEEZNS1_21segmented_reduce_implIS3_PKS6_PS6_PKiS6_N6hipcub16HIPCUB_304000_NS6detail27convert_result_type_wrapperISA_SB_N2at6native12_GLOBAL__N_19CustomMaxEEEEE10hipError_tPvRmT0_T1_jT2_SS_T4_T3_P12ihipStream_tbEUlT_E_NS1_11comp_targetILNS1_3genE8ELNS1_11target_archE1030ELNS1_3gpuE2ELNS1_3repE0EEENS1_30default_config_static_selectorELNS0_4arch9wavefront6targetE0EEEvSR_.num_named_barrier, 0
	.set _ZN7rocprim17ROCPRIM_400000_NS6detail17trampoline_kernelINS0_14default_configENS1_32segmented_reduce_config_selectorIN3c104HalfEEEZNS1_21segmented_reduce_implIS3_PKS6_PS6_PKiS6_N6hipcub16HIPCUB_304000_NS6detail27convert_result_type_wrapperISA_SB_N2at6native12_GLOBAL__N_19CustomMaxEEEEE10hipError_tPvRmT0_T1_jT2_SS_T4_T3_P12ihipStream_tbEUlT_E_NS1_11comp_targetILNS1_3genE8ELNS1_11target_archE1030ELNS1_3gpuE2ELNS1_3repE0EEENS1_30default_config_static_selectorELNS0_4arch9wavefront6targetE0EEEvSR_.private_seg_size, 0
	.set _ZN7rocprim17ROCPRIM_400000_NS6detail17trampoline_kernelINS0_14default_configENS1_32segmented_reduce_config_selectorIN3c104HalfEEEZNS1_21segmented_reduce_implIS3_PKS6_PS6_PKiS6_N6hipcub16HIPCUB_304000_NS6detail27convert_result_type_wrapperISA_SB_N2at6native12_GLOBAL__N_19CustomMaxEEEEE10hipError_tPvRmT0_T1_jT2_SS_T4_T3_P12ihipStream_tbEUlT_E_NS1_11comp_targetILNS1_3genE8ELNS1_11target_archE1030ELNS1_3gpuE2ELNS1_3repE0EEENS1_30default_config_static_selectorELNS0_4arch9wavefront6targetE0EEEvSR_.uses_vcc, 1
	.set _ZN7rocprim17ROCPRIM_400000_NS6detail17trampoline_kernelINS0_14default_configENS1_32segmented_reduce_config_selectorIN3c104HalfEEEZNS1_21segmented_reduce_implIS3_PKS6_PS6_PKiS6_N6hipcub16HIPCUB_304000_NS6detail27convert_result_type_wrapperISA_SB_N2at6native12_GLOBAL__N_19CustomMaxEEEEE10hipError_tPvRmT0_T1_jT2_SS_T4_T3_P12ihipStream_tbEUlT_E_NS1_11comp_targetILNS1_3genE8ELNS1_11target_archE1030ELNS1_3gpuE2ELNS1_3repE0EEENS1_30default_config_static_selectorELNS0_4arch9wavefront6targetE0EEEvSR_.uses_flat_scratch, 0
	.set _ZN7rocprim17ROCPRIM_400000_NS6detail17trampoline_kernelINS0_14default_configENS1_32segmented_reduce_config_selectorIN3c104HalfEEEZNS1_21segmented_reduce_implIS3_PKS6_PS6_PKiS6_N6hipcub16HIPCUB_304000_NS6detail27convert_result_type_wrapperISA_SB_N2at6native12_GLOBAL__N_19CustomMaxEEEEE10hipError_tPvRmT0_T1_jT2_SS_T4_T3_P12ihipStream_tbEUlT_E_NS1_11comp_targetILNS1_3genE8ELNS1_11target_archE1030ELNS1_3gpuE2ELNS1_3repE0EEENS1_30default_config_static_selectorELNS0_4arch9wavefront6targetE0EEEvSR_.has_dyn_sized_stack, 0
	.set _ZN7rocprim17ROCPRIM_400000_NS6detail17trampoline_kernelINS0_14default_configENS1_32segmented_reduce_config_selectorIN3c104HalfEEEZNS1_21segmented_reduce_implIS3_PKS6_PS6_PKiS6_N6hipcub16HIPCUB_304000_NS6detail27convert_result_type_wrapperISA_SB_N2at6native12_GLOBAL__N_19CustomMaxEEEEE10hipError_tPvRmT0_T1_jT2_SS_T4_T3_P12ihipStream_tbEUlT_E_NS1_11comp_targetILNS1_3genE8ELNS1_11target_archE1030ELNS1_3gpuE2ELNS1_3repE0EEENS1_30default_config_static_selectorELNS0_4arch9wavefront6targetE0EEEvSR_.has_recursion, 0
	.set _ZN7rocprim17ROCPRIM_400000_NS6detail17trampoline_kernelINS0_14default_configENS1_32segmented_reduce_config_selectorIN3c104HalfEEEZNS1_21segmented_reduce_implIS3_PKS6_PS6_PKiS6_N6hipcub16HIPCUB_304000_NS6detail27convert_result_type_wrapperISA_SB_N2at6native12_GLOBAL__N_19CustomMaxEEEEE10hipError_tPvRmT0_T1_jT2_SS_T4_T3_P12ihipStream_tbEUlT_E_NS1_11comp_targetILNS1_3genE8ELNS1_11target_archE1030ELNS1_3gpuE2ELNS1_3repE0EEENS1_30default_config_static_selectorELNS0_4arch9wavefront6targetE0EEEvSR_.has_indirect_call, 0
	.section	.AMDGPU.csdata,"",@progbits
; Kernel info:
; codeLenInByte = 4772
; TotalNumSgprs: 25
; NumVgprs: 15
; ScratchSize: 0
; MemoryBound: 0
; FloatMode: 240
; IeeeMode: 1
; LDSByteSize: 16 bytes/workgroup (compile time only)
; SGPRBlocks: 0
; VGPRBlocks: 1
; NumSGPRsForWavesPerEU: 25
; NumVGPRsForWavesPerEU: 15
; Occupancy: 16
; WaveLimiterHint : 1
; COMPUTE_PGM_RSRC2:SCRATCH_EN: 0
; COMPUTE_PGM_RSRC2:USER_SGPR: 6
; COMPUTE_PGM_RSRC2:TRAP_HANDLER: 0
; COMPUTE_PGM_RSRC2:TGID_X_EN: 1
; COMPUTE_PGM_RSRC2:TGID_Y_EN: 0
; COMPUTE_PGM_RSRC2:TGID_Z_EN: 0
; COMPUTE_PGM_RSRC2:TIDIG_COMP_CNT: 0
	.section	.text._ZN7rocprim17ROCPRIM_400000_NS6detail17trampoline_kernelINS0_14default_configENS1_32segmented_reduce_config_selectorIN3c104HalfEEEZNS1_21segmented_reduce_implIS3_PKS6_PS6_PKiS6_N6hipcub16HIPCUB_304000_NS6detail27convert_result_type_wrapperISA_SB_N2at6native12_GLOBAL__N_19CustomSumEEEEE10hipError_tPvRmT0_T1_jT2_SS_T4_T3_P12ihipStream_tbEUlT_E_NS1_11comp_targetILNS1_3genE0ELNS1_11target_archE4294967295ELNS1_3gpuE0ELNS1_3repE0EEENS1_30default_config_static_selectorELNS0_4arch9wavefront6targetE0EEEvSR_,"axG",@progbits,_ZN7rocprim17ROCPRIM_400000_NS6detail17trampoline_kernelINS0_14default_configENS1_32segmented_reduce_config_selectorIN3c104HalfEEEZNS1_21segmented_reduce_implIS3_PKS6_PS6_PKiS6_N6hipcub16HIPCUB_304000_NS6detail27convert_result_type_wrapperISA_SB_N2at6native12_GLOBAL__N_19CustomSumEEEEE10hipError_tPvRmT0_T1_jT2_SS_T4_T3_P12ihipStream_tbEUlT_E_NS1_11comp_targetILNS1_3genE0ELNS1_11target_archE4294967295ELNS1_3gpuE0ELNS1_3repE0EEENS1_30default_config_static_selectorELNS0_4arch9wavefront6targetE0EEEvSR_,comdat
	.globl	_ZN7rocprim17ROCPRIM_400000_NS6detail17trampoline_kernelINS0_14default_configENS1_32segmented_reduce_config_selectorIN3c104HalfEEEZNS1_21segmented_reduce_implIS3_PKS6_PS6_PKiS6_N6hipcub16HIPCUB_304000_NS6detail27convert_result_type_wrapperISA_SB_N2at6native12_GLOBAL__N_19CustomSumEEEEE10hipError_tPvRmT0_T1_jT2_SS_T4_T3_P12ihipStream_tbEUlT_E_NS1_11comp_targetILNS1_3genE0ELNS1_11target_archE4294967295ELNS1_3gpuE0ELNS1_3repE0EEENS1_30default_config_static_selectorELNS0_4arch9wavefront6targetE0EEEvSR_ ; -- Begin function _ZN7rocprim17ROCPRIM_400000_NS6detail17trampoline_kernelINS0_14default_configENS1_32segmented_reduce_config_selectorIN3c104HalfEEEZNS1_21segmented_reduce_implIS3_PKS6_PS6_PKiS6_N6hipcub16HIPCUB_304000_NS6detail27convert_result_type_wrapperISA_SB_N2at6native12_GLOBAL__N_19CustomSumEEEEE10hipError_tPvRmT0_T1_jT2_SS_T4_T3_P12ihipStream_tbEUlT_E_NS1_11comp_targetILNS1_3genE0ELNS1_11target_archE4294967295ELNS1_3gpuE0ELNS1_3repE0EEENS1_30default_config_static_selectorELNS0_4arch9wavefront6targetE0EEEvSR_
	.p2align	8
	.type	_ZN7rocprim17ROCPRIM_400000_NS6detail17trampoline_kernelINS0_14default_configENS1_32segmented_reduce_config_selectorIN3c104HalfEEEZNS1_21segmented_reduce_implIS3_PKS6_PS6_PKiS6_N6hipcub16HIPCUB_304000_NS6detail27convert_result_type_wrapperISA_SB_N2at6native12_GLOBAL__N_19CustomSumEEEEE10hipError_tPvRmT0_T1_jT2_SS_T4_T3_P12ihipStream_tbEUlT_E_NS1_11comp_targetILNS1_3genE0ELNS1_11target_archE4294967295ELNS1_3gpuE0ELNS1_3repE0EEENS1_30default_config_static_selectorELNS0_4arch9wavefront6targetE0EEEvSR_,@function
_ZN7rocprim17ROCPRIM_400000_NS6detail17trampoline_kernelINS0_14default_configENS1_32segmented_reduce_config_selectorIN3c104HalfEEEZNS1_21segmented_reduce_implIS3_PKS6_PS6_PKiS6_N6hipcub16HIPCUB_304000_NS6detail27convert_result_type_wrapperISA_SB_N2at6native12_GLOBAL__N_19CustomSumEEEEE10hipError_tPvRmT0_T1_jT2_SS_T4_T3_P12ihipStream_tbEUlT_E_NS1_11comp_targetILNS1_3genE0ELNS1_11target_archE4294967295ELNS1_3gpuE0ELNS1_3repE0EEENS1_30default_config_static_selectorELNS0_4arch9wavefront6targetE0EEEvSR_: ; @_ZN7rocprim17ROCPRIM_400000_NS6detail17trampoline_kernelINS0_14default_configENS1_32segmented_reduce_config_selectorIN3c104HalfEEEZNS1_21segmented_reduce_implIS3_PKS6_PS6_PKiS6_N6hipcub16HIPCUB_304000_NS6detail27convert_result_type_wrapperISA_SB_N2at6native12_GLOBAL__N_19CustomSumEEEEE10hipError_tPvRmT0_T1_jT2_SS_T4_T3_P12ihipStream_tbEUlT_E_NS1_11comp_targetILNS1_3genE0ELNS1_11target_archE4294967295ELNS1_3gpuE0ELNS1_3repE0EEENS1_30default_config_static_selectorELNS0_4arch9wavefront6targetE0EEEvSR_
; %bb.0:
	.section	.rodata,"a",@progbits
	.p2align	6, 0x0
	.amdhsa_kernel _ZN7rocprim17ROCPRIM_400000_NS6detail17trampoline_kernelINS0_14default_configENS1_32segmented_reduce_config_selectorIN3c104HalfEEEZNS1_21segmented_reduce_implIS3_PKS6_PS6_PKiS6_N6hipcub16HIPCUB_304000_NS6detail27convert_result_type_wrapperISA_SB_N2at6native12_GLOBAL__N_19CustomSumEEEEE10hipError_tPvRmT0_T1_jT2_SS_T4_T3_P12ihipStream_tbEUlT_E_NS1_11comp_targetILNS1_3genE0ELNS1_11target_archE4294967295ELNS1_3gpuE0ELNS1_3repE0EEENS1_30default_config_static_selectorELNS0_4arch9wavefront6targetE0EEEvSR_
		.amdhsa_group_segment_fixed_size 0
		.amdhsa_private_segment_fixed_size 0
		.amdhsa_kernarg_size 48
		.amdhsa_user_sgpr_count 6
		.amdhsa_user_sgpr_private_segment_buffer 1
		.amdhsa_user_sgpr_dispatch_ptr 0
		.amdhsa_user_sgpr_queue_ptr 0
		.amdhsa_user_sgpr_kernarg_segment_ptr 1
		.amdhsa_user_sgpr_dispatch_id 0
		.amdhsa_user_sgpr_flat_scratch_init 0
		.amdhsa_user_sgpr_private_segment_size 0
		.amdhsa_wavefront_size32 1
		.amdhsa_uses_dynamic_stack 0
		.amdhsa_system_sgpr_private_segment_wavefront_offset 0
		.amdhsa_system_sgpr_workgroup_id_x 1
		.amdhsa_system_sgpr_workgroup_id_y 0
		.amdhsa_system_sgpr_workgroup_id_z 0
		.amdhsa_system_sgpr_workgroup_info 0
		.amdhsa_system_vgpr_workitem_id 0
		.amdhsa_next_free_vgpr 1
		.amdhsa_next_free_sgpr 1
		.amdhsa_reserve_vcc 0
		.amdhsa_reserve_flat_scratch 0
		.amdhsa_float_round_mode_32 0
		.amdhsa_float_round_mode_16_64 0
		.amdhsa_float_denorm_mode_32 3
		.amdhsa_float_denorm_mode_16_64 3
		.amdhsa_dx10_clamp 1
		.amdhsa_ieee_mode 1
		.amdhsa_fp16_overflow 0
		.amdhsa_workgroup_processor_mode 1
		.amdhsa_memory_ordered 1
		.amdhsa_forward_progress 1
		.amdhsa_shared_vgpr_count 0
		.amdhsa_exception_fp_ieee_invalid_op 0
		.amdhsa_exception_fp_denorm_src 0
		.amdhsa_exception_fp_ieee_div_zero 0
		.amdhsa_exception_fp_ieee_overflow 0
		.amdhsa_exception_fp_ieee_underflow 0
		.amdhsa_exception_fp_ieee_inexact 0
		.amdhsa_exception_int_div_zero 0
	.end_amdhsa_kernel
	.section	.text._ZN7rocprim17ROCPRIM_400000_NS6detail17trampoline_kernelINS0_14default_configENS1_32segmented_reduce_config_selectorIN3c104HalfEEEZNS1_21segmented_reduce_implIS3_PKS6_PS6_PKiS6_N6hipcub16HIPCUB_304000_NS6detail27convert_result_type_wrapperISA_SB_N2at6native12_GLOBAL__N_19CustomSumEEEEE10hipError_tPvRmT0_T1_jT2_SS_T4_T3_P12ihipStream_tbEUlT_E_NS1_11comp_targetILNS1_3genE0ELNS1_11target_archE4294967295ELNS1_3gpuE0ELNS1_3repE0EEENS1_30default_config_static_selectorELNS0_4arch9wavefront6targetE0EEEvSR_,"axG",@progbits,_ZN7rocprim17ROCPRIM_400000_NS6detail17trampoline_kernelINS0_14default_configENS1_32segmented_reduce_config_selectorIN3c104HalfEEEZNS1_21segmented_reduce_implIS3_PKS6_PS6_PKiS6_N6hipcub16HIPCUB_304000_NS6detail27convert_result_type_wrapperISA_SB_N2at6native12_GLOBAL__N_19CustomSumEEEEE10hipError_tPvRmT0_T1_jT2_SS_T4_T3_P12ihipStream_tbEUlT_E_NS1_11comp_targetILNS1_3genE0ELNS1_11target_archE4294967295ELNS1_3gpuE0ELNS1_3repE0EEENS1_30default_config_static_selectorELNS0_4arch9wavefront6targetE0EEEvSR_,comdat
.Lfunc_end85:
	.size	_ZN7rocprim17ROCPRIM_400000_NS6detail17trampoline_kernelINS0_14default_configENS1_32segmented_reduce_config_selectorIN3c104HalfEEEZNS1_21segmented_reduce_implIS3_PKS6_PS6_PKiS6_N6hipcub16HIPCUB_304000_NS6detail27convert_result_type_wrapperISA_SB_N2at6native12_GLOBAL__N_19CustomSumEEEEE10hipError_tPvRmT0_T1_jT2_SS_T4_T3_P12ihipStream_tbEUlT_E_NS1_11comp_targetILNS1_3genE0ELNS1_11target_archE4294967295ELNS1_3gpuE0ELNS1_3repE0EEENS1_30default_config_static_selectorELNS0_4arch9wavefront6targetE0EEEvSR_, .Lfunc_end85-_ZN7rocprim17ROCPRIM_400000_NS6detail17trampoline_kernelINS0_14default_configENS1_32segmented_reduce_config_selectorIN3c104HalfEEEZNS1_21segmented_reduce_implIS3_PKS6_PS6_PKiS6_N6hipcub16HIPCUB_304000_NS6detail27convert_result_type_wrapperISA_SB_N2at6native12_GLOBAL__N_19CustomSumEEEEE10hipError_tPvRmT0_T1_jT2_SS_T4_T3_P12ihipStream_tbEUlT_E_NS1_11comp_targetILNS1_3genE0ELNS1_11target_archE4294967295ELNS1_3gpuE0ELNS1_3repE0EEENS1_30default_config_static_selectorELNS0_4arch9wavefront6targetE0EEEvSR_
                                        ; -- End function
	.set _ZN7rocprim17ROCPRIM_400000_NS6detail17trampoline_kernelINS0_14default_configENS1_32segmented_reduce_config_selectorIN3c104HalfEEEZNS1_21segmented_reduce_implIS3_PKS6_PS6_PKiS6_N6hipcub16HIPCUB_304000_NS6detail27convert_result_type_wrapperISA_SB_N2at6native12_GLOBAL__N_19CustomSumEEEEE10hipError_tPvRmT0_T1_jT2_SS_T4_T3_P12ihipStream_tbEUlT_E_NS1_11comp_targetILNS1_3genE0ELNS1_11target_archE4294967295ELNS1_3gpuE0ELNS1_3repE0EEENS1_30default_config_static_selectorELNS0_4arch9wavefront6targetE0EEEvSR_.num_vgpr, 0
	.set _ZN7rocprim17ROCPRIM_400000_NS6detail17trampoline_kernelINS0_14default_configENS1_32segmented_reduce_config_selectorIN3c104HalfEEEZNS1_21segmented_reduce_implIS3_PKS6_PS6_PKiS6_N6hipcub16HIPCUB_304000_NS6detail27convert_result_type_wrapperISA_SB_N2at6native12_GLOBAL__N_19CustomSumEEEEE10hipError_tPvRmT0_T1_jT2_SS_T4_T3_P12ihipStream_tbEUlT_E_NS1_11comp_targetILNS1_3genE0ELNS1_11target_archE4294967295ELNS1_3gpuE0ELNS1_3repE0EEENS1_30default_config_static_selectorELNS0_4arch9wavefront6targetE0EEEvSR_.num_agpr, 0
	.set _ZN7rocprim17ROCPRIM_400000_NS6detail17trampoline_kernelINS0_14default_configENS1_32segmented_reduce_config_selectorIN3c104HalfEEEZNS1_21segmented_reduce_implIS3_PKS6_PS6_PKiS6_N6hipcub16HIPCUB_304000_NS6detail27convert_result_type_wrapperISA_SB_N2at6native12_GLOBAL__N_19CustomSumEEEEE10hipError_tPvRmT0_T1_jT2_SS_T4_T3_P12ihipStream_tbEUlT_E_NS1_11comp_targetILNS1_3genE0ELNS1_11target_archE4294967295ELNS1_3gpuE0ELNS1_3repE0EEENS1_30default_config_static_selectorELNS0_4arch9wavefront6targetE0EEEvSR_.numbered_sgpr, 0
	.set _ZN7rocprim17ROCPRIM_400000_NS6detail17trampoline_kernelINS0_14default_configENS1_32segmented_reduce_config_selectorIN3c104HalfEEEZNS1_21segmented_reduce_implIS3_PKS6_PS6_PKiS6_N6hipcub16HIPCUB_304000_NS6detail27convert_result_type_wrapperISA_SB_N2at6native12_GLOBAL__N_19CustomSumEEEEE10hipError_tPvRmT0_T1_jT2_SS_T4_T3_P12ihipStream_tbEUlT_E_NS1_11comp_targetILNS1_3genE0ELNS1_11target_archE4294967295ELNS1_3gpuE0ELNS1_3repE0EEENS1_30default_config_static_selectorELNS0_4arch9wavefront6targetE0EEEvSR_.num_named_barrier, 0
	.set _ZN7rocprim17ROCPRIM_400000_NS6detail17trampoline_kernelINS0_14default_configENS1_32segmented_reduce_config_selectorIN3c104HalfEEEZNS1_21segmented_reduce_implIS3_PKS6_PS6_PKiS6_N6hipcub16HIPCUB_304000_NS6detail27convert_result_type_wrapperISA_SB_N2at6native12_GLOBAL__N_19CustomSumEEEEE10hipError_tPvRmT0_T1_jT2_SS_T4_T3_P12ihipStream_tbEUlT_E_NS1_11comp_targetILNS1_3genE0ELNS1_11target_archE4294967295ELNS1_3gpuE0ELNS1_3repE0EEENS1_30default_config_static_selectorELNS0_4arch9wavefront6targetE0EEEvSR_.private_seg_size, 0
	.set _ZN7rocprim17ROCPRIM_400000_NS6detail17trampoline_kernelINS0_14default_configENS1_32segmented_reduce_config_selectorIN3c104HalfEEEZNS1_21segmented_reduce_implIS3_PKS6_PS6_PKiS6_N6hipcub16HIPCUB_304000_NS6detail27convert_result_type_wrapperISA_SB_N2at6native12_GLOBAL__N_19CustomSumEEEEE10hipError_tPvRmT0_T1_jT2_SS_T4_T3_P12ihipStream_tbEUlT_E_NS1_11comp_targetILNS1_3genE0ELNS1_11target_archE4294967295ELNS1_3gpuE0ELNS1_3repE0EEENS1_30default_config_static_selectorELNS0_4arch9wavefront6targetE0EEEvSR_.uses_vcc, 0
	.set _ZN7rocprim17ROCPRIM_400000_NS6detail17trampoline_kernelINS0_14default_configENS1_32segmented_reduce_config_selectorIN3c104HalfEEEZNS1_21segmented_reduce_implIS3_PKS6_PS6_PKiS6_N6hipcub16HIPCUB_304000_NS6detail27convert_result_type_wrapperISA_SB_N2at6native12_GLOBAL__N_19CustomSumEEEEE10hipError_tPvRmT0_T1_jT2_SS_T4_T3_P12ihipStream_tbEUlT_E_NS1_11comp_targetILNS1_3genE0ELNS1_11target_archE4294967295ELNS1_3gpuE0ELNS1_3repE0EEENS1_30default_config_static_selectorELNS0_4arch9wavefront6targetE0EEEvSR_.uses_flat_scratch, 0
	.set _ZN7rocprim17ROCPRIM_400000_NS6detail17trampoline_kernelINS0_14default_configENS1_32segmented_reduce_config_selectorIN3c104HalfEEEZNS1_21segmented_reduce_implIS3_PKS6_PS6_PKiS6_N6hipcub16HIPCUB_304000_NS6detail27convert_result_type_wrapperISA_SB_N2at6native12_GLOBAL__N_19CustomSumEEEEE10hipError_tPvRmT0_T1_jT2_SS_T4_T3_P12ihipStream_tbEUlT_E_NS1_11comp_targetILNS1_3genE0ELNS1_11target_archE4294967295ELNS1_3gpuE0ELNS1_3repE0EEENS1_30default_config_static_selectorELNS0_4arch9wavefront6targetE0EEEvSR_.has_dyn_sized_stack, 0
	.set _ZN7rocprim17ROCPRIM_400000_NS6detail17trampoline_kernelINS0_14default_configENS1_32segmented_reduce_config_selectorIN3c104HalfEEEZNS1_21segmented_reduce_implIS3_PKS6_PS6_PKiS6_N6hipcub16HIPCUB_304000_NS6detail27convert_result_type_wrapperISA_SB_N2at6native12_GLOBAL__N_19CustomSumEEEEE10hipError_tPvRmT0_T1_jT2_SS_T4_T3_P12ihipStream_tbEUlT_E_NS1_11comp_targetILNS1_3genE0ELNS1_11target_archE4294967295ELNS1_3gpuE0ELNS1_3repE0EEENS1_30default_config_static_selectorELNS0_4arch9wavefront6targetE0EEEvSR_.has_recursion, 0
	.set _ZN7rocprim17ROCPRIM_400000_NS6detail17trampoline_kernelINS0_14default_configENS1_32segmented_reduce_config_selectorIN3c104HalfEEEZNS1_21segmented_reduce_implIS3_PKS6_PS6_PKiS6_N6hipcub16HIPCUB_304000_NS6detail27convert_result_type_wrapperISA_SB_N2at6native12_GLOBAL__N_19CustomSumEEEEE10hipError_tPvRmT0_T1_jT2_SS_T4_T3_P12ihipStream_tbEUlT_E_NS1_11comp_targetILNS1_3genE0ELNS1_11target_archE4294967295ELNS1_3gpuE0ELNS1_3repE0EEENS1_30default_config_static_selectorELNS0_4arch9wavefront6targetE0EEEvSR_.has_indirect_call, 0
	.section	.AMDGPU.csdata,"",@progbits
; Kernel info:
; codeLenInByte = 0
; TotalNumSgprs: 0
; NumVgprs: 0
; ScratchSize: 0
; MemoryBound: 0
; FloatMode: 240
; IeeeMode: 1
; LDSByteSize: 0 bytes/workgroup (compile time only)
; SGPRBlocks: 0
; VGPRBlocks: 0
; NumSGPRsForWavesPerEU: 1
; NumVGPRsForWavesPerEU: 1
; Occupancy: 16
; WaveLimiterHint : 0
; COMPUTE_PGM_RSRC2:SCRATCH_EN: 0
; COMPUTE_PGM_RSRC2:USER_SGPR: 6
; COMPUTE_PGM_RSRC2:TRAP_HANDLER: 0
; COMPUTE_PGM_RSRC2:TGID_X_EN: 1
; COMPUTE_PGM_RSRC2:TGID_Y_EN: 0
; COMPUTE_PGM_RSRC2:TGID_Z_EN: 0
; COMPUTE_PGM_RSRC2:TIDIG_COMP_CNT: 0
	.section	.text._ZN7rocprim17ROCPRIM_400000_NS6detail17trampoline_kernelINS0_14default_configENS1_32segmented_reduce_config_selectorIN3c104HalfEEEZNS1_21segmented_reduce_implIS3_PKS6_PS6_PKiS6_N6hipcub16HIPCUB_304000_NS6detail27convert_result_type_wrapperISA_SB_N2at6native12_GLOBAL__N_19CustomSumEEEEE10hipError_tPvRmT0_T1_jT2_SS_T4_T3_P12ihipStream_tbEUlT_E_NS1_11comp_targetILNS1_3genE5ELNS1_11target_archE942ELNS1_3gpuE9ELNS1_3repE0EEENS1_30default_config_static_selectorELNS0_4arch9wavefront6targetE0EEEvSR_,"axG",@progbits,_ZN7rocprim17ROCPRIM_400000_NS6detail17trampoline_kernelINS0_14default_configENS1_32segmented_reduce_config_selectorIN3c104HalfEEEZNS1_21segmented_reduce_implIS3_PKS6_PS6_PKiS6_N6hipcub16HIPCUB_304000_NS6detail27convert_result_type_wrapperISA_SB_N2at6native12_GLOBAL__N_19CustomSumEEEEE10hipError_tPvRmT0_T1_jT2_SS_T4_T3_P12ihipStream_tbEUlT_E_NS1_11comp_targetILNS1_3genE5ELNS1_11target_archE942ELNS1_3gpuE9ELNS1_3repE0EEENS1_30default_config_static_selectorELNS0_4arch9wavefront6targetE0EEEvSR_,comdat
	.globl	_ZN7rocprim17ROCPRIM_400000_NS6detail17trampoline_kernelINS0_14default_configENS1_32segmented_reduce_config_selectorIN3c104HalfEEEZNS1_21segmented_reduce_implIS3_PKS6_PS6_PKiS6_N6hipcub16HIPCUB_304000_NS6detail27convert_result_type_wrapperISA_SB_N2at6native12_GLOBAL__N_19CustomSumEEEEE10hipError_tPvRmT0_T1_jT2_SS_T4_T3_P12ihipStream_tbEUlT_E_NS1_11comp_targetILNS1_3genE5ELNS1_11target_archE942ELNS1_3gpuE9ELNS1_3repE0EEENS1_30default_config_static_selectorELNS0_4arch9wavefront6targetE0EEEvSR_ ; -- Begin function _ZN7rocprim17ROCPRIM_400000_NS6detail17trampoline_kernelINS0_14default_configENS1_32segmented_reduce_config_selectorIN3c104HalfEEEZNS1_21segmented_reduce_implIS3_PKS6_PS6_PKiS6_N6hipcub16HIPCUB_304000_NS6detail27convert_result_type_wrapperISA_SB_N2at6native12_GLOBAL__N_19CustomSumEEEEE10hipError_tPvRmT0_T1_jT2_SS_T4_T3_P12ihipStream_tbEUlT_E_NS1_11comp_targetILNS1_3genE5ELNS1_11target_archE942ELNS1_3gpuE9ELNS1_3repE0EEENS1_30default_config_static_selectorELNS0_4arch9wavefront6targetE0EEEvSR_
	.p2align	8
	.type	_ZN7rocprim17ROCPRIM_400000_NS6detail17trampoline_kernelINS0_14default_configENS1_32segmented_reduce_config_selectorIN3c104HalfEEEZNS1_21segmented_reduce_implIS3_PKS6_PS6_PKiS6_N6hipcub16HIPCUB_304000_NS6detail27convert_result_type_wrapperISA_SB_N2at6native12_GLOBAL__N_19CustomSumEEEEE10hipError_tPvRmT0_T1_jT2_SS_T4_T3_P12ihipStream_tbEUlT_E_NS1_11comp_targetILNS1_3genE5ELNS1_11target_archE942ELNS1_3gpuE9ELNS1_3repE0EEENS1_30default_config_static_selectorELNS0_4arch9wavefront6targetE0EEEvSR_,@function
_ZN7rocprim17ROCPRIM_400000_NS6detail17trampoline_kernelINS0_14default_configENS1_32segmented_reduce_config_selectorIN3c104HalfEEEZNS1_21segmented_reduce_implIS3_PKS6_PS6_PKiS6_N6hipcub16HIPCUB_304000_NS6detail27convert_result_type_wrapperISA_SB_N2at6native12_GLOBAL__N_19CustomSumEEEEE10hipError_tPvRmT0_T1_jT2_SS_T4_T3_P12ihipStream_tbEUlT_E_NS1_11comp_targetILNS1_3genE5ELNS1_11target_archE942ELNS1_3gpuE9ELNS1_3repE0EEENS1_30default_config_static_selectorELNS0_4arch9wavefront6targetE0EEEvSR_: ; @_ZN7rocprim17ROCPRIM_400000_NS6detail17trampoline_kernelINS0_14default_configENS1_32segmented_reduce_config_selectorIN3c104HalfEEEZNS1_21segmented_reduce_implIS3_PKS6_PS6_PKiS6_N6hipcub16HIPCUB_304000_NS6detail27convert_result_type_wrapperISA_SB_N2at6native12_GLOBAL__N_19CustomSumEEEEE10hipError_tPvRmT0_T1_jT2_SS_T4_T3_P12ihipStream_tbEUlT_E_NS1_11comp_targetILNS1_3genE5ELNS1_11target_archE942ELNS1_3gpuE9ELNS1_3repE0EEENS1_30default_config_static_selectorELNS0_4arch9wavefront6targetE0EEEvSR_
; %bb.0:
	.section	.rodata,"a",@progbits
	.p2align	6, 0x0
	.amdhsa_kernel _ZN7rocprim17ROCPRIM_400000_NS6detail17trampoline_kernelINS0_14default_configENS1_32segmented_reduce_config_selectorIN3c104HalfEEEZNS1_21segmented_reduce_implIS3_PKS6_PS6_PKiS6_N6hipcub16HIPCUB_304000_NS6detail27convert_result_type_wrapperISA_SB_N2at6native12_GLOBAL__N_19CustomSumEEEEE10hipError_tPvRmT0_T1_jT2_SS_T4_T3_P12ihipStream_tbEUlT_E_NS1_11comp_targetILNS1_3genE5ELNS1_11target_archE942ELNS1_3gpuE9ELNS1_3repE0EEENS1_30default_config_static_selectorELNS0_4arch9wavefront6targetE0EEEvSR_
		.amdhsa_group_segment_fixed_size 0
		.amdhsa_private_segment_fixed_size 0
		.amdhsa_kernarg_size 48
		.amdhsa_user_sgpr_count 6
		.amdhsa_user_sgpr_private_segment_buffer 1
		.amdhsa_user_sgpr_dispatch_ptr 0
		.amdhsa_user_sgpr_queue_ptr 0
		.amdhsa_user_sgpr_kernarg_segment_ptr 1
		.amdhsa_user_sgpr_dispatch_id 0
		.amdhsa_user_sgpr_flat_scratch_init 0
		.amdhsa_user_sgpr_private_segment_size 0
		.amdhsa_wavefront_size32 1
		.amdhsa_uses_dynamic_stack 0
		.amdhsa_system_sgpr_private_segment_wavefront_offset 0
		.amdhsa_system_sgpr_workgroup_id_x 1
		.amdhsa_system_sgpr_workgroup_id_y 0
		.amdhsa_system_sgpr_workgroup_id_z 0
		.amdhsa_system_sgpr_workgroup_info 0
		.amdhsa_system_vgpr_workitem_id 0
		.amdhsa_next_free_vgpr 1
		.amdhsa_next_free_sgpr 1
		.amdhsa_reserve_vcc 0
		.amdhsa_reserve_flat_scratch 0
		.amdhsa_float_round_mode_32 0
		.amdhsa_float_round_mode_16_64 0
		.amdhsa_float_denorm_mode_32 3
		.amdhsa_float_denorm_mode_16_64 3
		.amdhsa_dx10_clamp 1
		.amdhsa_ieee_mode 1
		.amdhsa_fp16_overflow 0
		.amdhsa_workgroup_processor_mode 1
		.amdhsa_memory_ordered 1
		.amdhsa_forward_progress 1
		.amdhsa_shared_vgpr_count 0
		.amdhsa_exception_fp_ieee_invalid_op 0
		.amdhsa_exception_fp_denorm_src 0
		.amdhsa_exception_fp_ieee_div_zero 0
		.amdhsa_exception_fp_ieee_overflow 0
		.amdhsa_exception_fp_ieee_underflow 0
		.amdhsa_exception_fp_ieee_inexact 0
		.amdhsa_exception_int_div_zero 0
	.end_amdhsa_kernel
	.section	.text._ZN7rocprim17ROCPRIM_400000_NS6detail17trampoline_kernelINS0_14default_configENS1_32segmented_reduce_config_selectorIN3c104HalfEEEZNS1_21segmented_reduce_implIS3_PKS6_PS6_PKiS6_N6hipcub16HIPCUB_304000_NS6detail27convert_result_type_wrapperISA_SB_N2at6native12_GLOBAL__N_19CustomSumEEEEE10hipError_tPvRmT0_T1_jT2_SS_T4_T3_P12ihipStream_tbEUlT_E_NS1_11comp_targetILNS1_3genE5ELNS1_11target_archE942ELNS1_3gpuE9ELNS1_3repE0EEENS1_30default_config_static_selectorELNS0_4arch9wavefront6targetE0EEEvSR_,"axG",@progbits,_ZN7rocprim17ROCPRIM_400000_NS6detail17trampoline_kernelINS0_14default_configENS1_32segmented_reduce_config_selectorIN3c104HalfEEEZNS1_21segmented_reduce_implIS3_PKS6_PS6_PKiS6_N6hipcub16HIPCUB_304000_NS6detail27convert_result_type_wrapperISA_SB_N2at6native12_GLOBAL__N_19CustomSumEEEEE10hipError_tPvRmT0_T1_jT2_SS_T4_T3_P12ihipStream_tbEUlT_E_NS1_11comp_targetILNS1_3genE5ELNS1_11target_archE942ELNS1_3gpuE9ELNS1_3repE0EEENS1_30default_config_static_selectorELNS0_4arch9wavefront6targetE0EEEvSR_,comdat
.Lfunc_end86:
	.size	_ZN7rocprim17ROCPRIM_400000_NS6detail17trampoline_kernelINS0_14default_configENS1_32segmented_reduce_config_selectorIN3c104HalfEEEZNS1_21segmented_reduce_implIS3_PKS6_PS6_PKiS6_N6hipcub16HIPCUB_304000_NS6detail27convert_result_type_wrapperISA_SB_N2at6native12_GLOBAL__N_19CustomSumEEEEE10hipError_tPvRmT0_T1_jT2_SS_T4_T3_P12ihipStream_tbEUlT_E_NS1_11comp_targetILNS1_3genE5ELNS1_11target_archE942ELNS1_3gpuE9ELNS1_3repE0EEENS1_30default_config_static_selectorELNS0_4arch9wavefront6targetE0EEEvSR_, .Lfunc_end86-_ZN7rocprim17ROCPRIM_400000_NS6detail17trampoline_kernelINS0_14default_configENS1_32segmented_reduce_config_selectorIN3c104HalfEEEZNS1_21segmented_reduce_implIS3_PKS6_PS6_PKiS6_N6hipcub16HIPCUB_304000_NS6detail27convert_result_type_wrapperISA_SB_N2at6native12_GLOBAL__N_19CustomSumEEEEE10hipError_tPvRmT0_T1_jT2_SS_T4_T3_P12ihipStream_tbEUlT_E_NS1_11comp_targetILNS1_3genE5ELNS1_11target_archE942ELNS1_3gpuE9ELNS1_3repE0EEENS1_30default_config_static_selectorELNS0_4arch9wavefront6targetE0EEEvSR_
                                        ; -- End function
	.set _ZN7rocprim17ROCPRIM_400000_NS6detail17trampoline_kernelINS0_14default_configENS1_32segmented_reduce_config_selectorIN3c104HalfEEEZNS1_21segmented_reduce_implIS3_PKS6_PS6_PKiS6_N6hipcub16HIPCUB_304000_NS6detail27convert_result_type_wrapperISA_SB_N2at6native12_GLOBAL__N_19CustomSumEEEEE10hipError_tPvRmT0_T1_jT2_SS_T4_T3_P12ihipStream_tbEUlT_E_NS1_11comp_targetILNS1_3genE5ELNS1_11target_archE942ELNS1_3gpuE9ELNS1_3repE0EEENS1_30default_config_static_selectorELNS0_4arch9wavefront6targetE0EEEvSR_.num_vgpr, 0
	.set _ZN7rocprim17ROCPRIM_400000_NS6detail17trampoline_kernelINS0_14default_configENS1_32segmented_reduce_config_selectorIN3c104HalfEEEZNS1_21segmented_reduce_implIS3_PKS6_PS6_PKiS6_N6hipcub16HIPCUB_304000_NS6detail27convert_result_type_wrapperISA_SB_N2at6native12_GLOBAL__N_19CustomSumEEEEE10hipError_tPvRmT0_T1_jT2_SS_T4_T3_P12ihipStream_tbEUlT_E_NS1_11comp_targetILNS1_3genE5ELNS1_11target_archE942ELNS1_3gpuE9ELNS1_3repE0EEENS1_30default_config_static_selectorELNS0_4arch9wavefront6targetE0EEEvSR_.num_agpr, 0
	.set _ZN7rocprim17ROCPRIM_400000_NS6detail17trampoline_kernelINS0_14default_configENS1_32segmented_reduce_config_selectorIN3c104HalfEEEZNS1_21segmented_reduce_implIS3_PKS6_PS6_PKiS6_N6hipcub16HIPCUB_304000_NS6detail27convert_result_type_wrapperISA_SB_N2at6native12_GLOBAL__N_19CustomSumEEEEE10hipError_tPvRmT0_T1_jT2_SS_T4_T3_P12ihipStream_tbEUlT_E_NS1_11comp_targetILNS1_3genE5ELNS1_11target_archE942ELNS1_3gpuE9ELNS1_3repE0EEENS1_30default_config_static_selectorELNS0_4arch9wavefront6targetE0EEEvSR_.numbered_sgpr, 0
	.set _ZN7rocprim17ROCPRIM_400000_NS6detail17trampoline_kernelINS0_14default_configENS1_32segmented_reduce_config_selectorIN3c104HalfEEEZNS1_21segmented_reduce_implIS3_PKS6_PS6_PKiS6_N6hipcub16HIPCUB_304000_NS6detail27convert_result_type_wrapperISA_SB_N2at6native12_GLOBAL__N_19CustomSumEEEEE10hipError_tPvRmT0_T1_jT2_SS_T4_T3_P12ihipStream_tbEUlT_E_NS1_11comp_targetILNS1_3genE5ELNS1_11target_archE942ELNS1_3gpuE9ELNS1_3repE0EEENS1_30default_config_static_selectorELNS0_4arch9wavefront6targetE0EEEvSR_.num_named_barrier, 0
	.set _ZN7rocprim17ROCPRIM_400000_NS6detail17trampoline_kernelINS0_14default_configENS1_32segmented_reduce_config_selectorIN3c104HalfEEEZNS1_21segmented_reduce_implIS3_PKS6_PS6_PKiS6_N6hipcub16HIPCUB_304000_NS6detail27convert_result_type_wrapperISA_SB_N2at6native12_GLOBAL__N_19CustomSumEEEEE10hipError_tPvRmT0_T1_jT2_SS_T4_T3_P12ihipStream_tbEUlT_E_NS1_11comp_targetILNS1_3genE5ELNS1_11target_archE942ELNS1_3gpuE9ELNS1_3repE0EEENS1_30default_config_static_selectorELNS0_4arch9wavefront6targetE0EEEvSR_.private_seg_size, 0
	.set _ZN7rocprim17ROCPRIM_400000_NS6detail17trampoline_kernelINS0_14default_configENS1_32segmented_reduce_config_selectorIN3c104HalfEEEZNS1_21segmented_reduce_implIS3_PKS6_PS6_PKiS6_N6hipcub16HIPCUB_304000_NS6detail27convert_result_type_wrapperISA_SB_N2at6native12_GLOBAL__N_19CustomSumEEEEE10hipError_tPvRmT0_T1_jT2_SS_T4_T3_P12ihipStream_tbEUlT_E_NS1_11comp_targetILNS1_3genE5ELNS1_11target_archE942ELNS1_3gpuE9ELNS1_3repE0EEENS1_30default_config_static_selectorELNS0_4arch9wavefront6targetE0EEEvSR_.uses_vcc, 0
	.set _ZN7rocprim17ROCPRIM_400000_NS6detail17trampoline_kernelINS0_14default_configENS1_32segmented_reduce_config_selectorIN3c104HalfEEEZNS1_21segmented_reduce_implIS3_PKS6_PS6_PKiS6_N6hipcub16HIPCUB_304000_NS6detail27convert_result_type_wrapperISA_SB_N2at6native12_GLOBAL__N_19CustomSumEEEEE10hipError_tPvRmT0_T1_jT2_SS_T4_T3_P12ihipStream_tbEUlT_E_NS1_11comp_targetILNS1_3genE5ELNS1_11target_archE942ELNS1_3gpuE9ELNS1_3repE0EEENS1_30default_config_static_selectorELNS0_4arch9wavefront6targetE0EEEvSR_.uses_flat_scratch, 0
	.set _ZN7rocprim17ROCPRIM_400000_NS6detail17trampoline_kernelINS0_14default_configENS1_32segmented_reduce_config_selectorIN3c104HalfEEEZNS1_21segmented_reduce_implIS3_PKS6_PS6_PKiS6_N6hipcub16HIPCUB_304000_NS6detail27convert_result_type_wrapperISA_SB_N2at6native12_GLOBAL__N_19CustomSumEEEEE10hipError_tPvRmT0_T1_jT2_SS_T4_T3_P12ihipStream_tbEUlT_E_NS1_11comp_targetILNS1_3genE5ELNS1_11target_archE942ELNS1_3gpuE9ELNS1_3repE0EEENS1_30default_config_static_selectorELNS0_4arch9wavefront6targetE0EEEvSR_.has_dyn_sized_stack, 0
	.set _ZN7rocprim17ROCPRIM_400000_NS6detail17trampoline_kernelINS0_14default_configENS1_32segmented_reduce_config_selectorIN3c104HalfEEEZNS1_21segmented_reduce_implIS3_PKS6_PS6_PKiS6_N6hipcub16HIPCUB_304000_NS6detail27convert_result_type_wrapperISA_SB_N2at6native12_GLOBAL__N_19CustomSumEEEEE10hipError_tPvRmT0_T1_jT2_SS_T4_T3_P12ihipStream_tbEUlT_E_NS1_11comp_targetILNS1_3genE5ELNS1_11target_archE942ELNS1_3gpuE9ELNS1_3repE0EEENS1_30default_config_static_selectorELNS0_4arch9wavefront6targetE0EEEvSR_.has_recursion, 0
	.set _ZN7rocprim17ROCPRIM_400000_NS6detail17trampoline_kernelINS0_14default_configENS1_32segmented_reduce_config_selectorIN3c104HalfEEEZNS1_21segmented_reduce_implIS3_PKS6_PS6_PKiS6_N6hipcub16HIPCUB_304000_NS6detail27convert_result_type_wrapperISA_SB_N2at6native12_GLOBAL__N_19CustomSumEEEEE10hipError_tPvRmT0_T1_jT2_SS_T4_T3_P12ihipStream_tbEUlT_E_NS1_11comp_targetILNS1_3genE5ELNS1_11target_archE942ELNS1_3gpuE9ELNS1_3repE0EEENS1_30default_config_static_selectorELNS0_4arch9wavefront6targetE0EEEvSR_.has_indirect_call, 0
	.section	.AMDGPU.csdata,"",@progbits
; Kernel info:
; codeLenInByte = 0
; TotalNumSgprs: 0
; NumVgprs: 0
; ScratchSize: 0
; MemoryBound: 0
; FloatMode: 240
; IeeeMode: 1
; LDSByteSize: 0 bytes/workgroup (compile time only)
; SGPRBlocks: 0
; VGPRBlocks: 0
; NumSGPRsForWavesPerEU: 1
; NumVGPRsForWavesPerEU: 1
; Occupancy: 16
; WaveLimiterHint : 0
; COMPUTE_PGM_RSRC2:SCRATCH_EN: 0
; COMPUTE_PGM_RSRC2:USER_SGPR: 6
; COMPUTE_PGM_RSRC2:TRAP_HANDLER: 0
; COMPUTE_PGM_RSRC2:TGID_X_EN: 1
; COMPUTE_PGM_RSRC2:TGID_Y_EN: 0
; COMPUTE_PGM_RSRC2:TGID_Z_EN: 0
; COMPUTE_PGM_RSRC2:TIDIG_COMP_CNT: 0
	.section	.text._ZN7rocprim17ROCPRIM_400000_NS6detail17trampoline_kernelINS0_14default_configENS1_32segmented_reduce_config_selectorIN3c104HalfEEEZNS1_21segmented_reduce_implIS3_PKS6_PS6_PKiS6_N6hipcub16HIPCUB_304000_NS6detail27convert_result_type_wrapperISA_SB_N2at6native12_GLOBAL__N_19CustomSumEEEEE10hipError_tPvRmT0_T1_jT2_SS_T4_T3_P12ihipStream_tbEUlT_E_NS1_11comp_targetILNS1_3genE10ELNS1_11target_archE1201ELNS1_3gpuE5ELNS1_3repE0EEENS1_30default_config_static_selectorELNS0_4arch9wavefront6targetE0EEEvSR_,"axG",@progbits,_ZN7rocprim17ROCPRIM_400000_NS6detail17trampoline_kernelINS0_14default_configENS1_32segmented_reduce_config_selectorIN3c104HalfEEEZNS1_21segmented_reduce_implIS3_PKS6_PS6_PKiS6_N6hipcub16HIPCUB_304000_NS6detail27convert_result_type_wrapperISA_SB_N2at6native12_GLOBAL__N_19CustomSumEEEEE10hipError_tPvRmT0_T1_jT2_SS_T4_T3_P12ihipStream_tbEUlT_E_NS1_11comp_targetILNS1_3genE10ELNS1_11target_archE1201ELNS1_3gpuE5ELNS1_3repE0EEENS1_30default_config_static_selectorELNS0_4arch9wavefront6targetE0EEEvSR_,comdat
	.globl	_ZN7rocprim17ROCPRIM_400000_NS6detail17trampoline_kernelINS0_14default_configENS1_32segmented_reduce_config_selectorIN3c104HalfEEEZNS1_21segmented_reduce_implIS3_PKS6_PS6_PKiS6_N6hipcub16HIPCUB_304000_NS6detail27convert_result_type_wrapperISA_SB_N2at6native12_GLOBAL__N_19CustomSumEEEEE10hipError_tPvRmT0_T1_jT2_SS_T4_T3_P12ihipStream_tbEUlT_E_NS1_11comp_targetILNS1_3genE10ELNS1_11target_archE1201ELNS1_3gpuE5ELNS1_3repE0EEENS1_30default_config_static_selectorELNS0_4arch9wavefront6targetE0EEEvSR_ ; -- Begin function _ZN7rocprim17ROCPRIM_400000_NS6detail17trampoline_kernelINS0_14default_configENS1_32segmented_reduce_config_selectorIN3c104HalfEEEZNS1_21segmented_reduce_implIS3_PKS6_PS6_PKiS6_N6hipcub16HIPCUB_304000_NS6detail27convert_result_type_wrapperISA_SB_N2at6native12_GLOBAL__N_19CustomSumEEEEE10hipError_tPvRmT0_T1_jT2_SS_T4_T3_P12ihipStream_tbEUlT_E_NS1_11comp_targetILNS1_3genE10ELNS1_11target_archE1201ELNS1_3gpuE5ELNS1_3repE0EEENS1_30default_config_static_selectorELNS0_4arch9wavefront6targetE0EEEvSR_
	.p2align	8
	.type	_ZN7rocprim17ROCPRIM_400000_NS6detail17trampoline_kernelINS0_14default_configENS1_32segmented_reduce_config_selectorIN3c104HalfEEEZNS1_21segmented_reduce_implIS3_PKS6_PS6_PKiS6_N6hipcub16HIPCUB_304000_NS6detail27convert_result_type_wrapperISA_SB_N2at6native12_GLOBAL__N_19CustomSumEEEEE10hipError_tPvRmT0_T1_jT2_SS_T4_T3_P12ihipStream_tbEUlT_E_NS1_11comp_targetILNS1_3genE10ELNS1_11target_archE1201ELNS1_3gpuE5ELNS1_3repE0EEENS1_30default_config_static_selectorELNS0_4arch9wavefront6targetE0EEEvSR_,@function
_ZN7rocprim17ROCPRIM_400000_NS6detail17trampoline_kernelINS0_14default_configENS1_32segmented_reduce_config_selectorIN3c104HalfEEEZNS1_21segmented_reduce_implIS3_PKS6_PS6_PKiS6_N6hipcub16HIPCUB_304000_NS6detail27convert_result_type_wrapperISA_SB_N2at6native12_GLOBAL__N_19CustomSumEEEEE10hipError_tPvRmT0_T1_jT2_SS_T4_T3_P12ihipStream_tbEUlT_E_NS1_11comp_targetILNS1_3genE10ELNS1_11target_archE1201ELNS1_3gpuE5ELNS1_3repE0EEENS1_30default_config_static_selectorELNS0_4arch9wavefront6targetE0EEEvSR_: ; @_ZN7rocprim17ROCPRIM_400000_NS6detail17trampoline_kernelINS0_14default_configENS1_32segmented_reduce_config_selectorIN3c104HalfEEEZNS1_21segmented_reduce_implIS3_PKS6_PS6_PKiS6_N6hipcub16HIPCUB_304000_NS6detail27convert_result_type_wrapperISA_SB_N2at6native12_GLOBAL__N_19CustomSumEEEEE10hipError_tPvRmT0_T1_jT2_SS_T4_T3_P12ihipStream_tbEUlT_E_NS1_11comp_targetILNS1_3genE10ELNS1_11target_archE1201ELNS1_3gpuE5ELNS1_3repE0EEENS1_30default_config_static_selectorELNS0_4arch9wavefront6targetE0EEEvSR_
; %bb.0:
	.section	.rodata,"a",@progbits
	.p2align	6, 0x0
	.amdhsa_kernel _ZN7rocprim17ROCPRIM_400000_NS6detail17trampoline_kernelINS0_14default_configENS1_32segmented_reduce_config_selectorIN3c104HalfEEEZNS1_21segmented_reduce_implIS3_PKS6_PS6_PKiS6_N6hipcub16HIPCUB_304000_NS6detail27convert_result_type_wrapperISA_SB_N2at6native12_GLOBAL__N_19CustomSumEEEEE10hipError_tPvRmT0_T1_jT2_SS_T4_T3_P12ihipStream_tbEUlT_E_NS1_11comp_targetILNS1_3genE10ELNS1_11target_archE1201ELNS1_3gpuE5ELNS1_3repE0EEENS1_30default_config_static_selectorELNS0_4arch9wavefront6targetE0EEEvSR_
		.amdhsa_group_segment_fixed_size 0
		.amdhsa_private_segment_fixed_size 0
		.amdhsa_kernarg_size 48
		.amdhsa_user_sgpr_count 6
		.amdhsa_user_sgpr_private_segment_buffer 1
		.amdhsa_user_sgpr_dispatch_ptr 0
		.amdhsa_user_sgpr_queue_ptr 0
		.amdhsa_user_sgpr_kernarg_segment_ptr 1
		.amdhsa_user_sgpr_dispatch_id 0
		.amdhsa_user_sgpr_flat_scratch_init 0
		.amdhsa_user_sgpr_private_segment_size 0
		.amdhsa_wavefront_size32 1
		.amdhsa_uses_dynamic_stack 0
		.amdhsa_system_sgpr_private_segment_wavefront_offset 0
		.amdhsa_system_sgpr_workgroup_id_x 1
		.amdhsa_system_sgpr_workgroup_id_y 0
		.amdhsa_system_sgpr_workgroup_id_z 0
		.amdhsa_system_sgpr_workgroup_info 0
		.amdhsa_system_vgpr_workitem_id 0
		.amdhsa_next_free_vgpr 1
		.amdhsa_next_free_sgpr 1
		.amdhsa_reserve_vcc 0
		.amdhsa_reserve_flat_scratch 0
		.amdhsa_float_round_mode_32 0
		.amdhsa_float_round_mode_16_64 0
		.amdhsa_float_denorm_mode_32 3
		.amdhsa_float_denorm_mode_16_64 3
		.amdhsa_dx10_clamp 1
		.amdhsa_ieee_mode 1
		.amdhsa_fp16_overflow 0
		.amdhsa_workgroup_processor_mode 1
		.amdhsa_memory_ordered 1
		.amdhsa_forward_progress 1
		.amdhsa_shared_vgpr_count 0
		.amdhsa_exception_fp_ieee_invalid_op 0
		.amdhsa_exception_fp_denorm_src 0
		.amdhsa_exception_fp_ieee_div_zero 0
		.amdhsa_exception_fp_ieee_overflow 0
		.amdhsa_exception_fp_ieee_underflow 0
		.amdhsa_exception_fp_ieee_inexact 0
		.amdhsa_exception_int_div_zero 0
	.end_amdhsa_kernel
	.section	.text._ZN7rocprim17ROCPRIM_400000_NS6detail17trampoline_kernelINS0_14default_configENS1_32segmented_reduce_config_selectorIN3c104HalfEEEZNS1_21segmented_reduce_implIS3_PKS6_PS6_PKiS6_N6hipcub16HIPCUB_304000_NS6detail27convert_result_type_wrapperISA_SB_N2at6native12_GLOBAL__N_19CustomSumEEEEE10hipError_tPvRmT0_T1_jT2_SS_T4_T3_P12ihipStream_tbEUlT_E_NS1_11comp_targetILNS1_3genE10ELNS1_11target_archE1201ELNS1_3gpuE5ELNS1_3repE0EEENS1_30default_config_static_selectorELNS0_4arch9wavefront6targetE0EEEvSR_,"axG",@progbits,_ZN7rocprim17ROCPRIM_400000_NS6detail17trampoline_kernelINS0_14default_configENS1_32segmented_reduce_config_selectorIN3c104HalfEEEZNS1_21segmented_reduce_implIS3_PKS6_PS6_PKiS6_N6hipcub16HIPCUB_304000_NS6detail27convert_result_type_wrapperISA_SB_N2at6native12_GLOBAL__N_19CustomSumEEEEE10hipError_tPvRmT0_T1_jT2_SS_T4_T3_P12ihipStream_tbEUlT_E_NS1_11comp_targetILNS1_3genE10ELNS1_11target_archE1201ELNS1_3gpuE5ELNS1_3repE0EEENS1_30default_config_static_selectorELNS0_4arch9wavefront6targetE0EEEvSR_,comdat
.Lfunc_end87:
	.size	_ZN7rocprim17ROCPRIM_400000_NS6detail17trampoline_kernelINS0_14default_configENS1_32segmented_reduce_config_selectorIN3c104HalfEEEZNS1_21segmented_reduce_implIS3_PKS6_PS6_PKiS6_N6hipcub16HIPCUB_304000_NS6detail27convert_result_type_wrapperISA_SB_N2at6native12_GLOBAL__N_19CustomSumEEEEE10hipError_tPvRmT0_T1_jT2_SS_T4_T3_P12ihipStream_tbEUlT_E_NS1_11comp_targetILNS1_3genE10ELNS1_11target_archE1201ELNS1_3gpuE5ELNS1_3repE0EEENS1_30default_config_static_selectorELNS0_4arch9wavefront6targetE0EEEvSR_, .Lfunc_end87-_ZN7rocprim17ROCPRIM_400000_NS6detail17trampoline_kernelINS0_14default_configENS1_32segmented_reduce_config_selectorIN3c104HalfEEEZNS1_21segmented_reduce_implIS3_PKS6_PS6_PKiS6_N6hipcub16HIPCUB_304000_NS6detail27convert_result_type_wrapperISA_SB_N2at6native12_GLOBAL__N_19CustomSumEEEEE10hipError_tPvRmT0_T1_jT2_SS_T4_T3_P12ihipStream_tbEUlT_E_NS1_11comp_targetILNS1_3genE10ELNS1_11target_archE1201ELNS1_3gpuE5ELNS1_3repE0EEENS1_30default_config_static_selectorELNS0_4arch9wavefront6targetE0EEEvSR_
                                        ; -- End function
	.set _ZN7rocprim17ROCPRIM_400000_NS6detail17trampoline_kernelINS0_14default_configENS1_32segmented_reduce_config_selectorIN3c104HalfEEEZNS1_21segmented_reduce_implIS3_PKS6_PS6_PKiS6_N6hipcub16HIPCUB_304000_NS6detail27convert_result_type_wrapperISA_SB_N2at6native12_GLOBAL__N_19CustomSumEEEEE10hipError_tPvRmT0_T1_jT2_SS_T4_T3_P12ihipStream_tbEUlT_E_NS1_11comp_targetILNS1_3genE10ELNS1_11target_archE1201ELNS1_3gpuE5ELNS1_3repE0EEENS1_30default_config_static_selectorELNS0_4arch9wavefront6targetE0EEEvSR_.num_vgpr, 0
	.set _ZN7rocprim17ROCPRIM_400000_NS6detail17trampoline_kernelINS0_14default_configENS1_32segmented_reduce_config_selectorIN3c104HalfEEEZNS1_21segmented_reduce_implIS3_PKS6_PS6_PKiS6_N6hipcub16HIPCUB_304000_NS6detail27convert_result_type_wrapperISA_SB_N2at6native12_GLOBAL__N_19CustomSumEEEEE10hipError_tPvRmT0_T1_jT2_SS_T4_T3_P12ihipStream_tbEUlT_E_NS1_11comp_targetILNS1_3genE10ELNS1_11target_archE1201ELNS1_3gpuE5ELNS1_3repE0EEENS1_30default_config_static_selectorELNS0_4arch9wavefront6targetE0EEEvSR_.num_agpr, 0
	.set _ZN7rocprim17ROCPRIM_400000_NS6detail17trampoline_kernelINS0_14default_configENS1_32segmented_reduce_config_selectorIN3c104HalfEEEZNS1_21segmented_reduce_implIS3_PKS6_PS6_PKiS6_N6hipcub16HIPCUB_304000_NS6detail27convert_result_type_wrapperISA_SB_N2at6native12_GLOBAL__N_19CustomSumEEEEE10hipError_tPvRmT0_T1_jT2_SS_T4_T3_P12ihipStream_tbEUlT_E_NS1_11comp_targetILNS1_3genE10ELNS1_11target_archE1201ELNS1_3gpuE5ELNS1_3repE0EEENS1_30default_config_static_selectorELNS0_4arch9wavefront6targetE0EEEvSR_.numbered_sgpr, 0
	.set _ZN7rocprim17ROCPRIM_400000_NS6detail17trampoline_kernelINS0_14default_configENS1_32segmented_reduce_config_selectorIN3c104HalfEEEZNS1_21segmented_reduce_implIS3_PKS6_PS6_PKiS6_N6hipcub16HIPCUB_304000_NS6detail27convert_result_type_wrapperISA_SB_N2at6native12_GLOBAL__N_19CustomSumEEEEE10hipError_tPvRmT0_T1_jT2_SS_T4_T3_P12ihipStream_tbEUlT_E_NS1_11comp_targetILNS1_3genE10ELNS1_11target_archE1201ELNS1_3gpuE5ELNS1_3repE0EEENS1_30default_config_static_selectorELNS0_4arch9wavefront6targetE0EEEvSR_.num_named_barrier, 0
	.set _ZN7rocprim17ROCPRIM_400000_NS6detail17trampoline_kernelINS0_14default_configENS1_32segmented_reduce_config_selectorIN3c104HalfEEEZNS1_21segmented_reduce_implIS3_PKS6_PS6_PKiS6_N6hipcub16HIPCUB_304000_NS6detail27convert_result_type_wrapperISA_SB_N2at6native12_GLOBAL__N_19CustomSumEEEEE10hipError_tPvRmT0_T1_jT2_SS_T4_T3_P12ihipStream_tbEUlT_E_NS1_11comp_targetILNS1_3genE10ELNS1_11target_archE1201ELNS1_3gpuE5ELNS1_3repE0EEENS1_30default_config_static_selectorELNS0_4arch9wavefront6targetE0EEEvSR_.private_seg_size, 0
	.set _ZN7rocprim17ROCPRIM_400000_NS6detail17trampoline_kernelINS0_14default_configENS1_32segmented_reduce_config_selectorIN3c104HalfEEEZNS1_21segmented_reduce_implIS3_PKS6_PS6_PKiS6_N6hipcub16HIPCUB_304000_NS6detail27convert_result_type_wrapperISA_SB_N2at6native12_GLOBAL__N_19CustomSumEEEEE10hipError_tPvRmT0_T1_jT2_SS_T4_T3_P12ihipStream_tbEUlT_E_NS1_11comp_targetILNS1_3genE10ELNS1_11target_archE1201ELNS1_3gpuE5ELNS1_3repE0EEENS1_30default_config_static_selectorELNS0_4arch9wavefront6targetE0EEEvSR_.uses_vcc, 0
	.set _ZN7rocprim17ROCPRIM_400000_NS6detail17trampoline_kernelINS0_14default_configENS1_32segmented_reduce_config_selectorIN3c104HalfEEEZNS1_21segmented_reduce_implIS3_PKS6_PS6_PKiS6_N6hipcub16HIPCUB_304000_NS6detail27convert_result_type_wrapperISA_SB_N2at6native12_GLOBAL__N_19CustomSumEEEEE10hipError_tPvRmT0_T1_jT2_SS_T4_T3_P12ihipStream_tbEUlT_E_NS1_11comp_targetILNS1_3genE10ELNS1_11target_archE1201ELNS1_3gpuE5ELNS1_3repE0EEENS1_30default_config_static_selectorELNS0_4arch9wavefront6targetE0EEEvSR_.uses_flat_scratch, 0
	.set _ZN7rocprim17ROCPRIM_400000_NS6detail17trampoline_kernelINS0_14default_configENS1_32segmented_reduce_config_selectorIN3c104HalfEEEZNS1_21segmented_reduce_implIS3_PKS6_PS6_PKiS6_N6hipcub16HIPCUB_304000_NS6detail27convert_result_type_wrapperISA_SB_N2at6native12_GLOBAL__N_19CustomSumEEEEE10hipError_tPvRmT0_T1_jT2_SS_T4_T3_P12ihipStream_tbEUlT_E_NS1_11comp_targetILNS1_3genE10ELNS1_11target_archE1201ELNS1_3gpuE5ELNS1_3repE0EEENS1_30default_config_static_selectorELNS0_4arch9wavefront6targetE0EEEvSR_.has_dyn_sized_stack, 0
	.set _ZN7rocprim17ROCPRIM_400000_NS6detail17trampoline_kernelINS0_14default_configENS1_32segmented_reduce_config_selectorIN3c104HalfEEEZNS1_21segmented_reduce_implIS3_PKS6_PS6_PKiS6_N6hipcub16HIPCUB_304000_NS6detail27convert_result_type_wrapperISA_SB_N2at6native12_GLOBAL__N_19CustomSumEEEEE10hipError_tPvRmT0_T1_jT2_SS_T4_T3_P12ihipStream_tbEUlT_E_NS1_11comp_targetILNS1_3genE10ELNS1_11target_archE1201ELNS1_3gpuE5ELNS1_3repE0EEENS1_30default_config_static_selectorELNS0_4arch9wavefront6targetE0EEEvSR_.has_recursion, 0
	.set _ZN7rocprim17ROCPRIM_400000_NS6detail17trampoline_kernelINS0_14default_configENS1_32segmented_reduce_config_selectorIN3c104HalfEEEZNS1_21segmented_reduce_implIS3_PKS6_PS6_PKiS6_N6hipcub16HIPCUB_304000_NS6detail27convert_result_type_wrapperISA_SB_N2at6native12_GLOBAL__N_19CustomSumEEEEE10hipError_tPvRmT0_T1_jT2_SS_T4_T3_P12ihipStream_tbEUlT_E_NS1_11comp_targetILNS1_3genE10ELNS1_11target_archE1201ELNS1_3gpuE5ELNS1_3repE0EEENS1_30default_config_static_selectorELNS0_4arch9wavefront6targetE0EEEvSR_.has_indirect_call, 0
	.section	.AMDGPU.csdata,"",@progbits
; Kernel info:
; codeLenInByte = 0
; TotalNumSgprs: 0
; NumVgprs: 0
; ScratchSize: 0
; MemoryBound: 0
; FloatMode: 240
; IeeeMode: 1
; LDSByteSize: 0 bytes/workgroup (compile time only)
; SGPRBlocks: 0
; VGPRBlocks: 0
; NumSGPRsForWavesPerEU: 1
; NumVGPRsForWavesPerEU: 1
; Occupancy: 16
; WaveLimiterHint : 0
; COMPUTE_PGM_RSRC2:SCRATCH_EN: 0
; COMPUTE_PGM_RSRC2:USER_SGPR: 6
; COMPUTE_PGM_RSRC2:TRAP_HANDLER: 0
; COMPUTE_PGM_RSRC2:TGID_X_EN: 1
; COMPUTE_PGM_RSRC2:TGID_Y_EN: 0
; COMPUTE_PGM_RSRC2:TGID_Z_EN: 0
; COMPUTE_PGM_RSRC2:TIDIG_COMP_CNT: 0
	.section	.text._ZN7rocprim17ROCPRIM_400000_NS6detail17trampoline_kernelINS0_14default_configENS1_32segmented_reduce_config_selectorIN3c104HalfEEEZNS1_21segmented_reduce_implIS3_PKS6_PS6_PKiS6_N6hipcub16HIPCUB_304000_NS6detail27convert_result_type_wrapperISA_SB_N2at6native12_GLOBAL__N_19CustomSumEEEEE10hipError_tPvRmT0_T1_jT2_SS_T4_T3_P12ihipStream_tbEUlT_E_NS1_11comp_targetILNS1_3genE4ELNS1_11target_archE910ELNS1_3gpuE8ELNS1_3repE0EEENS1_30default_config_static_selectorELNS0_4arch9wavefront6targetE0EEEvSR_,"axG",@progbits,_ZN7rocprim17ROCPRIM_400000_NS6detail17trampoline_kernelINS0_14default_configENS1_32segmented_reduce_config_selectorIN3c104HalfEEEZNS1_21segmented_reduce_implIS3_PKS6_PS6_PKiS6_N6hipcub16HIPCUB_304000_NS6detail27convert_result_type_wrapperISA_SB_N2at6native12_GLOBAL__N_19CustomSumEEEEE10hipError_tPvRmT0_T1_jT2_SS_T4_T3_P12ihipStream_tbEUlT_E_NS1_11comp_targetILNS1_3genE4ELNS1_11target_archE910ELNS1_3gpuE8ELNS1_3repE0EEENS1_30default_config_static_selectorELNS0_4arch9wavefront6targetE0EEEvSR_,comdat
	.globl	_ZN7rocprim17ROCPRIM_400000_NS6detail17trampoline_kernelINS0_14default_configENS1_32segmented_reduce_config_selectorIN3c104HalfEEEZNS1_21segmented_reduce_implIS3_PKS6_PS6_PKiS6_N6hipcub16HIPCUB_304000_NS6detail27convert_result_type_wrapperISA_SB_N2at6native12_GLOBAL__N_19CustomSumEEEEE10hipError_tPvRmT0_T1_jT2_SS_T4_T3_P12ihipStream_tbEUlT_E_NS1_11comp_targetILNS1_3genE4ELNS1_11target_archE910ELNS1_3gpuE8ELNS1_3repE0EEENS1_30default_config_static_selectorELNS0_4arch9wavefront6targetE0EEEvSR_ ; -- Begin function _ZN7rocprim17ROCPRIM_400000_NS6detail17trampoline_kernelINS0_14default_configENS1_32segmented_reduce_config_selectorIN3c104HalfEEEZNS1_21segmented_reduce_implIS3_PKS6_PS6_PKiS6_N6hipcub16HIPCUB_304000_NS6detail27convert_result_type_wrapperISA_SB_N2at6native12_GLOBAL__N_19CustomSumEEEEE10hipError_tPvRmT0_T1_jT2_SS_T4_T3_P12ihipStream_tbEUlT_E_NS1_11comp_targetILNS1_3genE4ELNS1_11target_archE910ELNS1_3gpuE8ELNS1_3repE0EEENS1_30default_config_static_selectorELNS0_4arch9wavefront6targetE0EEEvSR_
	.p2align	8
	.type	_ZN7rocprim17ROCPRIM_400000_NS6detail17trampoline_kernelINS0_14default_configENS1_32segmented_reduce_config_selectorIN3c104HalfEEEZNS1_21segmented_reduce_implIS3_PKS6_PS6_PKiS6_N6hipcub16HIPCUB_304000_NS6detail27convert_result_type_wrapperISA_SB_N2at6native12_GLOBAL__N_19CustomSumEEEEE10hipError_tPvRmT0_T1_jT2_SS_T4_T3_P12ihipStream_tbEUlT_E_NS1_11comp_targetILNS1_3genE4ELNS1_11target_archE910ELNS1_3gpuE8ELNS1_3repE0EEENS1_30default_config_static_selectorELNS0_4arch9wavefront6targetE0EEEvSR_,@function
_ZN7rocprim17ROCPRIM_400000_NS6detail17trampoline_kernelINS0_14default_configENS1_32segmented_reduce_config_selectorIN3c104HalfEEEZNS1_21segmented_reduce_implIS3_PKS6_PS6_PKiS6_N6hipcub16HIPCUB_304000_NS6detail27convert_result_type_wrapperISA_SB_N2at6native12_GLOBAL__N_19CustomSumEEEEE10hipError_tPvRmT0_T1_jT2_SS_T4_T3_P12ihipStream_tbEUlT_E_NS1_11comp_targetILNS1_3genE4ELNS1_11target_archE910ELNS1_3gpuE8ELNS1_3repE0EEENS1_30default_config_static_selectorELNS0_4arch9wavefront6targetE0EEEvSR_: ; @_ZN7rocprim17ROCPRIM_400000_NS6detail17trampoline_kernelINS0_14default_configENS1_32segmented_reduce_config_selectorIN3c104HalfEEEZNS1_21segmented_reduce_implIS3_PKS6_PS6_PKiS6_N6hipcub16HIPCUB_304000_NS6detail27convert_result_type_wrapperISA_SB_N2at6native12_GLOBAL__N_19CustomSumEEEEE10hipError_tPvRmT0_T1_jT2_SS_T4_T3_P12ihipStream_tbEUlT_E_NS1_11comp_targetILNS1_3genE4ELNS1_11target_archE910ELNS1_3gpuE8ELNS1_3repE0EEENS1_30default_config_static_selectorELNS0_4arch9wavefront6targetE0EEEvSR_
; %bb.0:
	.section	.rodata,"a",@progbits
	.p2align	6, 0x0
	.amdhsa_kernel _ZN7rocprim17ROCPRIM_400000_NS6detail17trampoline_kernelINS0_14default_configENS1_32segmented_reduce_config_selectorIN3c104HalfEEEZNS1_21segmented_reduce_implIS3_PKS6_PS6_PKiS6_N6hipcub16HIPCUB_304000_NS6detail27convert_result_type_wrapperISA_SB_N2at6native12_GLOBAL__N_19CustomSumEEEEE10hipError_tPvRmT0_T1_jT2_SS_T4_T3_P12ihipStream_tbEUlT_E_NS1_11comp_targetILNS1_3genE4ELNS1_11target_archE910ELNS1_3gpuE8ELNS1_3repE0EEENS1_30default_config_static_selectorELNS0_4arch9wavefront6targetE0EEEvSR_
		.amdhsa_group_segment_fixed_size 0
		.amdhsa_private_segment_fixed_size 0
		.amdhsa_kernarg_size 48
		.amdhsa_user_sgpr_count 6
		.amdhsa_user_sgpr_private_segment_buffer 1
		.amdhsa_user_sgpr_dispatch_ptr 0
		.amdhsa_user_sgpr_queue_ptr 0
		.amdhsa_user_sgpr_kernarg_segment_ptr 1
		.amdhsa_user_sgpr_dispatch_id 0
		.amdhsa_user_sgpr_flat_scratch_init 0
		.amdhsa_user_sgpr_private_segment_size 0
		.amdhsa_wavefront_size32 1
		.amdhsa_uses_dynamic_stack 0
		.amdhsa_system_sgpr_private_segment_wavefront_offset 0
		.amdhsa_system_sgpr_workgroup_id_x 1
		.amdhsa_system_sgpr_workgroup_id_y 0
		.amdhsa_system_sgpr_workgroup_id_z 0
		.amdhsa_system_sgpr_workgroup_info 0
		.amdhsa_system_vgpr_workitem_id 0
		.amdhsa_next_free_vgpr 1
		.amdhsa_next_free_sgpr 1
		.amdhsa_reserve_vcc 0
		.amdhsa_reserve_flat_scratch 0
		.amdhsa_float_round_mode_32 0
		.amdhsa_float_round_mode_16_64 0
		.amdhsa_float_denorm_mode_32 3
		.amdhsa_float_denorm_mode_16_64 3
		.amdhsa_dx10_clamp 1
		.amdhsa_ieee_mode 1
		.amdhsa_fp16_overflow 0
		.amdhsa_workgroup_processor_mode 1
		.amdhsa_memory_ordered 1
		.amdhsa_forward_progress 1
		.amdhsa_shared_vgpr_count 0
		.amdhsa_exception_fp_ieee_invalid_op 0
		.amdhsa_exception_fp_denorm_src 0
		.amdhsa_exception_fp_ieee_div_zero 0
		.amdhsa_exception_fp_ieee_overflow 0
		.amdhsa_exception_fp_ieee_underflow 0
		.amdhsa_exception_fp_ieee_inexact 0
		.amdhsa_exception_int_div_zero 0
	.end_amdhsa_kernel
	.section	.text._ZN7rocprim17ROCPRIM_400000_NS6detail17trampoline_kernelINS0_14default_configENS1_32segmented_reduce_config_selectorIN3c104HalfEEEZNS1_21segmented_reduce_implIS3_PKS6_PS6_PKiS6_N6hipcub16HIPCUB_304000_NS6detail27convert_result_type_wrapperISA_SB_N2at6native12_GLOBAL__N_19CustomSumEEEEE10hipError_tPvRmT0_T1_jT2_SS_T4_T3_P12ihipStream_tbEUlT_E_NS1_11comp_targetILNS1_3genE4ELNS1_11target_archE910ELNS1_3gpuE8ELNS1_3repE0EEENS1_30default_config_static_selectorELNS0_4arch9wavefront6targetE0EEEvSR_,"axG",@progbits,_ZN7rocprim17ROCPRIM_400000_NS6detail17trampoline_kernelINS0_14default_configENS1_32segmented_reduce_config_selectorIN3c104HalfEEEZNS1_21segmented_reduce_implIS3_PKS6_PS6_PKiS6_N6hipcub16HIPCUB_304000_NS6detail27convert_result_type_wrapperISA_SB_N2at6native12_GLOBAL__N_19CustomSumEEEEE10hipError_tPvRmT0_T1_jT2_SS_T4_T3_P12ihipStream_tbEUlT_E_NS1_11comp_targetILNS1_3genE4ELNS1_11target_archE910ELNS1_3gpuE8ELNS1_3repE0EEENS1_30default_config_static_selectorELNS0_4arch9wavefront6targetE0EEEvSR_,comdat
.Lfunc_end88:
	.size	_ZN7rocprim17ROCPRIM_400000_NS6detail17trampoline_kernelINS0_14default_configENS1_32segmented_reduce_config_selectorIN3c104HalfEEEZNS1_21segmented_reduce_implIS3_PKS6_PS6_PKiS6_N6hipcub16HIPCUB_304000_NS6detail27convert_result_type_wrapperISA_SB_N2at6native12_GLOBAL__N_19CustomSumEEEEE10hipError_tPvRmT0_T1_jT2_SS_T4_T3_P12ihipStream_tbEUlT_E_NS1_11comp_targetILNS1_3genE4ELNS1_11target_archE910ELNS1_3gpuE8ELNS1_3repE0EEENS1_30default_config_static_selectorELNS0_4arch9wavefront6targetE0EEEvSR_, .Lfunc_end88-_ZN7rocprim17ROCPRIM_400000_NS6detail17trampoline_kernelINS0_14default_configENS1_32segmented_reduce_config_selectorIN3c104HalfEEEZNS1_21segmented_reduce_implIS3_PKS6_PS6_PKiS6_N6hipcub16HIPCUB_304000_NS6detail27convert_result_type_wrapperISA_SB_N2at6native12_GLOBAL__N_19CustomSumEEEEE10hipError_tPvRmT0_T1_jT2_SS_T4_T3_P12ihipStream_tbEUlT_E_NS1_11comp_targetILNS1_3genE4ELNS1_11target_archE910ELNS1_3gpuE8ELNS1_3repE0EEENS1_30default_config_static_selectorELNS0_4arch9wavefront6targetE0EEEvSR_
                                        ; -- End function
	.set _ZN7rocprim17ROCPRIM_400000_NS6detail17trampoline_kernelINS0_14default_configENS1_32segmented_reduce_config_selectorIN3c104HalfEEEZNS1_21segmented_reduce_implIS3_PKS6_PS6_PKiS6_N6hipcub16HIPCUB_304000_NS6detail27convert_result_type_wrapperISA_SB_N2at6native12_GLOBAL__N_19CustomSumEEEEE10hipError_tPvRmT0_T1_jT2_SS_T4_T3_P12ihipStream_tbEUlT_E_NS1_11comp_targetILNS1_3genE4ELNS1_11target_archE910ELNS1_3gpuE8ELNS1_3repE0EEENS1_30default_config_static_selectorELNS0_4arch9wavefront6targetE0EEEvSR_.num_vgpr, 0
	.set _ZN7rocprim17ROCPRIM_400000_NS6detail17trampoline_kernelINS0_14default_configENS1_32segmented_reduce_config_selectorIN3c104HalfEEEZNS1_21segmented_reduce_implIS3_PKS6_PS6_PKiS6_N6hipcub16HIPCUB_304000_NS6detail27convert_result_type_wrapperISA_SB_N2at6native12_GLOBAL__N_19CustomSumEEEEE10hipError_tPvRmT0_T1_jT2_SS_T4_T3_P12ihipStream_tbEUlT_E_NS1_11comp_targetILNS1_3genE4ELNS1_11target_archE910ELNS1_3gpuE8ELNS1_3repE0EEENS1_30default_config_static_selectorELNS0_4arch9wavefront6targetE0EEEvSR_.num_agpr, 0
	.set _ZN7rocprim17ROCPRIM_400000_NS6detail17trampoline_kernelINS0_14default_configENS1_32segmented_reduce_config_selectorIN3c104HalfEEEZNS1_21segmented_reduce_implIS3_PKS6_PS6_PKiS6_N6hipcub16HIPCUB_304000_NS6detail27convert_result_type_wrapperISA_SB_N2at6native12_GLOBAL__N_19CustomSumEEEEE10hipError_tPvRmT0_T1_jT2_SS_T4_T3_P12ihipStream_tbEUlT_E_NS1_11comp_targetILNS1_3genE4ELNS1_11target_archE910ELNS1_3gpuE8ELNS1_3repE0EEENS1_30default_config_static_selectorELNS0_4arch9wavefront6targetE0EEEvSR_.numbered_sgpr, 0
	.set _ZN7rocprim17ROCPRIM_400000_NS6detail17trampoline_kernelINS0_14default_configENS1_32segmented_reduce_config_selectorIN3c104HalfEEEZNS1_21segmented_reduce_implIS3_PKS6_PS6_PKiS6_N6hipcub16HIPCUB_304000_NS6detail27convert_result_type_wrapperISA_SB_N2at6native12_GLOBAL__N_19CustomSumEEEEE10hipError_tPvRmT0_T1_jT2_SS_T4_T3_P12ihipStream_tbEUlT_E_NS1_11comp_targetILNS1_3genE4ELNS1_11target_archE910ELNS1_3gpuE8ELNS1_3repE0EEENS1_30default_config_static_selectorELNS0_4arch9wavefront6targetE0EEEvSR_.num_named_barrier, 0
	.set _ZN7rocprim17ROCPRIM_400000_NS6detail17trampoline_kernelINS0_14default_configENS1_32segmented_reduce_config_selectorIN3c104HalfEEEZNS1_21segmented_reduce_implIS3_PKS6_PS6_PKiS6_N6hipcub16HIPCUB_304000_NS6detail27convert_result_type_wrapperISA_SB_N2at6native12_GLOBAL__N_19CustomSumEEEEE10hipError_tPvRmT0_T1_jT2_SS_T4_T3_P12ihipStream_tbEUlT_E_NS1_11comp_targetILNS1_3genE4ELNS1_11target_archE910ELNS1_3gpuE8ELNS1_3repE0EEENS1_30default_config_static_selectorELNS0_4arch9wavefront6targetE0EEEvSR_.private_seg_size, 0
	.set _ZN7rocprim17ROCPRIM_400000_NS6detail17trampoline_kernelINS0_14default_configENS1_32segmented_reduce_config_selectorIN3c104HalfEEEZNS1_21segmented_reduce_implIS3_PKS6_PS6_PKiS6_N6hipcub16HIPCUB_304000_NS6detail27convert_result_type_wrapperISA_SB_N2at6native12_GLOBAL__N_19CustomSumEEEEE10hipError_tPvRmT0_T1_jT2_SS_T4_T3_P12ihipStream_tbEUlT_E_NS1_11comp_targetILNS1_3genE4ELNS1_11target_archE910ELNS1_3gpuE8ELNS1_3repE0EEENS1_30default_config_static_selectorELNS0_4arch9wavefront6targetE0EEEvSR_.uses_vcc, 0
	.set _ZN7rocprim17ROCPRIM_400000_NS6detail17trampoline_kernelINS0_14default_configENS1_32segmented_reduce_config_selectorIN3c104HalfEEEZNS1_21segmented_reduce_implIS3_PKS6_PS6_PKiS6_N6hipcub16HIPCUB_304000_NS6detail27convert_result_type_wrapperISA_SB_N2at6native12_GLOBAL__N_19CustomSumEEEEE10hipError_tPvRmT0_T1_jT2_SS_T4_T3_P12ihipStream_tbEUlT_E_NS1_11comp_targetILNS1_3genE4ELNS1_11target_archE910ELNS1_3gpuE8ELNS1_3repE0EEENS1_30default_config_static_selectorELNS0_4arch9wavefront6targetE0EEEvSR_.uses_flat_scratch, 0
	.set _ZN7rocprim17ROCPRIM_400000_NS6detail17trampoline_kernelINS0_14default_configENS1_32segmented_reduce_config_selectorIN3c104HalfEEEZNS1_21segmented_reduce_implIS3_PKS6_PS6_PKiS6_N6hipcub16HIPCUB_304000_NS6detail27convert_result_type_wrapperISA_SB_N2at6native12_GLOBAL__N_19CustomSumEEEEE10hipError_tPvRmT0_T1_jT2_SS_T4_T3_P12ihipStream_tbEUlT_E_NS1_11comp_targetILNS1_3genE4ELNS1_11target_archE910ELNS1_3gpuE8ELNS1_3repE0EEENS1_30default_config_static_selectorELNS0_4arch9wavefront6targetE0EEEvSR_.has_dyn_sized_stack, 0
	.set _ZN7rocprim17ROCPRIM_400000_NS6detail17trampoline_kernelINS0_14default_configENS1_32segmented_reduce_config_selectorIN3c104HalfEEEZNS1_21segmented_reduce_implIS3_PKS6_PS6_PKiS6_N6hipcub16HIPCUB_304000_NS6detail27convert_result_type_wrapperISA_SB_N2at6native12_GLOBAL__N_19CustomSumEEEEE10hipError_tPvRmT0_T1_jT2_SS_T4_T3_P12ihipStream_tbEUlT_E_NS1_11comp_targetILNS1_3genE4ELNS1_11target_archE910ELNS1_3gpuE8ELNS1_3repE0EEENS1_30default_config_static_selectorELNS0_4arch9wavefront6targetE0EEEvSR_.has_recursion, 0
	.set _ZN7rocprim17ROCPRIM_400000_NS6detail17trampoline_kernelINS0_14default_configENS1_32segmented_reduce_config_selectorIN3c104HalfEEEZNS1_21segmented_reduce_implIS3_PKS6_PS6_PKiS6_N6hipcub16HIPCUB_304000_NS6detail27convert_result_type_wrapperISA_SB_N2at6native12_GLOBAL__N_19CustomSumEEEEE10hipError_tPvRmT0_T1_jT2_SS_T4_T3_P12ihipStream_tbEUlT_E_NS1_11comp_targetILNS1_3genE4ELNS1_11target_archE910ELNS1_3gpuE8ELNS1_3repE0EEENS1_30default_config_static_selectorELNS0_4arch9wavefront6targetE0EEEvSR_.has_indirect_call, 0
	.section	.AMDGPU.csdata,"",@progbits
; Kernel info:
; codeLenInByte = 0
; TotalNumSgprs: 0
; NumVgprs: 0
; ScratchSize: 0
; MemoryBound: 0
; FloatMode: 240
; IeeeMode: 1
; LDSByteSize: 0 bytes/workgroup (compile time only)
; SGPRBlocks: 0
; VGPRBlocks: 0
; NumSGPRsForWavesPerEU: 1
; NumVGPRsForWavesPerEU: 1
; Occupancy: 16
; WaveLimiterHint : 0
; COMPUTE_PGM_RSRC2:SCRATCH_EN: 0
; COMPUTE_PGM_RSRC2:USER_SGPR: 6
; COMPUTE_PGM_RSRC2:TRAP_HANDLER: 0
; COMPUTE_PGM_RSRC2:TGID_X_EN: 1
; COMPUTE_PGM_RSRC2:TGID_Y_EN: 0
; COMPUTE_PGM_RSRC2:TGID_Z_EN: 0
; COMPUTE_PGM_RSRC2:TIDIG_COMP_CNT: 0
	.section	.text._ZN7rocprim17ROCPRIM_400000_NS6detail17trampoline_kernelINS0_14default_configENS1_32segmented_reduce_config_selectorIN3c104HalfEEEZNS1_21segmented_reduce_implIS3_PKS6_PS6_PKiS6_N6hipcub16HIPCUB_304000_NS6detail27convert_result_type_wrapperISA_SB_N2at6native12_GLOBAL__N_19CustomSumEEEEE10hipError_tPvRmT0_T1_jT2_SS_T4_T3_P12ihipStream_tbEUlT_E_NS1_11comp_targetILNS1_3genE3ELNS1_11target_archE908ELNS1_3gpuE7ELNS1_3repE0EEENS1_30default_config_static_selectorELNS0_4arch9wavefront6targetE0EEEvSR_,"axG",@progbits,_ZN7rocprim17ROCPRIM_400000_NS6detail17trampoline_kernelINS0_14default_configENS1_32segmented_reduce_config_selectorIN3c104HalfEEEZNS1_21segmented_reduce_implIS3_PKS6_PS6_PKiS6_N6hipcub16HIPCUB_304000_NS6detail27convert_result_type_wrapperISA_SB_N2at6native12_GLOBAL__N_19CustomSumEEEEE10hipError_tPvRmT0_T1_jT2_SS_T4_T3_P12ihipStream_tbEUlT_E_NS1_11comp_targetILNS1_3genE3ELNS1_11target_archE908ELNS1_3gpuE7ELNS1_3repE0EEENS1_30default_config_static_selectorELNS0_4arch9wavefront6targetE0EEEvSR_,comdat
	.globl	_ZN7rocprim17ROCPRIM_400000_NS6detail17trampoline_kernelINS0_14default_configENS1_32segmented_reduce_config_selectorIN3c104HalfEEEZNS1_21segmented_reduce_implIS3_PKS6_PS6_PKiS6_N6hipcub16HIPCUB_304000_NS6detail27convert_result_type_wrapperISA_SB_N2at6native12_GLOBAL__N_19CustomSumEEEEE10hipError_tPvRmT0_T1_jT2_SS_T4_T3_P12ihipStream_tbEUlT_E_NS1_11comp_targetILNS1_3genE3ELNS1_11target_archE908ELNS1_3gpuE7ELNS1_3repE0EEENS1_30default_config_static_selectorELNS0_4arch9wavefront6targetE0EEEvSR_ ; -- Begin function _ZN7rocprim17ROCPRIM_400000_NS6detail17trampoline_kernelINS0_14default_configENS1_32segmented_reduce_config_selectorIN3c104HalfEEEZNS1_21segmented_reduce_implIS3_PKS6_PS6_PKiS6_N6hipcub16HIPCUB_304000_NS6detail27convert_result_type_wrapperISA_SB_N2at6native12_GLOBAL__N_19CustomSumEEEEE10hipError_tPvRmT0_T1_jT2_SS_T4_T3_P12ihipStream_tbEUlT_E_NS1_11comp_targetILNS1_3genE3ELNS1_11target_archE908ELNS1_3gpuE7ELNS1_3repE0EEENS1_30default_config_static_selectorELNS0_4arch9wavefront6targetE0EEEvSR_
	.p2align	8
	.type	_ZN7rocprim17ROCPRIM_400000_NS6detail17trampoline_kernelINS0_14default_configENS1_32segmented_reduce_config_selectorIN3c104HalfEEEZNS1_21segmented_reduce_implIS3_PKS6_PS6_PKiS6_N6hipcub16HIPCUB_304000_NS6detail27convert_result_type_wrapperISA_SB_N2at6native12_GLOBAL__N_19CustomSumEEEEE10hipError_tPvRmT0_T1_jT2_SS_T4_T3_P12ihipStream_tbEUlT_E_NS1_11comp_targetILNS1_3genE3ELNS1_11target_archE908ELNS1_3gpuE7ELNS1_3repE0EEENS1_30default_config_static_selectorELNS0_4arch9wavefront6targetE0EEEvSR_,@function
_ZN7rocprim17ROCPRIM_400000_NS6detail17trampoline_kernelINS0_14default_configENS1_32segmented_reduce_config_selectorIN3c104HalfEEEZNS1_21segmented_reduce_implIS3_PKS6_PS6_PKiS6_N6hipcub16HIPCUB_304000_NS6detail27convert_result_type_wrapperISA_SB_N2at6native12_GLOBAL__N_19CustomSumEEEEE10hipError_tPvRmT0_T1_jT2_SS_T4_T3_P12ihipStream_tbEUlT_E_NS1_11comp_targetILNS1_3genE3ELNS1_11target_archE908ELNS1_3gpuE7ELNS1_3repE0EEENS1_30default_config_static_selectorELNS0_4arch9wavefront6targetE0EEEvSR_: ; @_ZN7rocprim17ROCPRIM_400000_NS6detail17trampoline_kernelINS0_14default_configENS1_32segmented_reduce_config_selectorIN3c104HalfEEEZNS1_21segmented_reduce_implIS3_PKS6_PS6_PKiS6_N6hipcub16HIPCUB_304000_NS6detail27convert_result_type_wrapperISA_SB_N2at6native12_GLOBAL__N_19CustomSumEEEEE10hipError_tPvRmT0_T1_jT2_SS_T4_T3_P12ihipStream_tbEUlT_E_NS1_11comp_targetILNS1_3genE3ELNS1_11target_archE908ELNS1_3gpuE7ELNS1_3repE0EEENS1_30default_config_static_selectorELNS0_4arch9wavefront6targetE0EEEvSR_
; %bb.0:
	.section	.rodata,"a",@progbits
	.p2align	6, 0x0
	.amdhsa_kernel _ZN7rocprim17ROCPRIM_400000_NS6detail17trampoline_kernelINS0_14default_configENS1_32segmented_reduce_config_selectorIN3c104HalfEEEZNS1_21segmented_reduce_implIS3_PKS6_PS6_PKiS6_N6hipcub16HIPCUB_304000_NS6detail27convert_result_type_wrapperISA_SB_N2at6native12_GLOBAL__N_19CustomSumEEEEE10hipError_tPvRmT0_T1_jT2_SS_T4_T3_P12ihipStream_tbEUlT_E_NS1_11comp_targetILNS1_3genE3ELNS1_11target_archE908ELNS1_3gpuE7ELNS1_3repE0EEENS1_30default_config_static_selectorELNS0_4arch9wavefront6targetE0EEEvSR_
		.amdhsa_group_segment_fixed_size 0
		.amdhsa_private_segment_fixed_size 0
		.amdhsa_kernarg_size 48
		.amdhsa_user_sgpr_count 6
		.amdhsa_user_sgpr_private_segment_buffer 1
		.amdhsa_user_sgpr_dispatch_ptr 0
		.amdhsa_user_sgpr_queue_ptr 0
		.amdhsa_user_sgpr_kernarg_segment_ptr 1
		.amdhsa_user_sgpr_dispatch_id 0
		.amdhsa_user_sgpr_flat_scratch_init 0
		.amdhsa_user_sgpr_private_segment_size 0
		.amdhsa_wavefront_size32 1
		.amdhsa_uses_dynamic_stack 0
		.amdhsa_system_sgpr_private_segment_wavefront_offset 0
		.amdhsa_system_sgpr_workgroup_id_x 1
		.amdhsa_system_sgpr_workgroup_id_y 0
		.amdhsa_system_sgpr_workgroup_id_z 0
		.amdhsa_system_sgpr_workgroup_info 0
		.amdhsa_system_vgpr_workitem_id 0
		.amdhsa_next_free_vgpr 1
		.amdhsa_next_free_sgpr 1
		.amdhsa_reserve_vcc 0
		.amdhsa_reserve_flat_scratch 0
		.amdhsa_float_round_mode_32 0
		.amdhsa_float_round_mode_16_64 0
		.amdhsa_float_denorm_mode_32 3
		.amdhsa_float_denorm_mode_16_64 3
		.amdhsa_dx10_clamp 1
		.amdhsa_ieee_mode 1
		.amdhsa_fp16_overflow 0
		.amdhsa_workgroup_processor_mode 1
		.amdhsa_memory_ordered 1
		.amdhsa_forward_progress 1
		.amdhsa_shared_vgpr_count 0
		.amdhsa_exception_fp_ieee_invalid_op 0
		.amdhsa_exception_fp_denorm_src 0
		.amdhsa_exception_fp_ieee_div_zero 0
		.amdhsa_exception_fp_ieee_overflow 0
		.amdhsa_exception_fp_ieee_underflow 0
		.amdhsa_exception_fp_ieee_inexact 0
		.amdhsa_exception_int_div_zero 0
	.end_amdhsa_kernel
	.section	.text._ZN7rocprim17ROCPRIM_400000_NS6detail17trampoline_kernelINS0_14default_configENS1_32segmented_reduce_config_selectorIN3c104HalfEEEZNS1_21segmented_reduce_implIS3_PKS6_PS6_PKiS6_N6hipcub16HIPCUB_304000_NS6detail27convert_result_type_wrapperISA_SB_N2at6native12_GLOBAL__N_19CustomSumEEEEE10hipError_tPvRmT0_T1_jT2_SS_T4_T3_P12ihipStream_tbEUlT_E_NS1_11comp_targetILNS1_3genE3ELNS1_11target_archE908ELNS1_3gpuE7ELNS1_3repE0EEENS1_30default_config_static_selectorELNS0_4arch9wavefront6targetE0EEEvSR_,"axG",@progbits,_ZN7rocprim17ROCPRIM_400000_NS6detail17trampoline_kernelINS0_14default_configENS1_32segmented_reduce_config_selectorIN3c104HalfEEEZNS1_21segmented_reduce_implIS3_PKS6_PS6_PKiS6_N6hipcub16HIPCUB_304000_NS6detail27convert_result_type_wrapperISA_SB_N2at6native12_GLOBAL__N_19CustomSumEEEEE10hipError_tPvRmT0_T1_jT2_SS_T4_T3_P12ihipStream_tbEUlT_E_NS1_11comp_targetILNS1_3genE3ELNS1_11target_archE908ELNS1_3gpuE7ELNS1_3repE0EEENS1_30default_config_static_selectorELNS0_4arch9wavefront6targetE0EEEvSR_,comdat
.Lfunc_end89:
	.size	_ZN7rocprim17ROCPRIM_400000_NS6detail17trampoline_kernelINS0_14default_configENS1_32segmented_reduce_config_selectorIN3c104HalfEEEZNS1_21segmented_reduce_implIS3_PKS6_PS6_PKiS6_N6hipcub16HIPCUB_304000_NS6detail27convert_result_type_wrapperISA_SB_N2at6native12_GLOBAL__N_19CustomSumEEEEE10hipError_tPvRmT0_T1_jT2_SS_T4_T3_P12ihipStream_tbEUlT_E_NS1_11comp_targetILNS1_3genE3ELNS1_11target_archE908ELNS1_3gpuE7ELNS1_3repE0EEENS1_30default_config_static_selectorELNS0_4arch9wavefront6targetE0EEEvSR_, .Lfunc_end89-_ZN7rocprim17ROCPRIM_400000_NS6detail17trampoline_kernelINS0_14default_configENS1_32segmented_reduce_config_selectorIN3c104HalfEEEZNS1_21segmented_reduce_implIS3_PKS6_PS6_PKiS6_N6hipcub16HIPCUB_304000_NS6detail27convert_result_type_wrapperISA_SB_N2at6native12_GLOBAL__N_19CustomSumEEEEE10hipError_tPvRmT0_T1_jT2_SS_T4_T3_P12ihipStream_tbEUlT_E_NS1_11comp_targetILNS1_3genE3ELNS1_11target_archE908ELNS1_3gpuE7ELNS1_3repE0EEENS1_30default_config_static_selectorELNS0_4arch9wavefront6targetE0EEEvSR_
                                        ; -- End function
	.set _ZN7rocprim17ROCPRIM_400000_NS6detail17trampoline_kernelINS0_14default_configENS1_32segmented_reduce_config_selectorIN3c104HalfEEEZNS1_21segmented_reduce_implIS3_PKS6_PS6_PKiS6_N6hipcub16HIPCUB_304000_NS6detail27convert_result_type_wrapperISA_SB_N2at6native12_GLOBAL__N_19CustomSumEEEEE10hipError_tPvRmT0_T1_jT2_SS_T4_T3_P12ihipStream_tbEUlT_E_NS1_11comp_targetILNS1_3genE3ELNS1_11target_archE908ELNS1_3gpuE7ELNS1_3repE0EEENS1_30default_config_static_selectorELNS0_4arch9wavefront6targetE0EEEvSR_.num_vgpr, 0
	.set _ZN7rocprim17ROCPRIM_400000_NS6detail17trampoline_kernelINS0_14default_configENS1_32segmented_reduce_config_selectorIN3c104HalfEEEZNS1_21segmented_reduce_implIS3_PKS6_PS6_PKiS6_N6hipcub16HIPCUB_304000_NS6detail27convert_result_type_wrapperISA_SB_N2at6native12_GLOBAL__N_19CustomSumEEEEE10hipError_tPvRmT0_T1_jT2_SS_T4_T3_P12ihipStream_tbEUlT_E_NS1_11comp_targetILNS1_3genE3ELNS1_11target_archE908ELNS1_3gpuE7ELNS1_3repE0EEENS1_30default_config_static_selectorELNS0_4arch9wavefront6targetE0EEEvSR_.num_agpr, 0
	.set _ZN7rocprim17ROCPRIM_400000_NS6detail17trampoline_kernelINS0_14default_configENS1_32segmented_reduce_config_selectorIN3c104HalfEEEZNS1_21segmented_reduce_implIS3_PKS6_PS6_PKiS6_N6hipcub16HIPCUB_304000_NS6detail27convert_result_type_wrapperISA_SB_N2at6native12_GLOBAL__N_19CustomSumEEEEE10hipError_tPvRmT0_T1_jT2_SS_T4_T3_P12ihipStream_tbEUlT_E_NS1_11comp_targetILNS1_3genE3ELNS1_11target_archE908ELNS1_3gpuE7ELNS1_3repE0EEENS1_30default_config_static_selectorELNS0_4arch9wavefront6targetE0EEEvSR_.numbered_sgpr, 0
	.set _ZN7rocprim17ROCPRIM_400000_NS6detail17trampoline_kernelINS0_14default_configENS1_32segmented_reduce_config_selectorIN3c104HalfEEEZNS1_21segmented_reduce_implIS3_PKS6_PS6_PKiS6_N6hipcub16HIPCUB_304000_NS6detail27convert_result_type_wrapperISA_SB_N2at6native12_GLOBAL__N_19CustomSumEEEEE10hipError_tPvRmT0_T1_jT2_SS_T4_T3_P12ihipStream_tbEUlT_E_NS1_11comp_targetILNS1_3genE3ELNS1_11target_archE908ELNS1_3gpuE7ELNS1_3repE0EEENS1_30default_config_static_selectorELNS0_4arch9wavefront6targetE0EEEvSR_.num_named_barrier, 0
	.set _ZN7rocprim17ROCPRIM_400000_NS6detail17trampoline_kernelINS0_14default_configENS1_32segmented_reduce_config_selectorIN3c104HalfEEEZNS1_21segmented_reduce_implIS3_PKS6_PS6_PKiS6_N6hipcub16HIPCUB_304000_NS6detail27convert_result_type_wrapperISA_SB_N2at6native12_GLOBAL__N_19CustomSumEEEEE10hipError_tPvRmT0_T1_jT2_SS_T4_T3_P12ihipStream_tbEUlT_E_NS1_11comp_targetILNS1_3genE3ELNS1_11target_archE908ELNS1_3gpuE7ELNS1_3repE0EEENS1_30default_config_static_selectorELNS0_4arch9wavefront6targetE0EEEvSR_.private_seg_size, 0
	.set _ZN7rocprim17ROCPRIM_400000_NS6detail17trampoline_kernelINS0_14default_configENS1_32segmented_reduce_config_selectorIN3c104HalfEEEZNS1_21segmented_reduce_implIS3_PKS6_PS6_PKiS6_N6hipcub16HIPCUB_304000_NS6detail27convert_result_type_wrapperISA_SB_N2at6native12_GLOBAL__N_19CustomSumEEEEE10hipError_tPvRmT0_T1_jT2_SS_T4_T3_P12ihipStream_tbEUlT_E_NS1_11comp_targetILNS1_3genE3ELNS1_11target_archE908ELNS1_3gpuE7ELNS1_3repE0EEENS1_30default_config_static_selectorELNS0_4arch9wavefront6targetE0EEEvSR_.uses_vcc, 0
	.set _ZN7rocprim17ROCPRIM_400000_NS6detail17trampoline_kernelINS0_14default_configENS1_32segmented_reduce_config_selectorIN3c104HalfEEEZNS1_21segmented_reduce_implIS3_PKS6_PS6_PKiS6_N6hipcub16HIPCUB_304000_NS6detail27convert_result_type_wrapperISA_SB_N2at6native12_GLOBAL__N_19CustomSumEEEEE10hipError_tPvRmT0_T1_jT2_SS_T4_T3_P12ihipStream_tbEUlT_E_NS1_11comp_targetILNS1_3genE3ELNS1_11target_archE908ELNS1_3gpuE7ELNS1_3repE0EEENS1_30default_config_static_selectorELNS0_4arch9wavefront6targetE0EEEvSR_.uses_flat_scratch, 0
	.set _ZN7rocprim17ROCPRIM_400000_NS6detail17trampoline_kernelINS0_14default_configENS1_32segmented_reduce_config_selectorIN3c104HalfEEEZNS1_21segmented_reduce_implIS3_PKS6_PS6_PKiS6_N6hipcub16HIPCUB_304000_NS6detail27convert_result_type_wrapperISA_SB_N2at6native12_GLOBAL__N_19CustomSumEEEEE10hipError_tPvRmT0_T1_jT2_SS_T4_T3_P12ihipStream_tbEUlT_E_NS1_11comp_targetILNS1_3genE3ELNS1_11target_archE908ELNS1_3gpuE7ELNS1_3repE0EEENS1_30default_config_static_selectorELNS0_4arch9wavefront6targetE0EEEvSR_.has_dyn_sized_stack, 0
	.set _ZN7rocprim17ROCPRIM_400000_NS6detail17trampoline_kernelINS0_14default_configENS1_32segmented_reduce_config_selectorIN3c104HalfEEEZNS1_21segmented_reduce_implIS3_PKS6_PS6_PKiS6_N6hipcub16HIPCUB_304000_NS6detail27convert_result_type_wrapperISA_SB_N2at6native12_GLOBAL__N_19CustomSumEEEEE10hipError_tPvRmT0_T1_jT2_SS_T4_T3_P12ihipStream_tbEUlT_E_NS1_11comp_targetILNS1_3genE3ELNS1_11target_archE908ELNS1_3gpuE7ELNS1_3repE0EEENS1_30default_config_static_selectorELNS0_4arch9wavefront6targetE0EEEvSR_.has_recursion, 0
	.set _ZN7rocprim17ROCPRIM_400000_NS6detail17trampoline_kernelINS0_14default_configENS1_32segmented_reduce_config_selectorIN3c104HalfEEEZNS1_21segmented_reduce_implIS3_PKS6_PS6_PKiS6_N6hipcub16HIPCUB_304000_NS6detail27convert_result_type_wrapperISA_SB_N2at6native12_GLOBAL__N_19CustomSumEEEEE10hipError_tPvRmT0_T1_jT2_SS_T4_T3_P12ihipStream_tbEUlT_E_NS1_11comp_targetILNS1_3genE3ELNS1_11target_archE908ELNS1_3gpuE7ELNS1_3repE0EEENS1_30default_config_static_selectorELNS0_4arch9wavefront6targetE0EEEvSR_.has_indirect_call, 0
	.section	.AMDGPU.csdata,"",@progbits
; Kernel info:
; codeLenInByte = 0
; TotalNumSgprs: 0
; NumVgprs: 0
; ScratchSize: 0
; MemoryBound: 0
; FloatMode: 240
; IeeeMode: 1
; LDSByteSize: 0 bytes/workgroup (compile time only)
; SGPRBlocks: 0
; VGPRBlocks: 0
; NumSGPRsForWavesPerEU: 1
; NumVGPRsForWavesPerEU: 1
; Occupancy: 16
; WaveLimiterHint : 0
; COMPUTE_PGM_RSRC2:SCRATCH_EN: 0
; COMPUTE_PGM_RSRC2:USER_SGPR: 6
; COMPUTE_PGM_RSRC2:TRAP_HANDLER: 0
; COMPUTE_PGM_RSRC2:TGID_X_EN: 1
; COMPUTE_PGM_RSRC2:TGID_Y_EN: 0
; COMPUTE_PGM_RSRC2:TGID_Z_EN: 0
; COMPUTE_PGM_RSRC2:TIDIG_COMP_CNT: 0
	.section	.text._ZN7rocprim17ROCPRIM_400000_NS6detail17trampoline_kernelINS0_14default_configENS1_32segmented_reduce_config_selectorIN3c104HalfEEEZNS1_21segmented_reduce_implIS3_PKS6_PS6_PKiS6_N6hipcub16HIPCUB_304000_NS6detail27convert_result_type_wrapperISA_SB_N2at6native12_GLOBAL__N_19CustomSumEEEEE10hipError_tPvRmT0_T1_jT2_SS_T4_T3_P12ihipStream_tbEUlT_E_NS1_11comp_targetILNS1_3genE2ELNS1_11target_archE906ELNS1_3gpuE6ELNS1_3repE0EEENS1_30default_config_static_selectorELNS0_4arch9wavefront6targetE0EEEvSR_,"axG",@progbits,_ZN7rocprim17ROCPRIM_400000_NS6detail17trampoline_kernelINS0_14default_configENS1_32segmented_reduce_config_selectorIN3c104HalfEEEZNS1_21segmented_reduce_implIS3_PKS6_PS6_PKiS6_N6hipcub16HIPCUB_304000_NS6detail27convert_result_type_wrapperISA_SB_N2at6native12_GLOBAL__N_19CustomSumEEEEE10hipError_tPvRmT0_T1_jT2_SS_T4_T3_P12ihipStream_tbEUlT_E_NS1_11comp_targetILNS1_3genE2ELNS1_11target_archE906ELNS1_3gpuE6ELNS1_3repE0EEENS1_30default_config_static_selectorELNS0_4arch9wavefront6targetE0EEEvSR_,comdat
	.globl	_ZN7rocprim17ROCPRIM_400000_NS6detail17trampoline_kernelINS0_14default_configENS1_32segmented_reduce_config_selectorIN3c104HalfEEEZNS1_21segmented_reduce_implIS3_PKS6_PS6_PKiS6_N6hipcub16HIPCUB_304000_NS6detail27convert_result_type_wrapperISA_SB_N2at6native12_GLOBAL__N_19CustomSumEEEEE10hipError_tPvRmT0_T1_jT2_SS_T4_T3_P12ihipStream_tbEUlT_E_NS1_11comp_targetILNS1_3genE2ELNS1_11target_archE906ELNS1_3gpuE6ELNS1_3repE0EEENS1_30default_config_static_selectorELNS0_4arch9wavefront6targetE0EEEvSR_ ; -- Begin function _ZN7rocprim17ROCPRIM_400000_NS6detail17trampoline_kernelINS0_14default_configENS1_32segmented_reduce_config_selectorIN3c104HalfEEEZNS1_21segmented_reduce_implIS3_PKS6_PS6_PKiS6_N6hipcub16HIPCUB_304000_NS6detail27convert_result_type_wrapperISA_SB_N2at6native12_GLOBAL__N_19CustomSumEEEEE10hipError_tPvRmT0_T1_jT2_SS_T4_T3_P12ihipStream_tbEUlT_E_NS1_11comp_targetILNS1_3genE2ELNS1_11target_archE906ELNS1_3gpuE6ELNS1_3repE0EEENS1_30default_config_static_selectorELNS0_4arch9wavefront6targetE0EEEvSR_
	.p2align	8
	.type	_ZN7rocprim17ROCPRIM_400000_NS6detail17trampoline_kernelINS0_14default_configENS1_32segmented_reduce_config_selectorIN3c104HalfEEEZNS1_21segmented_reduce_implIS3_PKS6_PS6_PKiS6_N6hipcub16HIPCUB_304000_NS6detail27convert_result_type_wrapperISA_SB_N2at6native12_GLOBAL__N_19CustomSumEEEEE10hipError_tPvRmT0_T1_jT2_SS_T4_T3_P12ihipStream_tbEUlT_E_NS1_11comp_targetILNS1_3genE2ELNS1_11target_archE906ELNS1_3gpuE6ELNS1_3repE0EEENS1_30default_config_static_selectorELNS0_4arch9wavefront6targetE0EEEvSR_,@function
_ZN7rocprim17ROCPRIM_400000_NS6detail17trampoline_kernelINS0_14default_configENS1_32segmented_reduce_config_selectorIN3c104HalfEEEZNS1_21segmented_reduce_implIS3_PKS6_PS6_PKiS6_N6hipcub16HIPCUB_304000_NS6detail27convert_result_type_wrapperISA_SB_N2at6native12_GLOBAL__N_19CustomSumEEEEE10hipError_tPvRmT0_T1_jT2_SS_T4_T3_P12ihipStream_tbEUlT_E_NS1_11comp_targetILNS1_3genE2ELNS1_11target_archE906ELNS1_3gpuE6ELNS1_3repE0EEENS1_30default_config_static_selectorELNS0_4arch9wavefront6targetE0EEEvSR_: ; @_ZN7rocprim17ROCPRIM_400000_NS6detail17trampoline_kernelINS0_14default_configENS1_32segmented_reduce_config_selectorIN3c104HalfEEEZNS1_21segmented_reduce_implIS3_PKS6_PS6_PKiS6_N6hipcub16HIPCUB_304000_NS6detail27convert_result_type_wrapperISA_SB_N2at6native12_GLOBAL__N_19CustomSumEEEEE10hipError_tPvRmT0_T1_jT2_SS_T4_T3_P12ihipStream_tbEUlT_E_NS1_11comp_targetILNS1_3genE2ELNS1_11target_archE906ELNS1_3gpuE6ELNS1_3repE0EEENS1_30default_config_static_selectorELNS0_4arch9wavefront6targetE0EEEvSR_
; %bb.0:
	.section	.rodata,"a",@progbits
	.p2align	6, 0x0
	.amdhsa_kernel _ZN7rocprim17ROCPRIM_400000_NS6detail17trampoline_kernelINS0_14default_configENS1_32segmented_reduce_config_selectorIN3c104HalfEEEZNS1_21segmented_reduce_implIS3_PKS6_PS6_PKiS6_N6hipcub16HIPCUB_304000_NS6detail27convert_result_type_wrapperISA_SB_N2at6native12_GLOBAL__N_19CustomSumEEEEE10hipError_tPvRmT0_T1_jT2_SS_T4_T3_P12ihipStream_tbEUlT_E_NS1_11comp_targetILNS1_3genE2ELNS1_11target_archE906ELNS1_3gpuE6ELNS1_3repE0EEENS1_30default_config_static_selectorELNS0_4arch9wavefront6targetE0EEEvSR_
		.amdhsa_group_segment_fixed_size 0
		.amdhsa_private_segment_fixed_size 0
		.amdhsa_kernarg_size 48
		.amdhsa_user_sgpr_count 6
		.amdhsa_user_sgpr_private_segment_buffer 1
		.amdhsa_user_sgpr_dispatch_ptr 0
		.amdhsa_user_sgpr_queue_ptr 0
		.amdhsa_user_sgpr_kernarg_segment_ptr 1
		.amdhsa_user_sgpr_dispatch_id 0
		.amdhsa_user_sgpr_flat_scratch_init 0
		.amdhsa_user_sgpr_private_segment_size 0
		.amdhsa_wavefront_size32 1
		.amdhsa_uses_dynamic_stack 0
		.amdhsa_system_sgpr_private_segment_wavefront_offset 0
		.amdhsa_system_sgpr_workgroup_id_x 1
		.amdhsa_system_sgpr_workgroup_id_y 0
		.amdhsa_system_sgpr_workgroup_id_z 0
		.amdhsa_system_sgpr_workgroup_info 0
		.amdhsa_system_vgpr_workitem_id 0
		.amdhsa_next_free_vgpr 1
		.amdhsa_next_free_sgpr 1
		.amdhsa_reserve_vcc 0
		.amdhsa_reserve_flat_scratch 0
		.amdhsa_float_round_mode_32 0
		.amdhsa_float_round_mode_16_64 0
		.amdhsa_float_denorm_mode_32 3
		.amdhsa_float_denorm_mode_16_64 3
		.amdhsa_dx10_clamp 1
		.amdhsa_ieee_mode 1
		.amdhsa_fp16_overflow 0
		.amdhsa_workgroup_processor_mode 1
		.amdhsa_memory_ordered 1
		.amdhsa_forward_progress 1
		.amdhsa_shared_vgpr_count 0
		.amdhsa_exception_fp_ieee_invalid_op 0
		.amdhsa_exception_fp_denorm_src 0
		.amdhsa_exception_fp_ieee_div_zero 0
		.amdhsa_exception_fp_ieee_overflow 0
		.amdhsa_exception_fp_ieee_underflow 0
		.amdhsa_exception_fp_ieee_inexact 0
		.amdhsa_exception_int_div_zero 0
	.end_amdhsa_kernel
	.section	.text._ZN7rocprim17ROCPRIM_400000_NS6detail17trampoline_kernelINS0_14default_configENS1_32segmented_reduce_config_selectorIN3c104HalfEEEZNS1_21segmented_reduce_implIS3_PKS6_PS6_PKiS6_N6hipcub16HIPCUB_304000_NS6detail27convert_result_type_wrapperISA_SB_N2at6native12_GLOBAL__N_19CustomSumEEEEE10hipError_tPvRmT0_T1_jT2_SS_T4_T3_P12ihipStream_tbEUlT_E_NS1_11comp_targetILNS1_3genE2ELNS1_11target_archE906ELNS1_3gpuE6ELNS1_3repE0EEENS1_30default_config_static_selectorELNS0_4arch9wavefront6targetE0EEEvSR_,"axG",@progbits,_ZN7rocprim17ROCPRIM_400000_NS6detail17trampoline_kernelINS0_14default_configENS1_32segmented_reduce_config_selectorIN3c104HalfEEEZNS1_21segmented_reduce_implIS3_PKS6_PS6_PKiS6_N6hipcub16HIPCUB_304000_NS6detail27convert_result_type_wrapperISA_SB_N2at6native12_GLOBAL__N_19CustomSumEEEEE10hipError_tPvRmT0_T1_jT2_SS_T4_T3_P12ihipStream_tbEUlT_E_NS1_11comp_targetILNS1_3genE2ELNS1_11target_archE906ELNS1_3gpuE6ELNS1_3repE0EEENS1_30default_config_static_selectorELNS0_4arch9wavefront6targetE0EEEvSR_,comdat
.Lfunc_end90:
	.size	_ZN7rocprim17ROCPRIM_400000_NS6detail17trampoline_kernelINS0_14default_configENS1_32segmented_reduce_config_selectorIN3c104HalfEEEZNS1_21segmented_reduce_implIS3_PKS6_PS6_PKiS6_N6hipcub16HIPCUB_304000_NS6detail27convert_result_type_wrapperISA_SB_N2at6native12_GLOBAL__N_19CustomSumEEEEE10hipError_tPvRmT0_T1_jT2_SS_T4_T3_P12ihipStream_tbEUlT_E_NS1_11comp_targetILNS1_3genE2ELNS1_11target_archE906ELNS1_3gpuE6ELNS1_3repE0EEENS1_30default_config_static_selectorELNS0_4arch9wavefront6targetE0EEEvSR_, .Lfunc_end90-_ZN7rocprim17ROCPRIM_400000_NS6detail17trampoline_kernelINS0_14default_configENS1_32segmented_reduce_config_selectorIN3c104HalfEEEZNS1_21segmented_reduce_implIS3_PKS6_PS6_PKiS6_N6hipcub16HIPCUB_304000_NS6detail27convert_result_type_wrapperISA_SB_N2at6native12_GLOBAL__N_19CustomSumEEEEE10hipError_tPvRmT0_T1_jT2_SS_T4_T3_P12ihipStream_tbEUlT_E_NS1_11comp_targetILNS1_3genE2ELNS1_11target_archE906ELNS1_3gpuE6ELNS1_3repE0EEENS1_30default_config_static_selectorELNS0_4arch9wavefront6targetE0EEEvSR_
                                        ; -- End function
	.set _ZN7rocprim17ROCPRIM_400000_NS6detail17trampoline_kernelINS0_14default_configENS1_32segmented_reduce_config_selectorIN3c104HalfEEEZNS1_21segmented_reduce_implIS3_PKS6_PS6_PKiS6_N6hipcub16HIPCUB_304000_NS6detail27convert_result_type_wrapperISA_SB_N2at6native12_GLOBAL__N_19CustomSumEEEEE10hipError_tPvRmT0_T1_jT2_SS_T4_T3_P12ihipStream_tbEUlT_E_NS1_11comp_targetILNS1_3genE2ELNS1_11target_archE906ELNS1_3gpuE6ELNS1_3repE0EEENS1_30default_config_static_selectorELNS0_4arch9wavefront6targetE0EEEvSR_.num_vgpr, 0
	.set _ZN7rocprim17ROCPRIM_400000_NS6detail17trampoline_kernelINS0_14default_configENS1_32segmented_reduce_config_selectorIN3c104HalfEEEZNS1_21segmented_reduce_implIS3_PKS6_PS6_PKiS6_N6hipcub16HIPCUB_304000_NS6detail27convert_result_type_wrapperISA_SB_N2at6native12_GLOBAL__N_19CustomSumEEEEE10hipError_tPvRmT0_T1_jT2_SS_T4_T3_P12ihipStream_tbEUlT_E_NS1_11comp_targetILNS1_3genE2ELNS1_11target_archE906ELNS1_3gpuE6ELNS1_3repE0EEENS1_30default_config_static_selectorELNS0_4arch9wavefront6targetE0EEEvSR_.num_agpr, 0
	.set _ZN7rocprim17ROCPRIM_400000_NS6detail17trampoline_kernelINS0_14default_configENS1_32segmented_reduce_config_selectorIN3c104HalfEEEZNS1_21segmented_reduce_implIS3_PKS6_PS6_PKiS6_N6hipcub16HIPCUB_304000_NS6detail27convert_result_type_wrapperISA_SB_N2at6native12_GLOBAL__N_19CustomSumEEEEE10hipError_tPvRmT0_T1_jT2_SS_T4_T3_P12ihipStream_tbEUlT_E_NS1_11comp_targetILNS1_3genE2ELNS1_11target_archE906ELNS1_3gpuE6ELNS1_3repE0EEENS1_30default_config_static_selectorELNS0_4arch9wavefront6targetE0EEEvSR_.numbered_sgpr, 0
	.set _ZN7rocprim17ROCPRIM_400000_NS6detail17trampoline_kernelINS0_14default_configENS1_32segmented_reduce_config_selectorIN3c104HalfEEEZNS1_21segmented_reduce_implIS3_PKS6_PS6_PKiS6_N6hipcub16HIPCUB_304000_NS6detail27convert_result_type_wrapperISA_SB_N2at6native12_GLOBAL__N_19CustomSumEEEEE10hipError_tPvRmT0_T1_jT2_SS_T4_T3_P12ihipStream_tbEUlT_E_NS1_11comp_targetILNS1_3genE2ELNS1_11target_archE906ELNS1_3gpuE6ELNS1_3repE0EEENS1_30default_config_static_selectorELNS0_4arch9wavefront6targetE0EEEvSR_.num_named_barrier, 0
	.set _ZN7rocprim17ROCPRIM_400000_NS6detail17trampoline_kernelINS0_14default_configENS1_32segmented_reduce_config_selectorIN3c104HalfEEEZNS1_21segmented_reduce_implIS3_PKS6_PS6_PKiS6_N6hipcub16HIPCUB_304000_NS6detail27convert_result_type_wrapperISA_SB_N2at6native12_GLOBAL__N_19CustomSumEEEEE10hipError_tPvRmT0_T1_jT2_SS_T4_T3_P12ihipStream_tbEUlT_E_NS1_11comp_targetILNS1_3genE2ELNS1_11target_archE906ELNS1_3gpuE6ELNS1_3repE0EEENS1_30default_config_static_selectorELNS0_4arch9wavefront6targetE0EEEvSR_.private_seg_size, 0
	.set _ZN7rocprim17ROCPRIM_400000_NS6detail17trampoline_kernelINS0_14default_configENS1_32segmented_reduce_config_selectorIN3c104HalfEEEZNS1_21segmented_reduce_implIS3_PKS6_PS6_PKiS6_N6hipcub16HIPCUB_304000_NS6detail27convert_result_type_wrapperISA_SB_N2at6native12_GLOBAL__N_19CustomSumEEEEE10hipError_tPvRmT0_T1_jT2_SS_T4_T3_P12ihipStream_tbEUlT_E_NS1_11comp_targetILNS1_3genE2ELNS1_11target_archE906ELNS1_3gpuE6ELNS1_3repE0EEENS1_30default_config_static_selectorELNS0_4arch9wavefront6targetE0EEEvSR_.uses_vcc, 0
	.set _ZN7rocprim17ROCPRIM_400000_NS6detail17trampoline_kernelINS0_14default_configENS1_32segmented_reduce_config_selectorIN3c104HalfEEEZNS1_21segmented_reduce_implIS3_PKS6_PS6_PKiS6_N6hipcub16HIPCUB_304000_NS6detail27convert_result_type_wrapperISA_SB_N2at6native12_GLOBAL__N_19CustomSumEEEEE10hipError_tPvRmT0_T1_jT2_SS_T4_T3_P12ihipStream_tbEUlT_E_NS1_11comp_targetILNS1_3genE2ELNS1_11target_archE906ELNS1_3gpuE6ELNS1_3repE0EEENS1_30default_config_static_selectorELNS0_4arch9wavefront6targetE0EEEvSR_.uses_flat_scratch, 0
	.set _ZN7rocprim17ROCPRIM_400000_NS6detail17trampoline_kernelINS0_14default_configENS1_32segmented_reduce_config_selectorIN3c104HalfEEEZNS1_21segmented_reduce_implIS3_PKS6_PS6_PKiS6_N6hipcub16HIPCUB_304000_NS6detail27convert_result_type_wrapperISA_SB_N2at6native12_GLOBAL__N_19CustomSumEEEEE10hipError_tPvRmT0_T1_jT2_SS_T4_T3_P12ihipStream_tbEUlT_E_NS1_11comp_targetILNS1_3genE2ELNS1_11target_archE906ELNS1_3gpuE6ELNS1_3repE0EEENS1_30default_config_static_selectorELNS0_4arch9wavefront6targetE0EEEvSR_.has_dyn_sized_stack, 0
	.set _ZN7rocprim17ROCPRIM_400000_NS6detail17trampoline_kernelINS0_14default_configENS1_32segmented_reduce_config_selectorIN3c104HalfEEEZNS1_21segmented_reduce_implIS3_PKS6_PS6_PKiS6_N6hipcub16HIPCUB_304000_NS6detail27convert_result_type_wrapperISA_SB_N2at6native12_GLOBAL__N_19CustomSumEEEEE10hipError_tPvRmT0_T1_jT2_SS_T4_T3_P12ihipStream_tbEUlT_E_NS1_11comp_targetILNS1_3genE2ELNS1_11target_archE906ELNS1_3gpuE6ELNS1_3repE0EEENS1_30default_config_static_selectorELNS0_4arch9wavefront6targetE0EEEvSR_.has_recursion, 0
	.set _ZN7rocprim17ROCPRIM_400000_NS6detail17trampoline_kernelINS0_14default_configENS1_32segmented_reduce_config_selectorIN3c104HalfEEEZNS1_21segmented_reduce_implIS3_PKS6_PS6_PKiS6_N6hipcub16HIPCUB_304000_NS6detail27convert_result_type_wrapperISA_SB_N2at6native12_GLOBAL__N_19CustomSumEEEEE10hipError_tPvRmT0_T1_jT2_SS_T4_T3_P12ihipStream_tbEUlT_E_NS1_11comp_targetILNS1_3genE2ELNS1_11target_archE906ELNS1_3gpuE6ELNS1_3repE0EEENS1_30default_config_static_selectorELNS0_4arch9wavefront6targetE0EEEvSR_.has_indirect_call, 0
	.section	.AMDGPU.csdata,"",@progbits
; Kernel info:
; codeLenInByte = 0
; TotalNumSgprs: 0
; NumVgprs: 0
; ScratchSize: 0
; MemoryBound: 0
; FloatMode: 240
; IeeeMode: 1
; LDSByteSize: 0 bytes/workgroup (compile time only)
; SGPRBlocks: 0
; VGPRBlocks: 0
; NumSGPRsForWavesPerEU: 1
; NumVGPRsForWavesPerEU: 1
; Occupancy: 16
; WaveLimiterHint : 0
; COMPUTE_PGM_RSRC2:SCRATCH_EN: 0
; COMPUTE_PGM_RSRC2:USER_SGPR: 6
; COMPUTE_PGM_RSRC2:TRAP_HANDLER: 0
; COMPUTE_PGM_RSRC2:TGID_X_EN: 1
; COMPUTE_PGM_RSRC2:TGID_Y_EN: 0
; COMPUTE_PGM_RSRC2:TGID_Z_EN: 0
; COMPUTE_PGM_RSRC2:TIDIG_COMP_CNT: 0
	.section	.text._ZN7rocprim17ROCPRIM_400000_NS6detail17trampoline_kernelINS0_14default_configENS1_32segmented_reduce_config_selectorIN3c104HalfEEEZNS1_21segmented_reduce_implIS3_PKS6_PS6_PKiS6_N6hipcub16HIPCUB_304000_NS6detail27convert_result_type_wrapperISA_SB_N2at6native12_GLOBAL__N_19CustomSumEEEEE10hipError_tPvRmT0_T1_jT2_SS_T4_T3_P12ihipStream_tbEUlT_E_NS1_11comp_targetILNS1_3genE9ELNS1_11target_archE1100ELNS1_3gpuE3ELNS1_3repE0EEENS1_30default_config_static_selectorELNS0_4arch9wavefront6targetE0EEEvSR_,"axG",@progbits,_ZN7rocprim17ROCPRIM_400000_NS6detail17trampoline_kernelINS0_14default_configENS1_32segmented_reduce_config_selectorIN3c104HalfEEEZNS1_21segmented_reduce_implIS3_PKS6_PS6_PKiS6_N6hipcub16HIPCUB_304000_NS6detail27convert_result_type_wrapperISA_SB_N2at6native12_GLOBAL__N_19CustomSumEEEEE10hipError_tPvRmT0_T1_jT2_SS_T4_T3_P12ihipStream_tbEUlT_E_NS1_11comp_targetILNS1_3genE9ELNS1_11target_archE1100ELNS1_3gpuE3ELNS1_3repE0EEENS1_30default_config_static_selectorELNS0_4arch9wavefront6targetE0EEEvSR_,comdat
	.globl	_ZN7rocprim17ROCPRIM_400000_NS6detail17trampoline_kernelINS0_14default_configENS1_32segmented_reduce_config_selectorIN3c104HalfEEEZNS1_21segmented_reduce_implIS3_PKS6_PS6_PKiS6_N6hipcub16HIPCUB_304000_NS6detail27convert_result_type_wrapperISA_SB_N2at6native12_GLOBAL__N_19CustomSumEEEEE10hipError_tPvRmT0_T1_jT2_SS_T4_T3_P12ihipStream_tbEUlT_E_NS1_11comp_targetILNS1_3genE9ELNS1_11target_archE1100ELNS1_3gpuE3ELNS1_3repE0EEENS1_30default_config_static_selectorELNS0_4arch9wavefront6targetE0EEEvSR_ ; -- Begin function _ZN7rocprim17ROCPRIM_400000_NS6detail17trampoline_kernelINS0_14default_configENS1_32segmented_reduce_config_selectorIN3c104HalfEEEZNS1_21segmented_reduce_implIS3_PKS6_PS6_PKiS6_N6hipcub16HIPCUB_304000_NS6detail27convert_result_type_wrapperISA_SB_N2at6native12_GLOBAL__N_19CustomSumEEEEE10hipError_tPvRmT0_T1_jT2_SS_T4_T3_P12ihipStream_tbEUlT_E_NS1_11comp_targetILNS1_3genE9ELNS1_11target_archE1100ELNS1_3gpuE3ELNS1_3repE0EEENS1_30default_config_static_selectorELNS0_4arch9wavefront6targetE0EEEvSR_
	.p2align	8
	.type	_ZN7rocprim17ROCPRIM_400000_NS6detail17trampoline_kernelINS0_14default_configENS1_32segmented_reduce_config_selectorIN3c104HalfEEEZNS1_21segmented_reduce_implIS3_PKS6_PS6_PKiS6_N6hipcub16HIPCUB_304000_NS6detail27convert_result_type_wrapperISA_SB_N2at6native12_GLOBAL__N_19CustomSumEEEEE10hipError_tPvRmT0_T1_jT2_SS_T4_T3_P12ihipStream_tbEUlT_E_NS1_11comp_targetILNS1_3genE9ELNS1_11target_archE1100ELNS1_3gpuE3ELNS1_3repE0EEENS1_30default_config_static_selectorELNS0_4arch9wavefront6targetE0EEEvSR_,@function
_ZN7rocprim17ROCPRIM_400000_NS6detail17trampoline_kernelINS0_14default_configENS1_32segmented_reduce_config_selectorIN3c104HalfEEEZNS1_21segmented_reduce_implIS3_PKS6_PS6_PKiS6_N6hipcub16HIPCUB_304000_NS6detail27convert_result_type_wrapperISA_SB_N2at6native12_GLOBAL__N_19CustomSumEEEEE10hipError_tPvRmT0_T1_jT2_SS_T4_T3_P12ihipStream_tbEUlT_E_NS1_11comp_targetILNS1_3genE9ELNS1_11target_archE1100ELNS1_3gpuE3ELNS1_3repE0EEENS1_30default_config_static_selectorELNS0_4arch9wavefront6targetE0EEEvSR_: ; @_ZN7rocprim17ROCPRIM_400000_NS6detail17trampoline_kernelINS0_14default_configENS1_32segmented_reduce_config_selectorIN3c104HalfEEEZNS1_21segmented_reduce_implIS3_PKS6_PS6_PKiS6_N6hipcub16HIPCUB_304000_NS6detail27convert_result_type_wrapperISA_SB_N2at6native12_GLOBAL__N_19CustomSumEEEEE10hipError_tPvRmT0_T1_jT2_SS_T4_T3_P12ihipStream_tbEUlT_E_NS1_11comp_targetILNS1_3genE9ELNS1_11target_archE1100ELNS1_3gpuE3ELNS1_3repE0EEENS1_30default_config_static_selectorELNS0_4arch9wavefront6targetE0EEEvSR_
; %bb.0:
	.section	.rodata,"a",@progbits
	.p2align	6, 0x0
	.amdhsa_kernel _ZN7rocprim17ROCPRIM_400000_NS6detail17trampoline_kernelINS0_14default_configENS1_32segmented_reduce_config_selectorIN3c104HalfEEEZNS1_21segmented_reduce_implIS3_PKS6_PS6_PKiS6_N6hipcub16HIPCUB_304000_NS6detail27convert_result_type_wrapperISA_SB_N2at6native12_GLOBAL__N_19CustomSumEEEEE10hipError_tPvRmT0_T1_jT2_SS_T4_T3_P12ihipStream_tbEUlT_E_NS1_11comp_targetILNS1_3genE9ELNS1_11target_archE1100ELNS1_3gpuE3ELNS1_3repE0EEENS1_30default_config_static_selectorELNS0_4arch9wavefront6targetE0EEEvSR_
		.amdhsa_group_segment_fixed_size 0
		.amdhsa_private_segment_fixed_size 0
		.amdhsa_kernarg_size 48
		.amdhsa_user_sgpr_count 6
		.amdhsa_user_sgpr_private_segment_buffer 1
		.amdhsa_user_sgpr_dispatch_ptr 0
		.amdhsa_user_sgpr_queue_ptr 0
		.amdhsa_user_sgpr_kernarg_segment_ptr 1
		.amdhsa_user_sgpr_dispatch_id 0
		.amdhsa_user_sgpr_flat_scratch_init 0
		.amdhsa_user_sgpr_private_segment_size 0
		.amdhsa_wavefront_size32 1
		.amdhsa_uses_dynamic_stack 0
		.amdhsa_system_sgpr_private_segment_wavefront_offset 0
		.amdhsa_system_sgpr_workgroup_id_x 1
		.amdhsa_system_sgpr_workgroup_id_y 0
		.amdhsa_system_sgpr_workgroup_id_z 0
		.amdhsa_system_sgpr_workgroup_info 0
		.amdhsa_system_vgpr_workitem_id 0
		.amdhsa_next_free_vgpr 1
		.amdhsa_next_free_sgpr 1
		.amdhsa_reserve_vcc 0
		.amdhsa_reserve_flat_scratch 0
		.amdhsa_float_round_mode_32 0
		.amdhsa_float_round_mode_16_64 0
		.amdhsa_float_denorm_mode_32 3
		.amdhsa_float_denorm_mode_16_64 3
		.amdhsa_dx10_clamp 1
		.amdhsa_ieee_mode 1
		.amdhsa_fp16_overflow 0
		.amdhsa_workgroup_processor_mode 1
		.amdhsa_memory_ordered 1
		.amdhsa_forward_progress 1
		.amdhsa_shared_vgpr_count 0
		.amdhsa_exception_fp_ieee_invalid_op 0
		.amdhsa_exception_fp_denorm_src 0
		.amdhsa_exception_fp_ieee_div_zero 0
		.amdhsa_exception_fp_ieee_overflow 0
		.amdhsa_exception_fp_ieee_underflow 0
		.amdhsa_exception_fp_ieee_inexact 0
		.amdhsa_exception_int_div_zero 0
	.end_amdhsa_kernel
	.section	.text._ZN7rocprim17ROCPRIM_400000_NS6detail17trampoline_kernelINS0_14default_configENS1_32segmented_reduce_config_selectorIN3c104HalfEEEZNS1_21segmented_reduce_implIS3_PKS6_PS6_PKiS6_N6hipcub16HIPCUB_304000_NS6detail27convert_result_type_wrapperISA_SB_N2at6native12_GLOBAL__N_19CustomSumEEEEE10hipError_tPvRmT0_T1_jT2_SS_T4_T3_P12ihipStream_tbEUlT_E_NS1_11comp_targetILNS1_3genE9ELNS1_11target_archE1100ELNS1_3gpuE3ELNS1_3repE0EEENS1_30default_config_static_selectorELNS0_4arch9wavefront6targetE0EEEvSR_,"axG",@progbits,_ZN7rocprim17ROCPRIM_400000_NS6detail17trampoline_kernelINS0_14default_configENS1_32segmented_reduce_config_selectorIN3c104HalfEEEZNS1_21segmented_reduce_implIS3_PKS6_PS6_PKiS6_N6hipcub16HIPCUB_304000_NS6detail27convert_result_type_wrapperISA_SB_N2at6native12_GLOBAL__N_19CustomSumEEEEE10hipError_tPvRmT0_T1_jT2_SS_T4_T3_P12ihipStream_tbEUlT_E_NS1_11comp_targetILNS1_3genE9ELNS1_11target_archE1100ELNS1_3gpuE3ELNS1_3repE0EEENS1_30default_config_static_selectorELNS0_4arch9wavefront6targetE0EEEvSR_,comdat
.Lfunc_end91:
	.size	_ZN7rocprim17ROCPRIM_400000_NS6detail17trampoline_kernelINS0_14default_configENS1_32segmented_reduce_config_selectorIN3c104HalfEEEZNS1_21segmented_reduce_implIS3_PKS6_PS6_PKiS6_N6hipcub16HIPCUB_304000_NS6detail27convert_result_type_wrapperISA_SB_N2at6native12_GLOBAL__N_19CustomSumEEEEE10hipError_tPvRmT0_T1_jT2_SS_T4_T3_P12ihipStream_tbEUlT_E_NS1_11comp_targetILNS1_3genE9ELNS1_11target_archE1100ELNS1_3gpuE3ELNS1_3repE0EEENS1_30default_config_static_selectorELNS0_4arch9wavefront6targetE0EEEvSR_, .Lfunc_end91-_ZN7rocprim17ROCPRIM_400000_NS6detail17trampoline_kernelINS0_14default_configENS1_32segmented_reduce_config_selectorIN3c104HalfEEEZNS1_21segmented_reduce_implIS3_PKS6_PS6_PKiS6_N6hipcub16HIPCUB_304000_NS6detail27convert_result_type_wrapperISA_SB_N2at6native12_GLOBAL__N_19CustomSumEEEEE10hipError_tPvRmT0_T1_jT2_SS_T4_T3_P12ihipStream_tbEUlT_E_NS1_11comp_targetILNS1_3genE9ELNS1_11target_archE1100ELNS1_3gpuE3ELNS1_3repE0EEENS1_30default_config_static_selectorELNS0_4arch9wavefront6targetE0EEEvSR_
                                        ; -- End function
	.set _ZN7rocprim17ROCPRIM_400000_NS6detail17trampoline_kernelINS0_14default_configENS1_32segmented_reduce_config_selectorIN3c104HalfEEEZNS1_21segmented_reduce_implIS3_PKS6_PS6_PKiS6_N6hipcub16HIPCUB_304000_NS6detail27convert_result_type_wrapperISA_SB_N2at6native12_GLOBAL__N_19CustomSumEEEEE10hipError_tPvRmT0_T1_jT2_SS_T4_T3_P12ihipStream_tbEUlT_E_NS1_11comp_targetILNS1_3genE9ELNS1_11target_archE1100ELNS1_3gpuE3ELNS1_3repE0EEENS1_30default_config_static_selectorELNS0_4arch9wavefront6targetE0EEEvSR_.num_vgpr, 0
	.set _ZN7rocprim17ROCPRIM_400000_NS6detail17trampoline_kernelINS0_14default_configENS1_32segmented_reduce_config_selectorIN3c104HalfEEEZNS1_21segmented_reduce_implIS3_PKS6_PS6_PKiS6_N6hipcub16HIPCUB_304000_NS6detail27convert_result_type_wrapperISA_SB_N2at6native12_GLOBAL__N_19CustomSumEEEEE10hipError_tPvRmT0_T1_jT2_SS_T4_T3_P12ihipStream_tbEUlT_E_NS1_11comp_targetILNS1_3genE9ELNS1_11target_archE1100ELNS1_3gpuE3ELNS1_3repE0EEENS1_30default_config_static_selectorELNS0_4arch9wavefront6targetE0EEEvSR_.num_agpr, 0
	.set _ZN7rocprim17ROCPRIM_400000_NS6detail17trampoline_kernelINS0_14default_configENS1_32segmented_reduce_config_selectorIN3c104HalfEEEZNS1_21segmented_reduce_implIS3_PKS6_PS6_PKiS6_N6hipcub16HIPCUB_304000_NS6detail27convert_result_type_wrapperISA_SB_N2at6native12_GLOBAL__N_19CustomSumEEEEE10hipError_tPvRmT0_T1_jT2_SS_T4_T3_P12ihipStream_tbEUlT_E_NS1_11comp_targetILNS1_3genE9ELNS1_11target_archE1100ELNS1_3gpuE3ELNS1_3repE0EEENS1_30default_config_static_selectorELNS0_4arch9wavefront6targetE0EEEvSR_.numbered_sgpr, 0
	.set _ZN7rocprim17ROCPRIM_400000_NS6detail17trampoline_kernelINS0_14default_configENS1_32segmented_reduce_config_selectorIN3c104HalfEEEZNS1_21segmented_reduce_implIS3_PKS6_PS6_PKiS6_N6hipcub16HIPCUB_304000_NS6detail27convert_result_type_wrapperISA_SB_N2at6native12_GLOBAL__N_19CustomSumEEEEE10hipError_tPvRmT0_T1_jT2_SS_T4_T3_P12ihipStream_tbEUlT_E_NS1_11comp_targetILNS1_3genE9ELNS1_11target_archE1100ELNS1_3gpuE3ELNS1_3repE0EEENS1_30default_config_static_selectorELNS0_4arch9wavefront6targetE0EEEvSR_.num_named_barrier, 0
	.set _ZN7rocprim17ROCPRIM_400000_NS6detail17trampoline_kernelINS0_14default_configENS1_32segmented_reduce_config_selectorIN3c104HalfEEEZNS1_21segmented_reduce_implIS3_PKS6_PS6_PKiS6_N6hipcub16HIPCUB_304000_NS6detail27convert_result_type_wrapperISA_SB_N2at6native12_GLOBAL__N_19CustomSumEEEEE10hipError_tPvRmT0_T1_jT2_SS_T4_T3_P12ihipStream_tbEUlT_E_NS1_11comp_targetILNS1_3genE9ELNS1_11target_archE1100ELNS1_3gpuE3ELNS1_3repE0EEENS1_30default_config_static_selectorELNS0_4arch9wavefront6targetE0EEEvSR_.private_seg_size, 0
	.set _ZN7rocprim17ROCPRIM_400000_NS6detail17trampoline_kernelINS0_14default_configENS1_32segmented_reduce_config_selectorIN3c104HalfEEEZNS1_21segmented_reduce_implIS3_PKS6_PS6_PKiS6_N6hipcub16HIPCUB_304000_NS6detail27convert_result_type_wrapperISA_SB_N2at6native12_GLOBAL__N_19CustomSumEEEEE10hipError_tPvRmT0_T1_jT2_SS_T4_T3_P12ihipStream_tbEUlT_E_NS1_11comp_targetILNS1_3genE9ELNS1_11target_archE1100ELNS1_3gpuE3ELNS1_3repE0EEENS1_30default_config_static_selectorELNS0_4arch9wavefront6targetE0EEEvSR_.uses_vcc, 0
	.set _ZN7rocprim17ROCPRIM_400000_NS6detail17trampoline_kernelINS0_14default_configENS1_32segmented_reduce_config_selectorIN3c104HalfEEEZNS1_21segmented_reduce_implIS3_PKS6_PS6_PKiS6_N6hipcub16HIPCUB_304000_NS6detail27convert_result_type_wrapperISA_SB_N2at6native12_GLOBAL__N_19CustomSumEEEEE10hipError_tPvRmT0_T1_jT2_SS_T4_T3_P12ihipStream_tbEUlT_E_NS1_11comp_targetILNS1_3genE9ELNS1_11target_archE1100ELNS1_3gpuE3ELNS1_3repE0EEENS1_30default_config_static_selectorELNS0_4arch9wavefront6targetE0EEEvSR_.uses_flat_scratch, 0
	.set _ZN7rocprim17ROCPRIM_400000_NS6detail17trampoline_kernelINS0_14default_configENS1_32segmented_reduce_config_selectorIN3c104HalfEEEZNS1_21segmented_reduce_implIS3_PKS6_PS6_PKiS6_N6hipcub16HIPCUB_304000_NS6detail27convert_result_type_wrapperISA_SB_N2at6native12_GLOBAL__N_19CustomSumEEEEE10hipError_tPvRmT0_T1_jT2_SS_T4_T3_P12ihipStream_tbEUlT_E_NS1_11comp_targetILNS1_3genE9ELNS1_11target_archE1100ELNS1_3gpuE3ELNS1_3repE0EEENS1_30default_config_static_selectorELNS0_4arch9wavefront6targetE0EEEvSR_.has_dyn_sized_stack, 0
	.set _ZN7rocprim17ROCPRIM_400000_NS6detail17trampoline_kernelINS0_14default_configENS1_32segmented_reduce_config_selectorIN3c104HalfEEEZNS1_21segmented_reduce_implIS3_PKS6_PS6_PKiS6_N6hipcub16HIPCUB_304000_NS6detail27convert_result_type_wrapperISA_SB_N2at6native12_GLOBAL__N_19CustomSumEEEEE10hipError_tPvRmT0_T1_jT2_SS_T4_T3_P12ihipStream_tbEUlT_E_NS1_11comp_targetILNS1_3genE9ELNS1_11target_archE1100ELNS1_3gpuE3ELNS1_3repE0EEENS1_30default_config_static_selectorELNS0_4arch9wavefront6targetE0EEEvSR_.has_recursion, 0
	.set _ZN7rocprim17ROCPRIM_400000_NS6detail17trampoline_kernelINS0_14default_configENS1_32segmented_reduce_config_selectorIN3c104HalfEEEZNS1_21segmented_reduce_implIS3_PKS6_PS6_PKiS6_N6hipcub16HIPCUB_304000_NS6detail27convert_result_type_wrapperISA_SB_N2at6native12_GLOBAL__N_19CustomSumEEEEE10hipError_tPvRmT0_T1_jT2_SS_T4_T3_P12ihipStream_tbEUlT_E_NS1_11comp_targetILNS1_3genE9ELNS1_11target_archE1100ELNS1_3gpuE3ELNS1_3repE0EEENS1_30default_config_static_selectorELNS0_4arch9wavefront6targetE0EEEvSR_.has_indirect_call, 0
	.section	.AMDGPU.csdata,"",@progbits
; Kernel info:
; codeLenInByte = 0
; TotalNumSgprs: 0
; NumVgprs: 0
; ScratchSize: 0
; MemoryBound: 0
; FloatMode: 240
; IeeeMode: 1
; LDSByteSize: 0 bytes/workgroup (compile time only)
; SGPRBlocks: 0
; VGPRBlocks: 0
; NumSGPRsForWavesPerEU: 1
; NumVGPRsForWavesPerEU: 1
; Occupancy: 16
; WaveLimiterHint : 0
; COMPUTE_PGM_RSRC2:SCRATCH_EN: 0
; COMPUTE_PGM_RSRC2:USER_SGPR: 6
; COMPUTE_PGM_RSRC2:TRAP_HANDLER: 0
; COMPUTE_PGM_RSRC2:TGID_X_EN: 1
; COMPUTE_PGM_RSRC2:TGID_Y_EN: 0
; COMPUTE_PGM_RSRC2:TGID_Z_EN: 0
; COMPUTE_PGM_RSRC2:TIDIG_COMP_CNT: 0
	.section	.text._ZN7rocprim17ROCPRIM_400000_NS6detail17trampoline_kernelINS0_14default_configENS1_32segmented_reduce_config_selectorIN3c104HalfEEEZNS1_21segmented_reduce_implIS3_PKS6_PS6_PKiS6_N6hipcub16HIPCUB_304000_NS6detail27convert_result_type_wrapperISA_SB_N2at6native12_GLOBAL__N_19CustomSumEEEEE10hipError_tPvRmT0_T1_jT2_SS_T4_T3_P12ihipStream_tbEUlT_E_NS1_11comp_targetILNS1_3genE8ELNS1_11target_archE1030ELNS1_3gpuE2ELNS1_3repE0EEENS1_30default_config_static_selectorELNS0_4arch9wavefront6targetE0EEEvSR_,"axG",@progbits,_ZN7rocprim17ROCPRIM_400000_NS6detail17trampoline_kernelINS0_14default_configENS1_32segmented_reduce_config_selectorIN3c104HalfEEEZNS1_21segmented_reduce_implIS3_PKS6_PS6_PKiS6_N6hipcub16HIPCUB_304000_NS6detail27convert_result_type_wrapperISA_SB_N2at6native12_GLOBAL__N_19CustomSumEEEEE10hipError_tPvRmT0_T1_jT2_SS_T4_T3_P12ihipStream_tbEUlT_E_NS1_11comp_targetILNS1_3genE8ELNS1_11target_archE1030ELNS1_3gpuE2ELNS1_3repE0EEENS1_30default_config_static_selectorELNS0_4arch9wavefront6targetE0EEEvSR_,comdat
	.globl	_ZN7rocprim17ROCPRIM_400000_NS6detail17trampoline_kernelINS0_14default_configENS1_32segmented_reduce_config_selectorIN3c104HalfEEEZNS1_21segmented_reduce_implIS3_PKS6_PS6_PKiS6_N6hipcub16HIPCUB_304000_NS6detail27convert_result_type_wrapperISA_SB_N2at6native12_GLOBAL__N_19CustomSumEEEEE10hipError_tPvRmT0_T1_jT2_SS_T4_T3_P12ihipStream_tbEUlT_E_NS1_11comp_targetILNS1_3genE8ELNS1_11target_archE1030ELNS1_3gpuE2ELNS1_3repE0EEENS1_30default_config_static_selectorELNS0_4arch9wavefront6targetE0EEEvSR_ ; -- Begin function _ZN7rocprim17ROCPRIM_400000_NS6detail17trampoline_kernelINS0_14default_configENS1_32segmented_reduce_config_selectorIN3c104HalfEEEZNS1_21segmented_reduce_implIS3_PKS6_PS6_PKiS6_N6hipcub16HIPCUB_304000_NS6detail27convert_result_type_wrapperISA_SB_N2at6native12_GLOBAL__N_19CustomSumEEEEE10hipError_tPvRmT0_T1_jT2_SS_T4_T3_P12ihipStream_tbEUlT_E_NS1_11comp_targetILNS1_3genE8ELNS1_11target_archE1030ELNS1_3gpuE2ELNS1_3repE0EEENS1_30default_config_static_selectorELNS0_4arch9wavefront6targetE0EEEvSR_
	.p2align	8
	.type	_ZN7rocprim17ROCPRIM_400000_NS6detail17trampoline_kernelINS0_14default_configENS1_32segmented_reduce_config_selectorIN3c104HalfEEEZNS1_21segmented_reduce_implIS3_PKS6_PS6_PKiS6_N6hipcub16HIPCUB_304000_NS6detail27convert_result_type_wrapperISA_SB_N2at6native12_GLOBAL__N_19CustomSumEEEEE10hipError_tPvRmT0_T1_jT2_SS_T4_T3_P12ihipStream_tbEUlT_E_NS1_11comp_targetILNS1_3genE8ELNS1_11target_archE1030ELNS1_3gpuE2ELNS1_3repE0EEENS1_30default_config_static_selectorELNS0_4arch9wavefront6targetE0EEEvSR_,@function
_ZN7rocprim17ROCPRIM_400000_NS6detail17trampoline_kernelINS0_14default_configENS1_32segmented_reduce_config_selectorIN3c104HalfEEEZNS1_21segmented_reduce_implIS3_PKS6_PS6_PKiS6_N6hipcub16HIPCUB_304000_NS6detail27convert_result_type_wrapperISA_SB_N2at6native12_GLOBAL__N_19CustomSumEEEEE10hipError_tPvRmT0_T1_jT2_SS_T4_T3_P12ihipStream_tbEUlT_E_NS1_11comp_targetILNS1_3genE8ELNS1_11target_archE1030ELNS1_3gpuE2ELNS1_3repE0EEENS1_30default_config_static_selectorELNS0_4arch9wavefront6targetE0EEEvSR_: ; @_ZN7rocprim17ROCPRIM_400000_NS6detail17trampoline_kernelINS0_14default_configENS1_32segmented_reduce_config_selectorIN3c104HalfEEEZNS1_21segmented_reduce_implIS3_PKS6_PS6_PKiS6_N6hipcub16HIPCUB_304000_NS6detail27convert_result_type_wrapperISA_SB_N2at6native12_GLOBAL__N_19CustomSumEEEEE10hipError_tPvRmT0_T1_jT2_SS_T4_T3_P12ihipStream_tbEUlT_E_NS1_11comp_targetILNS1_3genE8ELNS1_11target_archE1030ELNS1_3gpuE2ELNS1_3repE0EEENS1_30default_config_static_selectorELNS0_4arch9wavefront6targetE0EEEvSR_
; %bb.0:
	s_clause 0x2
	s_load_dwordx8 s[12:19], s[4:5], 0x0
	s_load_dword s7, s[4:5], 0x28
	s_load_dwordx2 s[0:1], s[4:5], 0x20
	v_cmp_eq_u32_e32 vcc_lo, 0, v0
	s_waitcnt lgkmcnt(0)
	s_lshl_b64 s[2:3], s[16:17], 1
	s_lshr_b32 s9, s7, 16
	s_add_u32 s20, s14, s2
	s_addc_u32 s21, s15, s3
	s_lshl_b64 s[2:3], s[16:17], 2
	s_mov_b32 s7, 0
	s_add_u32 s4, s18, s2
	s_addc_u32 s5, s19, s3
	s_add_u32 s8, s0, s2
	s_addc_u32 s10, s1, s3
	s_lshl_b64 s[0:1], s[6:7], 2
	s_add_u32 s2, s4, s0
	s_addc_u32 s3, s5, s1
	s_add_u32 s0, s8, s0
	s_addc_u32 s1, s10, s1
	s_load_dword s10, s[2:3], 0x0
	s_load_dword s16, s[0:1], 0x0
	s_mov_b32 s0, -1
	s_waitcnt lgkmcnt(0)
	s_cmp_gt_i32 s16, s10
	s_cbranch_scc1 .LBB92_4
; %bb.1:
	s_and_saveexec_b32 s0, vcc_lo
	s_cbranch_execz .LBB92_3
; %bb.2:
	s_lshl_b64 s[2:3], s[6:7], 1
	v_mov_b32_e32 v1, 0
	v_mov_b32_e32 v2, s9
	s_add_u32 s2, s20, s2
	s_addc_u32 s3, s21, s3
	global_store_short v1, v2, s[2:3]
.LBB92_3:
	s_or_b32 exec_lo, exec_lo, s0
	s_mov_b32 s0, 0
.LBB92_4:
	s_andn2_b32 vcc_lo, exec_lo, s0
	s_cbranch_vccnz .LBB92_53
; %bb.5:
	s_add_i32 s0, s10, 0x800
	s_cmp_le_i32 s0, s16
	s_cbranch_scc0 .LBB92_30
; %bb.6:
	s_ashr_i32 s11, s10, 31
	v_lshlrev_b32_e32 v10, 1, v0
	s_lshl_b64 s[2:3], s[10:11], 1
	s_add_u32 s2, s12, s2
	s_addc_u32 s3, s13, s3
	v_add_co_u32 v4, s1, s2, v10
	s_clause 0x1
	global_load_ushort v1, v10, s[2:3]
	global_load_ushort v2, v10, s[2:3] offset:512
	v_add_co_ci_u32_e64 v5, null, s3, 0, s1
	global_load_ushort v3, v10, s[2:3] offset:1024
	v_add_co_u32 v11, vcc_lo, 0x800, v4
	v_add_co_ci_u32_e64 v12, null, 0, v5, vcc_lo
	s_add_i32 s1, s10, 0x1000
	s_clause 0x4
	global_load_ushort v4, v10, s[2:3] offset:1536
	global_load_ushort v6, v[11:12], off
	global_load_ushort v7, v[11:12], off offset:512
	global_load_ushort v8, v[11:12], off offset:1024
	;; [unrolled: 1-line block ×3, first 2 shown]
	s_cmp_ge_i32 s1, s16
	s_waitcnt vmcnt(6)
	v_add_f16_e32 v5, v1, v2
	s_waitcnt vmcnt(5)
	v_add_f16_e32 v5, v5, v3
	;; [unrolled: 2-line block ×7, first 2 shown]
	s_cbranch_scc1 .LBB92_9
; %bb.7:
	v_add_co_u32 v11, s1, s12, v10
	v_add_co_ci_u32_e64 v12, null, s13, 0, s1
	s_inst_prefetch 0x1
	.p2align	6
.LBB92_8:                               ; =>This Inner Loop Header: Depth=1
	s_ashr_i32 s1, s0, 31
	s_lshl_b64 s[2:3], s[0:1], 1
	s_add_i32 s1, s0, 0x1000
	v_add_co_u32 v6, vcc_lo, v11, s2
	v_add_co_ci_u32_e64 v7, null, s3, v12, vcc_lo
	s_addk_i32 s0, 0x800
	v_add_co_u32 v13, vcc_lo, 0x800, v6
	s_clause 0x2
	global_load_ushort v1, v[6:7], off
	global_load_ushort v2, v[6:7], off offset:512
	global_load_ushort v3, v[6:7], off offset:1024
	v_add_co_ci_u32_e64 v14, null, 0, v7, vcc_lo
	s_cmp_lt_i32 s1, s16
	s_clause 0x4
	global_load_ushort v4, v[6:7], off offset:1536
	global_load_ushort v6, v[13:14], off
	global_load_ushort v7, v[13:14], off offset:512
	global_load_ushort v8, v[13:14], off offset:1024
	;; [unrolled: 1-line block ×3, first 2 shown]
	s_waitcnt vmcnt(7)
	v_add_f16_e32 v5, v5, v1
	s_waitcnt vmcnt(6)
	v_add_f16_e32 v5, v5, v2
	;; [unrolled: 2-line block ×8, first 2 shown]
	s_cbranch_scc1 .LBB92_8
.LBB92_9:
	s_inst_prefetch 0x2
	s_ashr_i32 s1, s0, 31
	s_sub_i32 s8, s16, s0
	s_lshl_b64 s[0:1], s[0:1], 1
	v_cmp_gt_u32_e32 vcc_lo, s8, v0
	s_add_u32 s14, s12, s0
	s_addc_u32 s15, s13, s1
	s_and_saveexec_b32 s0, vcc_lo
	s_cbranch_execz .LBB92_11
; %bb.10:
	global_load_ushort v1, v10, s[14:15]
.LBB92_11:
	s_or_b32 exec_lo, exec_lo, s0
	v_or_b32_e32 v11, 0x100, v0
	v_cmp_gt_u32_e64 s0, s8, v11
	s_and_saveexec_b32 s1, s0
	s_cbranch_execz .LBB92_13
; %bb.12:
	global_load_ushort v2, v10, s[14:15] offset:512
.LBB92_13:
	s_or_b32 exec_lo, exec_lo, s1
	v_or_b32_e32 v11, 0x200, v0
	v_cmp_gt_u32_e64 s1, s8, v11
	s_and_saveexec_b32 s2, s1
	s_cbranch_execz .LBB92_15
; %bb.14:
	global_load_ushort v3, v10, s[14:15] offset:1024
.LBB92_15:
	;; [unrolled: 8-line block ×3, first 2 shown]
	s_or_b32 exec_lo, exec_lo, s3
	v_or_b32_e32 v10, 0x400, v0
	v_cmp_gt_u32_e64 s3, s8, v10
	s_and_saveexec_b32 s4, s3
	s_cbranch_execz .LBB92_19
; %bb.18:
	v_lshlrev_b32_e32 v6, 1, v10
	global_load_ushort v6, v6, s[14:15]
.LBB92_19:
	s_or_b32 exec_lo, exec_lo, s4
	v_or_b32_e32 v10, 0x500, v0
	v_cmp_gt_u32_e64 s4, s8, v10
	s_and_saveexec_b32 s5, s4
	s_cbranch_execz .LBB92_21
; %bb.20:
	v_lshlrev_b32_e32 v7, 1, v10
	global_load_ushort v7, v7, s[14:15]
.LBB92_21:
	;; [unrolled: 9-line block ×4, first 2 shown]
	s_or_b32 exec_lo, exec_lo, s11
	s_waitcnt vmcnt(0)
	v_add_f16_e32 v1, v5, v1
	v_cndmask_b32_e32 v1, v5, v1, vcc_lo
	v_add_f16_e32 v2, v1, v2
	v_cndmask_b32_e64 v1, v1, v2, s0
	s_mov_b32 s0, exec_lo
	v_add_f16_e32 v2, v1, v3
	v_cndmask_b32_e64 v1, v1, v2, s1
	v_add_f16_e32 v2, v1, v4
	v_cndmask_b32_e64 v1, v1, v2, s2
	;; [unrolled: 2-line block ×6, first 2 shown]
	v_and_b32_e32 v2, 0xffff, v1
	v_mov_b32_dpp v2, v2 quad_perm:[1,0,3,2] row_mask:0xf bank_mask:0xf
	v_add_f16_e32 v1, v1, v2
	v_and_b32_e32 v2, 0xffff, v1
	v_mov_b32_dpp v2, v2 quad_perm:[2,3,0,1] row_mask:0xf bank_mask:0xf
	v_add_f16_e32 v1, v1, v2
	v_and_b32_e32 v2, 0xffff, v1
	v_mov_b32_dpp v2, v2 row_ror:4 row_mask:0xf bank_mask:0xf
	v_add_f16_e32 v1, v1, v2
	v_and_b32_e32 v2, 0xffff, v1
	v_mov_b32_dpp v2, v2 row_ror:8 row_mask:0xf bank_mask:0xf
	v_add_f16_e32 v1, v1, v2
	v_and_b32_e32 v2, 0xffff, v1
	ds_swizzle_b32 v2, v2 offset:swizzle(BROADCAST,32,15)
	s_waitcnt lgkmcnt(0)
	v_add_f16_e32 v1, v1, v2
	v_mov_b32_e32 v2, 0
	v_and_b32_e32 v1, 0xffff, v1
	ds_bpermute_b32 v4, v2, v1 offset:124
	v_mbcnt_lo_u32_b32 v1, -1, 0
	v_cmpx_eq_u32_e32 0, v1
	s_cbranch_execz .LBB92_27
; %bb.26:
	v_lshrrev_b32_e32 v2, 4, v0
	v_and_b32_e32 v2, 14, v2
	s_waitcnt lgkmcnt(0)
	ds_write_b16 v2, v4
.LBB92_27:
	s_or_b32 exec_lo, exec_lo, s0
	s_mov_b32 s0, exec_lo
	s_waitcnt lgkmcnt(0)
	s_waitcnt_vscnt null, 0x0
	s_barrier
	buffer_gl0_inv
	v_cmpx_gt_u32_e32 32, v0
	s_cbranch_execz .LBB92_29
; %bb.28:
	v_and_b32_e32 v2, 7, v1
	v_lshlrev_b32_e32 v3, 1, v2
	v_cmp_ne_u32_e32 vcc_lo, 7, v2
	ds_read_u16 v3, v3
	v_add_co_ci_u32_e64 v4, null, 0, v1, vcc_lo
	v_cmp_gt_u32_e32 vcc_lo, 6, v2
	v_lshlrev_b32_e32 v4, 2, v4
	v_cndmask_b32_e64 v2, 0, 2, vcc_lo
	v_add_lshl_u32 v2, v2, v1, 2
	v_lshlrev_b32_e32 v1, 2, v1
	v_or_b32_e32 v1, 16, v1
	s_waitcnt lgkmcnt(0)
	v_and_b32_e32 v5, 0xffff, v3
	ds_bpermute_b32 v4, v4, v5
	s_waitcnt lgkmcnt(0)
	v_add_f16_e32 v3, v3, v4
	v_and_b32_e32 v4, 0xffff, v3
	ds_bpermute_b32 v2, v2, v4
	s_waitcnt lgkmcnt(0)
	v_add_f16_e32 v2, v3, v2
	;; [unrolled: 4-line block ×3, first 2 shown]
.LBB92_29:
	s_or_b32 exec_lo, exec_lo, s0
	s_branch .LBB92_51
.LBB92_30:
                                        ; implicit-def: $vgpr4
	s_cbranch_execz .LBB92_51
; %bb.31:
	s_sub_i32 s3, s16, s10
	s_mov_b32 s0, exec_lo
                                        ; implicit-def: $vgpr3
	v_cmpx_gt_u32_e64 s3, v0
	s_cbranch_execz .LBB92_37
; %bb.32:
	v_add_nc_u32_e32 v1, s10, v0
	s_mov_b32 s1, exec_lo
	v_ashrrev_i32_e32 v2, 31, v1
	v_lshlrev_b64 v[2:3], 1, v[1:2]
	v_add_nc_u32_e32 v1, 0x100, v1
	v_add_co_u32 v2, vcc_lo, s12, v2
	v_add_co_ci_u32_e64 v3, null, s13, v3, vcc_lo
	global_load_ushort v3, v[2:3], off
	v_cmpx_gt_i32_e64 s16, v1
	s_cbranch_execz .LBB92_36
; %bb.33:
	s_mov_b32 s2, 0
.LBB92_34:                              ; =>This Inner Loop Header: Depth=1
	v_ashrrev_i32_e32 v2, 31, v1
	v_lshlrev_b64 v[4:5], 1, v[1:2]
	v_add_nc_u32_e32 v1, 0x100, v1
	v_add_co_u32 v4, vcc_lo, s12, v4
	v_add_co_ci_u32_e64 v5, null, s13, v5, vcc_lo
	v_cmp_le_i32_e32 vcc_lo, s16, v1
	global_load_ushort v2, v[4:5], off
	s_or_b32 s2, vcc_lo, s2
	s_waitcnt vmcnt(0)
	v_add_f16_e32 v3, v3, v2
	s_andn2_b32 exec_lo, exec_lo, s2
	s_cbranch_execnz .LBB92_34
; %bb.35:
	s_or_b32 exec_lo, exec_lo, s2
.LBB92_36:
	s_or_b32 exec_lo, exec_lo, s1
.LBB92_37:
	s_or_b32 exec_lo, exec_lo, s0
	v_mbcnt_lo_u32_b32 v1, -1, 0
	s_waitcnt vmcnt(0)
	v_and_b32_e32 v2, 0xffff, v3
	s_cmpk_lt_u32 s3, 0x100
	s_cbranch_scc0 .LBB92_45
; %bb.38:
	v_cmp_ne_u32_e32 vcc_lo, 31, v1
	v_and_b32_e32 v5, 0xe0, v0
	v_add_nc_u32_e32 v10, 2, v1
	v_add_co_ci_u32_e64 v4, null, 0, v1, vcc_lo
	v_cmp_gt_u32_e32 vcc_lo, 30, v1
	v_sub_nc_u32_e64 v7, s3, v5 clamp
	v_lshlrev_b32_e32 v4, 2, v4
	v_cndmask_b32_e64 v8, 0, 2, vcc_lo
	v_cmp_gt_u32_e32 vcc_lo, 28, v1
	v_cmp_lt_u32_e64 s0, v10, v7
	ds_bpermute_b32 v4, v4, v2
	v_add_lshl_u32 v8, v8, v1, 2
	s_waitcnt lgkmcnt(0)
	v_add_f16_e32 v6, v3, v4
	v_add_nc_u32_e32 v4, 1, v1
	v_and_b32_e32 v5, 0xffff, v6
	v_cmp_lt_u32_e64 s2, v4, v7
	v_cndmask_b32_e64 v4, v2, v5, s2
	v_cndmask_b32_e64 v9, v3, v6, s2
	ds_bpermute_b32 v5, v8, v4
	s_waitcnt lgkmcnt(0)
	v_add_f16_e32 v8, v9, v5
	v_cndmask_b32_e64 v5, 0, 4, vcc_lo
	v_cmp_gt_u32_e32 vcc_lo, 24, v1
	v_and_b32_e32 v11, 0xffff, v8
	v_add_lshl_u32 v5, v5, v1, 2
	v_cndmask_b32_e64 v10, v9, v8, s0
	v_cndmask_b32_e64 v4, v4, v11, s0
	v_add_nc_u32_e32 v11, 4, v1
	ds_bpermute_b32 v5, v5, v4
	v_cmp_lt_u32_e64 s1, v11, v7
	s_waitcnt lgkmcnt(0)
	v_add_f16_e32 v9, v10, v5
	v_cndmask_b32_e64 v5, 0, 8, vcc_lo
	v_and_b32_e32 v12, 0xffff, v9
	v_add_lshl_u32 v5, v5, v1, 2
	v_cndmask_b32_e64 v11, v10, v9, s1
	v_cndmask_b32_e64 v4, v4, v12, s1
	v_add_nc_u32_e32 v12, 8, v1
	ds_bpermute_b32 v5, v5, v4
	v_cmp_lt_u32_e32 vcc_lo, v12, v7
	s_waitcnt lgkmcnt(0)
	v_add_f16_e32 v10, v11, v5
	v_lshlrev_b32_e32 v5, 2, v1
	v_cndmask_b32_sdwa v4, v4, v10, vcc_lo dst_sel:DWORD dst_unused:UNUSED_PAD src0_sel:DWORD src1_sel:WORD_0
	v_or_b32_e32 v12, 64, v5
	ds_bpermute_b32 v12, v12, v4
	v_mov_b32_e32 v4, v3
	s_and_saveexec_b32 s4, s2
	s_cbranch_execz .LBB92_40
; %bb.39:
	v_cndmask_b32_e64 v4, v6, v8, s0
	v_cndmask_b32_e32 v6, v11, v10, vcc_lo
	v_add_nc_u32_e32 v8, 16, v1
	v_cndmask_b32_e64 v4, v4, v9, s1
	s_waitcnt lgkmcnt(0)
	v_add_f16_e32 v6, v6, v12
	v_cndmask_b32_e32 v4, v4, v10, vcc_lo
	v_cmp_lt_u32_e32 vcc_lo, v8, v7
	v_cndmask_b32_e32 v4, v4, v6, vcc_lo
.LBB92_40:
	s_or_b32 exec_lo, exec_lo, s4
	s_mov_b32 s0, exec_lo
	v_cmpx_eq_u32_e32 0, v1
; %bb.41:
	v_lshrrev_b32_e32 v6, 4, v0
	v_and_b32_e32 v6, 14, v6
	ds_write_b16 v6, v4
; %bb.42:
	s_or_b32 exec_lo, exec_lo, s0
	s_mov_b32 s1, exec_lo
	s_waitcnt lgkmcnt(0)
	s_waitcnt_vscnt null, 0x0
	s_barrier
	buffer_gl0_inv
	v_cmpx_gt_u32_e32 8, v0
	s_cbranch_execz .LBB92_44
; %bb.43:
	v_lshlrev_b32_e32 v4, 1, v1
	v_and_b32_e32 v6, 7, v1
	s_add_i32 s3, s3, 31
	v_or_b32_e32 v5, 16, v5
	s_lshr_b32 s2, s3, 5
	ds_read_u16 v4, v4
	v_cmp_ne_u32_e32 vcc_lo, 7, v6
	v_add_nc_u32_e32 v10, 1, v6
	v_add_co_ci_u32_e64 v7, null, 0, v1, vcc_lo
	v_cmp_gt_u32_e32 vcc_lo, 6, v6
	v_cmp_gt_u32_e64 s0, s2, v10
	v_lshlrev_b32_e32 v7, 2, v7
	v_cndmask_b32_e64 v9, 0, 2, vcc_lo
	v_add_lshl_u32 v9, v9, v1, 2
	s_waitcnt lgkmcnt(0)
	v_and_b32_e32 v8, 0xffff, v4
	ds_bpermute_b32 v7, v7, v8
	s_waitcnt lgkmcnt(0)
	v_add_f16_e32 v7, v4, v7
	v_and_b32_e32 v11, 0xffff, v7
	v_cndmask_b32_e64 v10, v4, v7, s0
	v_cndmask_b32_e64 v8, v8, v11, s0
	v_add_nc_u32_e32 v11, 2, v6
	v_add_nc_u32_e32 v6, 4, v6
	ds_bpermute_b32 v9, v9, v8
	v_cmp_gt_u32_e32 vcc_lo, s2, v11
	s_waitcnt lgkmcnt(0)
	v_add_f16_e32 v9, v10, v9
	v_cndmask_b32_sdwa v8, v8, v9, vcc_lo dst_sel:DWORD dst_unused:UNUSED_PAD src0_sel:DWORD src1_sel:WORD_0
	v_cndmask_b32_e32 v7, v7, v9, vcc_lo
	v_cmp_gt_u32_e32 vcc_lo, s2, v6
	ds_bpermute_b32 v5, v5, v8
	s_waitcnt lgkmcnt(0)
	v_add_f16_e32 v5, v7, v5
	v_cndmask_b32_e32 v5, v7, v5, vcc_lo
	v_cndmask_b32_e64 v4, v4, v5, s0
.LBB92_44:
	s_or_b32 exec_lo, exec_lo, s1
	s_branch .LBB92_51
.LBB92_45:
                                        ; implicit-def: $vgpr4
	s_cbranch_execz .LBB92_51
; %bb.46:
	v_mov_b32_dpp v2, v2 quad_perm:[1,0,3,2] row_mask:0xf bank_mask:0xf
	s_mov_b32 s0, exec_lo
	v_add_f16_e32 v2, v3, v2
	v_and_b32_e32 v3, 0xffff, v2
	v_mov_b32_dpp v3, v3 quad_perm:[2,3,0,1] row_mask:0xf bank_mask:0xf
	v_add_f16_e32 v2, v2, v3
	v_and_b32_e32 v3, 0xffff, v2
	v_mov_b32_dpp v3, v3 row_ror:4 row_mask:0xf bank_mask:0xf
	v_add_f16_e32 v2, v2, v3
	v_and_b32_e32 v3, 0xffff, v2
	v_mov_b32_dpp v3, v3 row_ror:8 row_mask:0xf bank_mask:0xf
	v_add_f16_e32 v2, v2, v3
	v_and_b32_e32 v3, 0xffff, v2
	ds_swizzle_b32 v3, v3 offset:swizzle(BROADCAST,32,15)
	s_waitcnt lgkmcnt(0)
	v_add_f16_e32 v2, v2, v3
	v_mov_b32_e32 v3, 0
	v_and_b32_e32 v2, 0xffff, v2
	ds_bpermute_b32 v4, v3, v2 offset:124
	v_cmpx_eq_u32_e32 0, v1
	s_cbranch_execz .LBB92_48
; %bb.47:
	v_lshrrev_b32_e32 v2, 4, v0
	v_and_b32_e32 v2, 14, v2
	s_waitcnt lgkmcnt(0)
	ds_write_b16 v2, v4
.LBB92_48:
	s_or_b32 exec_lo, exec_lo, s0
	s_mov_b32 s0, exec_lo
	s_waitcnt lgkmcnt(0)
	s_waitcnt_vscnt null, 0x0
	s_barrier
	buffer_gl0_inv
	v_cmpx_gt_u32_e32 32, v0
	s_cbranch_execz .LBB92_50
; %bb.49:
	v_and_b32_e32 v2, 7, v1
	v_lshlrev_b32_e32 v3, 1, v2
	v_cmp_ne_u32_e32 vcc_lo, 7, v2
	ds_read_u16 v3, v3
	v_add_co_ci_u32_e64 v4, null, 0, v1, vcc_lo
	v_cmp_gt_u32_e32 vcc_lo, 6, v2
	v_lshlrev_b32_e32 v4, 2, v4
	v_cndmask_b32_e64 v2, 0, 2, vcc_lo
	v_add_lshl_u32 v2, v2, v1, 2
	v_lshlrev_b32_e32 v1, 2, v1
	v_or_b32_e32 v1, 16, v1
	s_waitcnt lgkmcnt(0)
	v_and_b32_e32 v5, 0xffff, v3
	ds_bpermute_b32 v4, v4, v5
	s_waitcnt lgkmcnt(0)
	v_add_f16_e32 v3, v3, v4
	v_and_b32_e32 v4, 0xffff, v3
	ds_bpermute_b32 v2, v2, v4
	s_waitcnt lgkmcnt(0)
	v_add_f16_e32 v2, v3, v2
	;; [unrolled: 4-line block ×3, first 2 shown]
.LBB92_50:
	s_or_b32 exec_lo, exec_lo, s0
.LBB92_51:
	s_mov_b32 s0, exec_lo
	v_cmpx_eq_u32_e32 0, v0
	s_cbranch_execz .LBB92_53
; %bb.52:
	s_lshl_b64 s[0:1], s[6:7], 1
	v_mov_b32_e32 v0, 0
	v_add_f16_e32 v1, s9, v4
	s_add_u32 s0, s20, s0
	s_addc_u32 s1, s21, s1
	global_store_short v0, v1, s[0:1]
.LBB92_53:
	s_endpgm
	.section	.rodata,"a",@progbits
	.p2align	6, 0x0
	.amdhsa_kernel _ZN7rocprim17ROCPRIM_400000_NS6detail17trampoline_kernelINS0_14default_configENS1_32segmented_reduce_config_selectorIN3c104HalfEEEZNS1_21segmented_reduce_implIS3_PKS6_PS6_PKiS6_N6hipcub16HIPCUB_304000_NS6detail27convert_result_type_wrapperISA_SB_N2at6native12_GLOBAL__N_19CustomSumEEEEE10hipError_tPvRmT0_T1_jT2_SS_T4_T3_P12ihipStream_tbEUlT_E_NS1_11comp_targetILNS1_3genE8ELNS1_11target_archE1030ELNS1_3gpuE2ELNS1_3repE0EEENS1_30default_config_static_selectorELNS0_4arch9wavefront6targetE0EEEvSR_
		.amdhsa_group_segment_fixed_size 16
		.amdhsa_private_segment_fixed_size 0
		.amdhsa_kernarg_size 48
		.amdhsa_user_sgpr_count 6
		.amdhsa_user_sgpr_private_segment_buffer 1
		.amdhsa_user_sgpr_dispatch_ptr 0
		.amdhsa_user_sgpr_queue_ptr 0
		.amdhsa_user_sgpr_kernarg_segment_ptr 1
		.amdhsa_user_sgpr_dispatch_id 0
		.amdhsa_user_sgpr_flat_scratch_init 0
		.amdhsa_user_sgpr_private_segment_size 0
		.amdhsa_wavefront_size32 1
		.amdhsa_uses_dynamic_stack 0
		.amdhsa_system_sgpr_private_segment_wavefront_offset 0
		.amdhsa_system_sgpr_workgroup_id_x 1
		.amdhsa_system_sgpr_workgroup_id_y 0
		.amdhsa_system_sgpr_workgroup_id_z 0
		.amdhsa_system_sgpr_workgroup_info 0
		.amdhsa_system_vgpr_workitem_id 0
		.amdhsa_next_free_vgpr 15
		.amdhsa_next_free_sgpr 22
		.amdhsa_reserve_vcc 1
		.amdhsa_reserve_flat_scratch 0
		.amdhsa_float_round_mode_32 0
		.amdhsa_float_round_mode_16_64 0
		.amdhsa_float_denorm_mode_32 3
		.amdhsa_float_denorm_mode_16_64 3
		.amdhsa_dx10_clamp 1
		.amdhsa_ieee_mode 1
		.amdhsa_fp16_overflow 0
		.amdhsa_workgroup_processor_mode 1
		.amdhsa_memory_ordered 1
		.amdhsa_forward_progress 1
		.amdhsa_shared_vgpr_count 0
		.amdhsa_exception_fp_ieee_invalid_op 0
		.amdhsa_exception_fp_denorm_src 0
		.amdhsa_exception_fp_ieee_div_zero 0
		.amdhsa_exception_fp_ieee_overflow 0
		.amdhsa_exception_fp_ieee_underflow 0
		.amdhsa_exception_fp_ieee_inexact 0
		.amdhsa_exception_int_div_zero 0
	.end_amdhsa_kernel
	.section	.text._ZN7rocprim17ROCPRIM_400000_NS6detail17trampoline_kernelINS0_14default_configENS1_32segmented_reduce_config_selectorIN3c104HalfEEEZNS1_21segmented_reduce_implIS3_PKS6_PS6_PKiS6_N6hipcub16HIPCUB_304000_NS6detail27convert_result_type_wrapperISA_SB_N2at6native12_GLOBAL__N_19CustomSumEEEEE10hipError_tPvRmT0_T1_jT2_SS_T4_T3_P12ihipStream_tbEUlT_E_NS1_11comp_targetILNS1_3genE8ELNS1_11target_archE1030ELNS1_3gpuE2ELNS1_3repE0EEENS1_30default_config_static_selectorELNS0_4arch9wavefront6targetE0EEEvSR_,"axG",@progbits,_ZN7rocprim17ROCPRIM_400000_NS6detail17trampoline_kernelINS0_14default_configENS1_32segmented_reduce_config_selectorIN3c104HalfEEEZNS1_21segmented_reduce_implIS3_PKS6_PS6_PKiS6_N6hipcub16HIPCUB_304000_NS6detail27convert_result_type_wrapperISA_SB_N2at6native12_GLOBAL__N_19CustomSumEEEEE10hipError_tPvRmT0_T1_jT2_SS_T4_T3_P12ihipStream_tbEUlT_E_NS1_11comp_targetILNS1_3genE8ELNS1_11target_archE1030ELNS1_3gpuE2ELNS1_3repE0EEENS1_30default_config_static_selectorELNS0_4arch9wavefront6targetE0EEEvSR_,comdat
.Lfunc_end92:
	.size	_ZN7rocprim17ROCPRIM_400000_NS6detail17trampoline_kernelINS0_14default_configENS1_32segmented_reduce_config_selectorIN3c104HalfEEEZNS1_21segmented_reduce_implIS3_PKS6_PS6_PKiS6_N6hipcub16HIPCUB_304000_NS6detail27convert_result_type_wrapperISA_SB_N2at6native12_GLOBAL__N_19CustomSumEEEEE10hipError_tPvRmT0_T1_jT2_SS_T4_T3_P12ihipStream_tbEUlT_E_NS1_11comp_targetILNS1_3genE8ELNS1_11target_archE1030ELNS1_3gpuE2ELNS1_3repE0EEENS1_30default_config_static_selectorELNS0_4arch9wavefront6targetE0EEEvSR_, .Lfunc_end92-_ZN7rocprim17ROCPRIM_400000_NS6detail17trampoline_kernelINS0_14default_configENS1_32segmented_reduce_config_selectorIN3c104HalfEEEZNS1_21segmented_reduce_implIS3_PKS6_PS6_PKiS6_N6hipcub16HIPCUB_304000_NS6detail27convert_result_type_wrapperISA_SB_N2at6native12_GLOBAL__N_19CustomSumEEEEE10hipError_tPvRmT0_T1_jT2_SS_T4_T3_P12ihipStream_tbEUlT_E_NS1_11comp_targetILNS1_3genE8ELNS1_11target_archE1030ELNS1_3gpuE2ELNS1_3repE0EEENS1_30default_config_static_selectorELNS0_4arch9wavefront6targetE0EEEvSR_
                                        ; -- End function
	.set _ZN7rocprim17ROCPRIM_400000_NS6detail17trampoline_kernelINS0_14default_configENS1_32segmented_reduce_config_selectorIN3c104HalfEEEZNS1_21segmented_reduce_implIS3_PKS6_PS6_PKiS6_N6hipcub16HIPCUB_304000_NS6detail27convert_result_type_wrapperISA_SB_N2at6native12_GLOBAL__N_19CustomSumEEEEE10hipError_tPvRmT0_T1_jT2_SS_T4_T3_P12ihipStream_tbEUlT_E_NS1_11comp_targetILNS1_3genE8ELNS1_11target_archE1030ELNS1_3gpuE2ELNS1_3repE0EEENS1_30default_config_static_selectorELNS0_4arch9wavefront6targetE0EEEvSR_.num_vgpr, 15
	.set _ZN7rocprim17ROCPRIM_400000_NS6detail17trampoline_kernelINS0_14default_configENS1_32segmented_reduce_config_selectorIN3c104HalfEEEZNS1_21segmented_reduce_implIS3_PKS6_PS6_PKiS6_N6hipcub16HIPCUB_304000_NS6detail27convert_result_type_wrapperISA_SB_N2at6native12_GLOBAL__N_19CustomSumEEEEE10hipError_tPvRmT0_T1_jT2_SS_T4_T3_P12ihipStream_tbEUlT_E_NS1_11comp_targetILNS1_3genE8ELNS1_11target_archE1030ELNS1_3gpuE2ELNS1_3repE0EEENS1_30default_config_static_selectorELNS0_4arch9wavefront6targetE0EEEvSR_.num_agpr, 0
	.set _ZN7rocprim17ROCPRIM_400000_NS6detail17trampoline_kernelINS0_14default_configENS1_32segmented_reduce_config_selectorIN3c104HalfEEEZNS1_21segmented_reduce_implIS3_PKS6_PS6_PKiS6_N6hipcub16HIPCUB_304000_NS6detail27convert_result_type_wrapperISA_SB_N2at6native12_GLOBAL__N_19CustomSumEEEEE10hipError_tPvRmT0_T1_jT2_SS_T4_T3_P12ihipStream_tbEUlT_E_NS1_11comp_targetILNS1_3genE8ELNS1_11target_archE1030ELNS1_3gpuE2ELNS1_3repE0EEENS1_30default_config_static_selectorELNS0_4arch9wavefront6targetE0EEEvSR_.numbered_sgpr, 22
	.set _ZN7rocprim17ROCPRIM_400000_NS6detail17trampoline_kernelINS0_14default_configENS1_32segmented_reduce_config_selectorIN3c104HalfEEEZNS1_21segmented_reduce_implIS3_PKS6_PS6_PKiS6_N6hipcub16HIPCUB_304000_NS6detail27convert_result_type_wrapperISA_SB_N2at6native12_GLOBAL__N_19CustomSumEEEEE10hipError_tPvRmT0_T1_jT2_SS_T4_T3_P12ihipStream_tbEUlT_E_NS1_11comp_targetILNS1_3genE8ELNS1_11target_archE1030ELNS1_3gpuE2ELNS1_3repE0EEENS1_30default_config_static_selectorELNS0_4arch9wavefront6targetE0EEEvSR_.num_named_barrier, 0
	.set _ZN7rocprim17ROCPRIM_400000_NS6detail17trampoline_kernelINS0_14default_configENS1_32segmented_reduce_config_selectorIN3c104HalfEEEZNS1_21segmented_reduce_implIS3_PKS6_PS6_PKiS6_N6hipcub16HIPCUB_304000_NS6detail27convert_result_type_wrapperISA_SB_N2at6native12_GLOBAL__N_19CustomSumEEEEE10hipError_tPvRmT0_T1_jT2_SS_T4_T3_P12ihipStream_tbEUlT_E_NS1_11comp_targetILNS1_3genE8ELNS1_11target_archE1030ELNS1_3gpuE2ELNS1_3repE0EEENS1_30default_config_static_selectorELNS0_4arch9wavefront6targetE0EEEvSR_.private_seg_size, 0
	.set _ZN7rocprim17ROCPRIM_400000_NS6detail17trampoline_kernelINS0_14default_configENS1_32segmented_reduce_config_selectorIN3c104HalfEEEZNS1_21segmented_reduce_implIS3_PKS6_PS6_PKiS6_N6hipcub16HIPCUB_304000_NS6detail27convert_result_type_wrapperISA_SB_N2at6native12_GLOBAL__N_19CustomSumEEEEE10hipError_tPvRmT0_T1_jT2_SS_T4_T3_P12ihipStream_tbEUlT_E_NS1_11comp_targetILNS1_3genE8ELNS1_11target_archE1030ELNS1_3gpuE2ELNS1_3repE0EEENS1_30default_config_static_selectorELNS0_4arch9wavefront6targetE0EEEvSR_.uses_vcc, 1
	.set _ZN7rocprim17ROCPRIM_400000_NS6detail17trampoline_kernelINS0_14default_configENS1_32segmented_reduce_config_selectorIN3c104HalfEEEZNS1_21segmented_reduce_implIS3_PKS6_PS6_PKiS6_N6hipcub16HIPCUB_304000_NS6detail27convert_result_type_wrapperISA_SB_N2at6native12_GLOBAL__N_19CustomSumEEEEE10hipError_tPvRmT0_T1_jT2_SS_T4_T3_P12ihipStream_tbEUlT_E_NS1_11comp_targetILNS1_3genE8ELNS1_11target_archE1030ELNS1_3gpuE2ELNS1_3repE0EEENS1_30default_config_static_selectorELNS0_4arch9wavefront6targetE0EEEvSR_.uses_flat_scratch, 0
	.set _ZN7rocprim17ROCPRIM_400000_NS6detail17trampoline_kernelINS0_14default_configENS1_32segmented_reduce_config_selectorIN3c104HalfEEEZNS1_21segmented_reduce_implIS3_PKS6_PS6_PKiS6_N6hipcub16HIPCUB_304000_NS6detail27convert_result_type_wrapperISA_SB_N2at6native12_GLOBAL__N_19CustomSumEEEEE10hipError_tPvRmT0_T1_jT2_SS_T4_T3_P12ihipStream_tbEUlT_E_NS1_11comp_targetILNS1_3genE8ELNS1_11target_archE1030ELNS1_3gpuE2ELNS1_3repE0EEENS1_30default_config_static_selectorELNS0_4arch9wavefront6targetE0EEEvSR_.has_dyn_sized_stack, 0
	.set _ZN7rocprim17ROCPRIM_400000_NS6detail17trampoline_kernelINS0_14default_configENS1_32segmented_reduce_config_selectorIN3c104HalfEEEZNS1_21segmented_reduce_implIS3_PKS6_PS6_PKiS6_N6hipcub16HIPCUB_304000_NS6detail27convert_result_type_wrapperISA_SB_N2at6native12_GLOBAL__N_19CustomSumEEEEE10hipError_tPvRmT0_T1_jT2_SS_T4_T3_P12ihipStream_tbEUlT_E_NS1_11comp_targetILNS1_3genE8ELNS1_11target_archE1030ELNS1_3gpuE2ELNS1_3repE0EEENS1_30default_config_static_selectorELNS0_4arch9wavefront6targetE0EEEvSR_.has_recursion, 0
	.set _ZN7rocprim17ROCPRIM_400000_NS6detail17trampoline_kernelINS0_14default_configENS1_32segmented_reduce_config_selectorIN3c104HalfEEEZNS1_21segmented_reduce_implIS3_PKS6_PS6_PKiS6_N6hipcub16HIPCUB_304000_NS6detail27convert_result_type_wrapperISA_SB_N2at6native12_GLOBAL__N_19CustomSumEEEEE10hipError_tPvRmT0_T1_jT2_SS_T4_T3_P12ihipStream_tbEUlT_E_NS1_11comp_targetILNS1_3genE8ELNS1_11target_archE1030ELNS1_3gpuE2ELNS1_3repE0EEENS1_30default_config_static_selectorELNS0_4arch9wavefront6targetE0EEEvSR_.has_indirect_call, 0
	.section	.AMDGPU.csdata,"",@progbits
; Kernel info:
; codeLenInByte = 2600
; TotalNumSgprs: 24
; NumVgprs: 15
; ScratchSize: 0
; MemoryBound: 0
; FloatMode: 240
; IeeeMode: 1
; LDSByteSize: 16 bytes/workgroup (compile time only)
; SGPRBlocks: 0
; VGPRBlocks: 1
; NumSGPRsForWavesPerEU: 24
; NumVGPRsForWavesPerEU: 15
; Occupancy: 16
; WaveLimiterHint : 1
; COMPUTE_PGM_RSRC2:SCRATCH_EN: 0
; COMPUTE_PGM_RSRC2:USER_SGPR: 6
; COMPUTE_PGM_RSRC2:TRAP_HANDLER: 0
; COMPUTE_PGM_RSRC2:TGID_X_EN: 1
; COMPUTE_PGM_RSRC2:TGID_Y_EN: 0
; COMPUTE_PGM_RSRC2:TGID_Z_EN: 0
; COMPUTE_PGM_RSRC2:TIDIG_COMP_CNT: 0
	.section	.text._ZN2at6native12_GLOBAL__N_119post_sum_div_kernelIN3c104HalfEiEEvPT_PKT0_lbS5_,"axG",@progbits,_ZN2at6native12_GLOBAL__N_119post_sum_div_kernelIN3c104HalfEiEEvPT_PKT0_lbS5_,comdat
	.globl	_ZN2at6native12_GLOBAL__N_119post_sum_div_kernelIN3c104HalfEiEEvPT_PKT0_lbS5_ ; -- Begin function _ZN2at6native12_GLOBAL__N_119post_sum_div_kernelIN3c104HalfEiEEvPT_PKT0_lbS5_
	.p2align	8
	.type	_ZN2at6native12_GLOBAL__N_119post_sum_div_kernelIN3c104HalfEiEEvPT_PKT0_lbS5_,@function
_ZN2at6native12_GLOBAL__N_119post_sum_div_kernelIN3c104HalfEiEEvPT_PKT0_lbS5_: ; @_ZN2at6native12_GLOBAL__N_119post_sum_div_kernelIN3c104HalfEiEEvPT_PKT0_lbS5_
; %bb.0:
	s_clause 0x1
	s_load_dword s7, s[4:5], 0x2c
	s_load_dwordx2 s[2:3], s[4:5], 0x10
	v_mov_b32_e32 v1, 0
	s_add_u32 s0, s4, 32
	s_addc_u32 s1, s5, 0
	s_waitcnt lgkmcnt(0)
	s_and_b32 s8, s7, 0xffff
	v_mad_u64_u32 v[2:3], null, s8, s6, v[0:1]
	s_mov_b32 s6, exec_lo
	v_cmpx_gt_i64_e64 s[2:3], v[2:3]
	s_cbranch_execz .LBB93_15
; %bb.1:
	s_load_dword s9, s[4:5], 0x18
	s_load_dword s0, s[0:1], 0x0
	s_load_dwordx4 s[4:7], s[4:5], 0x0
	v_mov_b32_e32 v0, v1
	v_mov_b32_e32 v1, v2
	v_mov_b32_e32 v6, 0x7e00
	s_mov_b32 s1, 0
                                        ; implicit-def: $sgpr11
                                        ; implicit-def: $sgpr14
                                        ; implicit-def: $sgpr13
	s_waitcnt lgkmcnt(0)
	s_bitcmp1_b32 s9, 0
	s_mul_i32 s8, s0, s8
	s_cselect_b32 s0, -1, 0
	s_lshr_b32 s9, s9, 16
	s_xor_b32 s10, s0, -1
	s_mov_b32 s12, s8
.LBB93_2:                               ; =>This Inner Loop Header: Depth=1
	v_ashrrev_i64 v[4:5], 30, v[0:1]
	s_or_b32 s13, s13, exec_lo
	s_or_b32 s14, s14, exec_lo
	s_mov_b32 s15, exec_lo
	v_add_co_u32 v4, vcc_lo, s6, v4
	v_add_co_ci_u32_e64 v5, null, s7, v5, vcc_lo
	global_load_dword v7, v[4:5], off
	s_waitcnt vmcnt(0)
	v_cmpx_lt_i32_e32 -1, v7
	s_cbranch_execz .LBB93_13
; %bb.3:                                ;   in Loop: Header=BB93_2 Depth=1
	v_ashrrev_i32_e32 v5, 31, v1
	v_mov_b32_e32 v4, v1
	v_lshlrev_b64 v[4:5], 1, v[4:5]
	v_add_co_u32 v4, s0, s4, v4
	v_add_co_ci_u32_e64 v5, null, s5, v5, s0
	s_mov_b32 s0, exec_lo
	v_cmpx_ne_u32_e32 0, v7
	s_xor_b32 s0, exec_lo, s0
	s_cbranch_execz .LBB93_7
; %bb.4:                                ;   in Loop: Header=BB93_2 Depth=1
	global_load_ushort v8, v[4:5], off
	s_mov_b32 s16, exec_lo
	s_waitcnt vmcnt(0)
	v_cmpx_o_f16_e32 v8, v8
	s_cbranch_execz .LBB93_6
; %bb.5:                                ;   in Loop: Header=BB93_2 Depth=1
	v_cvt_f32_u32_e32 v7, v7
	v_cvt_f32_f16_e32 v10, v8
	v_cvt_f16_f32_e32 v7, v7
	v_cvt_f32_f16_e32 v9, v7
	v_rcp_f32_e32 v9, v9
	v_mul_f32_e32 v10, v10, v9
	v_fma_mix_f32 v11, -v7, v10, v8 op_sel_hi:[1,0,1]
	v_fmac_f32_e32 v10, v11, v9
	v_fma_mix_f32 v11, -v7, v10, v8 op_sel_hi:[1,0,1]
	v_mul_f32_e32 v9, v11, v9
	v_and_b32_e32 v9, 0xff800000, v9
	v_add_f32_e32 v9, v9, v10
	v_cvt_f16_f32_e32 v9, v9
	v_div_fixup_f16 v7, v9, v7, v8
	global_store_short v[4:5], v7, off
.LBB93_6:                               ;   in Loop: Header=BB93_2 Depth=1
	s_or_b32 exec_lo, exec_lo, s16
                                        ; implicit-def: $vgpr4_vgpr5
.LBB93_7:                               ;   in Loop: Header=BB93_2 Depth=1
	s_andn2_saveexec_b32 s0, s0
	s_cbranch_execz .LBB93_12
; %bb.8:                                ;   in Loop: Header=BB93_2 Depth=1
	s_and_b32 vcc_lo, exec_lo, s10
	s_mov_b32 s16, -1
	s_cbranch_vccz .LBB93_10
; %bb.9:                                ;   in Loop: Header=BB93_2 Depth=1
	s_mov_b32 s16, 0
	global_store_short v[4:5], v6, off
.LBB93_10:                              ;   in Loop: Header=BB93_2 Depth=1
	s_andn2_b32 vcc_lo, exec_lo, s16
	s_cbranch_vccnz .LBB93_12
; %bb.11:                               ;   in Loop: Header=BB93_2 Depth=1
	v_mov_b32_e32 v7, s9
	global_store_short v[4:5], v7, off
.LBB93_12:                              ;   in Loop: Header=BB93_2 Depth=1
	s_or_b32 exec_lo, exec_lo, s0
	v_add_co_u32 v2, vcc_lo, v2, s8
	v_add_co_ci_u32_e64 v3, null, 0, v3, vcc_lo
	v_add_co_u32 v0, s0, v0, 0
	v_add_co_ci_u32_e64 v1, null, s12, v1, s0
	v_cmp_le_i64_e32 vcc_lo, s[2:3], v[2:3]
	s_andn2_b32 s0, s14, exec_lo
	s_andn2_b32 s13, s13, exec_lo
	s_and_b32 s14, vcc_lo, exec_lo
	s_or_b32 s14, s0, s14
.LBB93_13:                              ;   in Loop: Header=BB93_2 Depth=1
	s_or_b32 exec_lo, exec_lo, s15
	s_and_b32 s0, exec_lo, s14
	s_or_b32 s1, s0, s1
	s_andn2_b32 s0, s11, exec_lo
	s_and_b32 s11, s13, exec_lo
	s_or_b32 s11, s0, s11
	s_andn2_b32 exec_lo, exec_lo, s1
	s_cbranch_execnz .LBB93_2
; %bb.14:
	s_or_b32 exec_lo, exec_lo, s1
	s_and_saveexec_b32 s0, s11
	s_xor_b32 s0, exec_lo, s0
	s_cbranch_execnz .LBB93_16
.LBB93_15:
	s_endpgm
.LBB93_16:
	s_trap 2
	; divergent unreachable
	s_endpgm
	.section	.rodata,"a",@progbits
	.p2align	6, 0x0
	.amdhsa_kernel _ZN2at6native12_GLOBAL__N_119post_sum_div_kernelIN3c104HalfEiEEvPT_PKT0_lbS5_
		.amdhsa_group_segment_fixed_size 0
		.amdhsa_private_segment_fixed_size 0
		.amdhsa_kernarg_size 288
		.amdhsa_user_sgpr_count 6
		.amdhsa_user_sgpr_private_segment_buffer 1
		.amdhsa_user_sgpr_dispatch_ptr 0
		.amdhsa_user_sgpr_queue_ptr 0
		.amdhsa_user_sgpr_kernarg_segment_ptr 1
		.amdhsa_user_sgpr_dispatch_id 0
		.amdhsa_user_sgpr_flat_scratch_init 0
		.amdhsa_user_sgpr_private_segment_size 0
		.amdhsa_wavefront_size32 1
		.amdhsa_uses_dynamic_stack 0
		.amdhsa_system_sgpr_private_segment_wavefront_offset 0
		.amdhsa_system_sgpr_workgroup_id_x 1
		.amdhsa_system_sgpr_workgroup_id_y 0
		.amdhsa_system_sgpr_workgroup_id_z 0
		.amdhsa_system_sgpr_workgroup_info 0
		.amdhsa_system_vgpr_workitem_id 0
		.amdhsa_next_free_vgpr 12
		.amdhsa_next_free_sgpr 17
		.amdhsa_reserve_vcc 1
		.amdhsa_reserve_flat_scratch 0
		.amdhsa_float_round_mode_32 0
		.amdhsa_float_round_mode_16_64 0
		.amdhsa_float_denorm_mode_32 3
		.amdhsa_float_denorm_mode_16_64 3
		.amdhsa_dx10_clamp 1
		.amdhsa_ieee_mode 1
		.amdhsa_fp16_overflow 0
		.amdhsa_workgroup_processor_mode 1
		.amdhsa_memory_ordered 1
		.amdhsa_forward_progress 1
		.amdhsa_shared_vgpr_count 0
		.amdhsa_exception_fp_ieee_invalid_op 0
		.amdhsa_exception_fp_denorm_src 0
		.amdhsa_exception_fp_ieee_div_zero 0
		.amdhsa_exception_fp_ieee_overflow 0
		.amdhsa_exception_fp_ieee_underflow 0
		.amdhsa_exception_fp_ieee_inexact 0
		.amdhsa_exception_int_div_zero 0
	.end_amdhsa_kernel
	.section	.text._ZN2at6native12_GLOBAL__N_119post_sum_div_kernelIN3c104HalfEiEEvPT_PKT0_lbS5_,"axG",@progbits,_ZN2at6native12_GLOBAL__N_119post_sum_div_kernelIN3c104HalfEiEEvPT_PKT0_lbS5_,comdat
.Lfunc_end93:
	.size	_ZN2at6native12_GLOBAL__N_119post_sum_div_kernelIN3c104HalfEiEEvPT_PKT0_lbS5_, .Lfunc_end93-_ZN2at6native12_GLOBAL__N_119post_sum_div_kernelIN3c104HalfEiEEvPT_PKT0_lbS5_
                                        ; -- End function
	.set _ZN2at6native12_GLOBAL__N_119post_sum_div_kernelIN3c104HalfEiEEvPT_PKT0_lbS5_.num_vgpr, 12
	.set _ZN2at6native12_GLOBAL__N_119post_sum_div_kernelIN3c104HalfEiEEvPT_PKT0_lbS5_.num_agpr, 0
	.set _ZN2at6native12_GLOBAL__N_119post_sum_div_kernelIN3c104HalfEiEEvPT_PKT0_lbS5_.numbered_sgpr, 17
	.set _ZN2at6native12_GLOBAL__N_119post_sum_div_kernelIN3c104HalfEiEEvPT_PKT0_lbS5_.num_named_barrier, 0
	.set _ZN2at6native12_GLOBAL__N_119post_sum_div_kernelIN3c104HalfEiEEvPT_PKT0_lbS5_.private_seg_size, 0
	.set _ZN2at6native12_GLOBAL__N_119post_sum_div_kernelIN3c104HalfEiEEvPT_PKT0_lbS5_.uses_vcc, 1
	.set _ZN2at6native12_GLOBAL__N_119post_sum_div_kernelIN3c104HalfEiEEvPT_PKT0_lbS5_.uses_flat_scratch, 0
	.set _ZN2at6native12_GLOBAL__N_119post_sum_div_kernelIN3c104HalfEiEEvPT_PKT0_lbS5_.has_dyn_sized_stack, 0
	.set _ZN2at6native12_GLOBAL__N_119post_sum_div_kernelIN3c104HalfEiEEvPT_PKT0_lbS5_.has_recursion, 0
	.set _ZN2at6native12_GLOBAL__N_119post_sum_div_kernelIN3c104HalfEiEEvPT_PKT0_lbS5_.has_indirect_call, 0
	.section	.AMDGPU.csdata,"",@progbits
; Kernel info:
; codeLenInByte = 520
; TotalNumSgprs: 19
; NumVgprs: 12
; ScratchSize: 0
; MemoryBound: 0
; FloatMode: 240
; IeeeMode: 1
; LDSByteSize: 0 bytes/workgroup (compile time only)
; SGPRBlocks: 0
; VGPRBlocks: 1
; NumSGPRsForWavesPerEU: 19
; NumVGPRsForWavesPerEU: 12
; Occupancy: 16
; WaveLimiterHint : 0
; COMPUTE_PGM_RSRC2:SCRATCH_EN: 0
; COMPUTE_PGM_RSRC2:USER_SGPR: 6
; COMPUTE_PGM_RSRC2:TRAP_HANDLER: 0
; COMPUTE_PGM_RSRC2:TGID_X_EN: 1
; COMPUTE_PGM_RSRC2:TGID_Y_EN: 0
; COMPUTE_PGM_RSRC2:TGID_Z_EN: 0
; COMPUTE_PGM_RSRC2:TIDIG_COMP_CNT: 0
	.section	.text._ZN7rocprim17ROCPRIM_400000_NS6detail17trampoline_kernelINS0_14default_configENS1_32segmented_reduce_config_selectorIN3c104HalfEEEZNS1_21segmented_reduce_implIS3_PKS6_PS6_PKiS6_N6hipcub16HIPCUB_304000_NS6detail27convert_result_type_wrapperISA_SB_N2at6native12_GLOBAL__N_19CustomMinEEEEE10hipError_tPvRmT0_T1_jT2_SS_T4_T3_P12ihipStream_tbEUlT_E_NS1_11comp_targetILNS1_3genE0ELNS1_11target_archE4294967295ELNS1_3gpuE0ELNS1_3repE0EEENS1_30default_config_static_selectorELNS0_4arch9wavefront6targetE0EEEvSR_,"axG",@progbits,_ZN7rocprim17ROCPRIM_400000_NS6detail17trampoline_kernelINS0_14default_configENS1_32segmented_reduce_config_selectorIN3c104HalfEEEZNS1_21segmented_reduce_implIS3_PKS6_PS6_PKiS6_N6hipcub16HIPCUB_304000_NS6detail27convert_result_type_wrapperISA_SB_N2at6native12_GLOBAL__N_19CustomMinEEEEE10hipError_tPvRmT0_T1_jT2_SS_T4_T3_P12ihipStream_tbEUlT_E_NS1_11comp_targetILNS1_3genE0ELNS1_11target_archE4294967295ELNS1_3gpuE0ELNS1_3repE0EEENS1_30default_config_static_selectorELNS0_4arch9wavefront6targetE0EEEvSR_,comdat
	.globl	_ZN7rocprim17ROCPRIM_400000_NS6detail17trampoline_kernelINS0_14default_configENS1_32segmented_reduce_config_selectorIN3c104HalfEEEZNS1_21segmented_reduce_implIS3_PKS6_PS6_PKiS6_N6hipcub16HIPCUB_304000_NS6detail27convert_result_type_wrapperISA_SB_N2at6native12_GLOBAL__N_19CustomMinEEEEE10hipError_tPvRmT0_T1_jT2_SS_T4_T3_P12ihipStream_tbEUlT_E_NS1_11comp_targetILNS1_3genE0ELNS1_11target_archE4294967295ELNS1_3gpuE0ELNS1_3repE0EEENS1_30default_config_static_selectorELNS0_4arch9wavefront6targetE0EEEvSR_ ; -- Begin function _ZN7rocprim17ROCPRIM_400000_NS6detail17trampoline_kernelINS0_14default_configENS1_32segmented_reduce_config_selectorIN3c104HalfEEEZNS1_21segmented_reduce_implIS3_PKS6_PS6_PKiS6_N6hipcub16HIPCUB_304000_NS6detail27convert_result_type_wrapperISA_SB_N2at6native12_GLOBAL__N_19CustomMinEEEEE10hipError_tPvRmT0_T1_jT2_SS_T4_T3_P12ihipStream_tbEUlT_E_NS1_11comp_targetILNS1_3genE0ELNS1_11target_archE4294967295ELNS1_3gpuE0ELNS1_3repE0EEENS1_30default_config_static_selectorELNS0_4arch9wavefront6targetE0EEEvSR_
	.p2align	8
	.type	_ZN7rocprim17ROCPRIM_400000_NS6detail17trampoline_kernelINS0_14default_configENS1_32segmented_reduce_config_selectorIN3c104HalfEEEZNS1_21segmented_reduce_implIS3_PKS6_PS6_PKiS6_N6hipcub16HIPCUB_304000_NS6detail27convert_result_type_wrapperISA_SB_N2at6native12_GLOBAL__N_19CustomMinEEEEE10hipError_tPvRmT0_T1_jT2_SS_T4_T3_P12ihipStream_tbEUlT_E_NS1_11comp_targetILNS1_3genE0ELNS1_11target_archE4294967295ELNS1_3gpuE0ELNS1_3repE0EEENS1_30default_config_static_selectorELNS0_4arch9wavefront6targetE0EEEvSR_,@function
_ZN7rocprim17ROCPRIM_400000_NS6detail17trampoline_kernelINS0_14default_configENS1_32segmented_reduce_config_selectorIN3c104HalfEEEZNS1_21segmented_reduce_implIS3_PKS6_PS6_PKiS6_N6hipcub16HIPCUB_304000_NS6detail27convert_result_type_wrapperISA_SB_N2at6native12_GLOBAL__N_19CustomMinEEEEE10hipError_tPvRmT0_T1_jT2_SS_T4_T3_P12ihipStream_tbEUlT_E_NS1_11comp_targetILNS1_3genE0ELNS1_11target_archE4294967295ELNS1_3gpuE0ELNS1_3repE0EEENS1_30default_config_static_selectorELNS0_4arch9wavefront6targetE0EEEvSR_: ; @_ZN7rocprim17ROCPRIM_400000_NS6detail17trampoline_kernelINS0_14default_configENS1_32segmented_reduce_config_selectorIN3c104HalfEEEZNS1_21segmented_reduce_implIS3_PKS6_PS6_PKiS6_N6hipcub16HIPCUB_304000_NS6detail27convert_result_type_wrapperISA_SB_N2at6native12_GLOBAL__N_19CustomMinEEEEE10hipError_tPvRmT0_T1_jT2_SS_T4_T3_P12ihipStream_tbEUlT_E_NS1_11comp_targetILNS1_3genE0ELNS1_11target_archE4294967295ELNS1_3gpuE0ELNS1_3repE0EEENS1_30default_config_static_selectorELNS0_4arch9wavefront6targetE0EEEvSR_
; %bb.0:
	.section	.rodata,"a",@progbits
	.p2align	6, 0x0
	.amdhsa_kernel _ZN7rocprim17ROCPRIM_400000_NS6detail17trampoline_kernelINS0_14default_configENS1_32segmented_reduce_config_selectorIN3c104HalfEEEZNS1_21segmented_reduce_implIS3_PKS6_PS6_PKiS6_N6hipcub16HIPCUB_304000_NS6detail27convert_result_type_wrapperISA_SB_N2at6native12_GLOBAL__N_19CustomMinEEEEE10hipError_tPvRmT0_T1_jT2_SS_T4_T3_P12ihipStream_tbEUlT_E_NS1_11comp_targetILNS1_3genE0ELNS1_11target_archE4294967295ELNS1_3gpuE0ELNS1_3repE0EEENS1_30default_config_static_selectorELNS0_4arch9wavefront6targetE0EEEvSR_
		.amdhsa_group_segment_fixed_size 0
		.amdhsa_private_segment_fixed_size 0
		.amdhsa_kernarg_size 48
		.amdhsa_user_sgpr_count 6
		.amdhsa_user_sgpr_private_segment_buffer 1
		.amdhsa_user_sgpr_dispatch_ptr 0
		.amdhsa_user_sgpr_queue_ptr 0
		.amdhsa_user_sgpr_kernarg_segment_ptr 1
		.amdhsa_user_sgpr_dispatch_id 0
		.amdhsa_user_sgpr_flat_scratch_init 0
		.amdhsa_user_sgpr_private_segment_size 0
		.amdhsa_wavefront_size32 1
		.amdhsa_uses_dynamic_stack 0
		.amdhsa_system_sgpr_private_segment_wavefront_offset 0
		.amdhsa_system_sgpr_workgroup_id_x 1
		.amdhsa_system_sgpr_workgroup_id_y 0
		.amdhsa_system_sgpr_workgroup_id_z 0
		.amdhsa_system_sgpr_workgroup_info 0
		.amdhsa_system_vgpr_workitem_id 0
		.amdhsa_next_free_vgpr 1
		.amdhsa_next_free_sgpr 1
		.amdhsa_reserve_vcc 0
		.amdhsa_reserve_flat_scratch 0
		.amdhsa_float_round_mode_32 0
		.amdhsa_float_round_mode_16_64 0
		.amdhsa_float_denorm_mode_32 3
		.amdhsa_float_denorm_mode_16_64 3
		.amdhsa_dx10_clamp 1
		.amdhsa_ieee_mode 1
		.amdhsa_fp16_overflow 0
		.amdhsa_workgroup_processor_mode 1
		.amdhsa_memory_ordered 1
		.amdhsa_forward_progress 1
		.amdhsa_shared_vgpr_count 0
		.amdhsa_exception_fp_ieee_invalid_op 0
		.amdhsa_exception_fp_denorm_src 0
		.amdhsa_exception_fp_ieee_div_zero 0
		.amdhsa_exception_fp_ieee_overflow 0
		.amdhsa_exception_fp_ieee_underflow 0
		.amdhsa_exception_fp_ieee_inexact 0
		.amdhsa_exception_int_div_zero 0
	.end_amdhsa_kernel
	.section	.text._ZN7rocprim17ROCPRIM_400000_NS6detail17trampoline_kernelINS0_14default_configENS1_32segmented_reduce_config_selectorIN3c104HalfEEEZNS1_21segmented_reduce_implIS3_PKS6_PS6_PKiS6_N6hipcub16HIPCUB_304000_NS6detail27convert_result_type_wrapperISA_SB_N2at6native12_GLOBAL__N_19CustomMinEEEEE10hipError_tPvRmT0_T1_jT2_SS_T4_T3_P12ihipStream_tbEUlT_E_NS1_11comp_targetILNS1_3genE0ELNS1_11target_archE4294967295ELNS1_3gpuE0ELNS1_3repE0EEENS1_30default_config_static_selectorELNS0_4arch9wavefront6targetE0EEEvSR_,"axG",@progbits,_ZN7rocprim17ROCPRIM_400000_NS6detail17trampoline_kernelINS0_14default_configENS1_32segmented_reduce_config_selectorIN3c104HalfEEEZNS1_21segmented_reduce_implIS3_PKS6_PS6_PKiS6_N6hipcub16HIPCUB_304000_NS6detail27convert_result_type_wrapperISA_SB_N2at6native12_GLOBAL__N_19CustomMinEEEEE10hipError_tPvRmT0_T1_jT2_SS_T4_T3_P12ihipStream_tbEUlT_E_NS1_11comp_targetILNS1_3genE0ELNS1_11target_archE4294967295ELNS1_3gpuE0ELNS1_3repE0EEENS1_30default_config_static_selectorELNS0_4arch9wavefront6targetE0EEEvSR_,comdat
.Lfunc_end94:
	.size	_ZN7rocprim17ROCPRIM_400000_NS6detail17trampoline_kernelINS0_14default_configENS1_32segmented_reduce_config_selectorIN3c104HalfEEEZNS1_21segmented_reduce_implIS3_PKS6_PS6_PKiS6_N6hipcub16HIPCUB_304000_NS6detail27convert_result_type_wrapperISA_SB_N2at6native12_GLOBAL__N_19CustomMinEEEEE10hipError_tPvRmT0_T1_jT2_SS_T4_T3_P12ihipStream_tbEUlT_E_NS1_11comp_targetILNS1_3genE0ELNS1_11target_archE4294967295ELNS1_3gpuE0ELNS1_3repE0EEENS1_30default_config_static_selectorELNS0_4arch9wavefront6targetE0EEEvSR_, .Lfunc_end94-_ZN7rocprim17ROCPRIM_400000_NS6detail17trampoline_kernelINS0_14default_configENS1_32segmented_reduce_config_selectorIN3c104HalfEEEZNS1_21segmented_reduce_implIS3_PKS6_PS6_PKiS6_N6hipcub16HIPCUB_304000_NS6detail27convert_result_type_wrapperISA_SB_N2at6native12_GLOBAL__N_19CustomMinEEEEE10hipError_tPvRmT0_T1_jT2_SS_T4_T3_P12ihipStream_tbEUlT_E_NS1_11comp_targetILNS1_3genE0ELNS1_11target_archE4294967295ELNS1_3gpuE0ELNS1_3repE0EEENS1_30default_config_static_selectorELNS0_4arch9wavefront6targetE0EEEvSR_
                                        ; -- End function
	.set _ZN7rocprim17ROCPRIM_400000_NS6detail17trampoline_kernelINS0_14default_configENS1_32segmented_reduce_config_selectorIN3c104HalfEEEZNS1_21segmented_reduce_implIS3_PKS6_PS6_PKiS6_N6hipcub16HIPCUB_304000_NS6detail27convert_result_type_wrapperISA_SB_N2at6native12_GLOBAL__N_19CustomMinEEEEE10hipError_tPvRmT0_T1_jT2_SS_T4_T3_P12ihipStream_tbEUlT_E_NS1_11comp_targetILNS1_3genE0ELNS1_11target_archE4294967295ELNS1_3gpuE0ELNS1_3repE0EEENS1_30default_config_static_selectorELNS0_4arch9wavefront6targetE0EEEvSR_.num_vgpr, 0
	.set _ZN7rocprim17ROCPRIM_400000_NS6detail17trampoline_kernelINS0_14default_configENS1_32segmented_reduce_config_selectorIN3c104HalfEEEZNS1_21segmented_reduce_implIS3_PKS6_PS6_PKiS6_N6hipcub16HIPCUB_304000_NS6detail27convert_result_type_wrapperISA_SB_N2at6native12_GLOBAL__N_19CustomMinEEEEE10hipError_tPvRmT0_T1_jT2_SS_T4_T3_P12ihipStream_tbEUlT_E_NS1_11comp_targetILNS1_3genE0ELNS1_11target_archE4294967295ELNS1_3gpuE0ELNS1_3repE0EEENS1_30default_config_static_selectorELNS0_4arch9wavefront6targetE0EEEvSR_.num_agpr, 0
	.set _ZN7rocprim17ROCPRIM_400000_NS6detail17trampoline_kernelINS0_14default_configENS1_32segmented_reduce_config_selectorIN3c104HalfEEEZNS1_21segmented_reduce_implIS3_PKS6_PS6_PKiS6_N6hipcub16HIPCUB_304000_NS6detail27convert_result_type_wrapperISA_SB_N2at6native12_GLOBAL__N_19CustomMinEEEEE10hipError_tPvRmT0_T1_jT2_SS_T4_T3_P12ihipStream_tbEUlT_E_NS1_11comp_targetILNS1_3genE0ELNS1_11target_archE4294967295ELNS1_3gpuE0ELNS1_3repE0EEENS1_30default_config_static_selectorELNS0_4arch9wavefront6targetE0EEEvSR_.numbered_sgpr, 0
	.set _ZN7rocprim17ROCPRIM_400000_NS6detail17trampoline_kernelINS0_14default_configENS1_32segmented_reduce_config_selectorIN3c104HalfEEEZNS1_21segmented_reduce_implIS3_PKS6_PS6_PKiS6_N6hipcub16HIPCUB_304000_NS6detail27convert_result_type_wrapperISA_SB_N2at6native12_GLOBAL__N_19CustomMinEEEEE10hipError_tPvRmT0_T1_jT2_SS_T4_T3_P12ihipStream_tbEUlT_E_NS1_11comp_targetILNS1_3genE0ELNS1_11target_archE4294967295ELNS1_3gpuE0ELNS1_3repE0EEENS1_30default_config_static_selectorELNS0_4arch9wavefront6targetE0EEEvSR_.num_named_barrier, 0
	.set _ZN7rocprim17ROCPRIM_400000_NS6detail17trampoline_kernelINS0_14default_configENS1_32segmented_reduce_config_selectorIN3c104HalfEEEZNS1_21segmented_reduce_implIS3_PKS6_PS6_PKiS6_N6hipcub16HIPCUB_304000_NS6detail27convert_result_type_wrapperISA_SB_N2at6native12_GLOBAL__N_19CustomMinEEEEE10hipError_tPvRmT0_T1_jT2_SS_T4_T3_P12ihipStream_tbEUlT_E_NS1_11comp_targetILNS1_3genE0ELNS1_11target_archE4294967295ELNS1_3gpuE0ELNS1_3repE0EEENS1_30default_config_static_selectorELNS0_4arch9wavefront6targetE0EEEvSR_.private_seg_size, 0
	.set _ZN7rocprim17ROCPRIM_400000_NS6detail17trampoline_kernelINS0_14default_configENS1_32segmented_reduce_config_selectorIN3c104HalfEEEZNS1_21segmented_reduce_implIS3_PKS6_PS6_PKiS6_N6hipcub16HIPCUB_304000_NS6detail27convert_result_type_wrapperISA_SB_N2at6native12_GLOBAL__N_19CustomMinEEEEE10hipError_tPvRmT0_T1_jT2_SS_T4_T3_P12ihipStream_tbEUlT_E_NS1_11comp_targetILNS1_3genE0ELNS1_11target_archE4294967295ELNS1_3gpuE0ELNS1_3repE0EEENS1_30default_config_static_selectorELNS0_4arch9wavefront6targetE0EEEvSR_.uses_vcc, 0
	.set _ZN7rocprim17ROCPRIM_400000_NS6detail17trampoline_kernelINS0_14default_configENS1_32segmented_reduce_config_selectorIN3c104HalfEEEZNS1_21segmented_reduce_implIS3_PKS6_PS6_PKiS6_N6hipcub16HIPCUB_304000_NS6detail27convert_result_type_wrapperISA_SB_N2at6native12_GLOBAL__N_19CustomMinEEEEE10hipError_tPvRmT0_T1_jT2_SS_T4_T3_P12ihipStream_tbEUlT_E_NS1_11comp_targetILNS1_3genE0ELNS1_11target_archE4294967295ELNS1_3gpuE0ELNS1_3repE0EEENS1_30default_config_static_selectorELNS0_4arch9wavefront6targetE0EEEvSR_.uses_flat_scratch, 0
	.set _ZN7rocprim17ROCPRIM_400000_NS6detail17trampoline_kernelINS0_14default_configENS1_32segmented_reduce_config_selectorIN3c104HalfEEEZNS1_21segmented_reduce_implIS3_PKS6_PS6_PKiS6_N6hipcub16HIPCUB_304000_NS6detail27convert_result_type_wrapperISA_SB_N2at6native12_GLOBAL__N_19CustomMinEEEEE10hipError_tPvRmT0_T1_jT2_SS_T4_T3_P12ihipStream_tbEUlT_E_NS1_11comp_targetILNS1_3genE0ELNS1_11target_archE4294967295ELNS1_3gpuE0ELNS1_3repE0EEENS1_30default_config_static_selectorELNS0_4arch9wavefront6targetE0EEEvSR_.has_dyn_sized_stack, 0
	.set _ZN7rocprim17ROCPRIM_400000_NS6detail17trampoline_kernelINS0_14default_configENS1_32segmented_reduce_config_selectorIN3c104HalfEEEZNS1_21segmented_reduce_implIS3_PKS6_PS6_PKiS6_N6hipcub16HIPCUB_304000_NS6detail27convert_result_type_wrapperISA_SB_N2at6native12_GLOBAL__N_19CustomMinEEEEE10hipError_tPvRmT0_T1_jT2_SS_T4_T3_P12ihipStream_tbEUlT_E_NS1_11comp_targetILNS1_3genE0ELNS1_11target_archE4294967295ELNS1_3gpuE0ELNS1_3repE0EEENS1_30default_config_static_selectorELNS0_4arch9wavefront6targetE0EEEvSR_.has_recursion, 0
	.set _ZN7rocprim17ROCPRIM_400000_NS6detail17trampoline_kernelINS0_14default_configENS1_32segmented_reduce_config_selectorIN3c104HalfEEEZNS1_21segmented_reduce_implIS3_PKS6_PS6_PKiS6_N6hipcub16HIPCUB_304000_NS6detail27convert_result_type_wrapperISA_SB_N2at6native12_GLOBAL__N_19CustomMinEEEEE10hipError_tPvRmT0_T1_jT2_SS_T4_T3_P12ihipStream_tbEUlT_E_NS1_11comp_targetILNS1_3genE0ELNS1_11target_archE4294967295ELNS1_3gpuE0ELNS1_3repE0EEENS1_30default_config_static_selectorELNS0_4arch9wavefront6targetE0EEEvSR_.has_indirect_call, 0
	.section	.AMDGPU.csdata,"",@progbits
; Kernel info:
; codeLenInByte = 0
; TotalNumSgprs: 0
; NumVgprs: 0
; ScratchSize: 0
; MemoryBound: 0
; FloatMode: 240
; IeeeMode: 1
; LDSByteSize: 0 bytes/workgroup (compile time only)
; SGPRBlocks: 0
; VGPRBlocks: 0
; NumSGPRsForWavesPerEU: 1
; NumVGPRsForWavesPerEU: 1
; Occupancy: 16
; WaveLimiterHint : 0
; COMPUTE_PGM_RSRC2:SCRATCH_EN: 0
; COMPUTE_PGM_RSRC2:USER_SGPR: 6
; COMPUTE_PGM_RSRC2:TRAP_HANDLER: 0
; COMPUTE_PGM_RSRC2:TGID_X_EN: 1
; COMPUTE_PGM_RSRC2:TGID_Y_EN: 0
; COMPUTE_PGM_RSRC2:TGID_Z_EN: 0
; COMPUTE_PGM_RSRC2:TIDIG_COMP_CNT: 0
	.section	.text._ZN7rocprim17ROCPRIM_400000_NS6detail17trampoline_kernelINS0_14default_configENS1_32segmented_reduce_config_selectorIN3c104HalfEEEZNS1_21segmented_reduce_implIS3_PKS6_PS6_PKiS6_N6hipcub16HIPCUB_304000_NS6detail27convert_result_type_wrapperISA_SB_N2at6native12_GLOBAL__N_19CustomMinEEEEE10hipError_tPvRmT0_T1_jT2_SS_T4_T3_P12ihipStream_tbEUlT_E_NS1_11comp_targetILNS1_3genE5ELNS1_11target_archE942ELNS1_3gpuE9ELNS1_3repE0EEENS1_30default_config_static_selectorELNS0_4arch9wavefront6targetE0EEEvSR_,"axG",@progbits,_ZN7rocprim17ROCPRIM_400000_NS6detail17trampoline_kernelINS0_14default_configENS1_32segmented_reduce_config_selectorIN3c104HalfEEEZNS1_21segmented_reduce_implIS3_PKS6_PS6_PKiS6_N6hipcub16HIPCUB_304000_NS6detail27convert_result_type_wrapperISA_SB_N2at6native12_GLOBAL__N_19CustomMinEEEEE10hipError_tPvRmT0_T1_jT2_SS_T4_T3_P12ihipStream_tbEUlT_E_NS1_11comp_targetILNS1_3genE5ELNS1_11target_archE942ELNS1_3gpuE9ELNS1_3repE0EEENS1_30default_config_static_selectorELNS0_4arch9wavefront6targetE0EEEvSR_,comdat
	.globl	_ZN7rocprim17ROCPRIM_400000_NS6detail17trampoline_kernelINS0_14default_configENS1_32segmented_reduce_config_selectorIN3c104HalfEEEZNS1_21segmented_reduce_implIS3_PKS6_PS6_PKiS6_N6hipcub16HIPCUB_304000_NS6detail27convert_result_type_wrapperISA_SB_N2at6native12_GLOBAL__N_19CustomMinEEEEE10hipError_tPvRmT0_T1_jT2_SS_T4_T3_P12ihipStream_tbEUlT_E_NS1_11comp_targetILNS1_3genE5ELNS1_11target_archE942ELNS1_3gpuE9ELNS1_3repE0EEENS1_30default_config_static_selectorELNS0_4arch9wavefront6targetE0EEEvSR_ ; -- Begin function _ZN7rocprim17ROCPRIM_400000_NS6detail17trampoline_kernelINS0_14default_configENS1_32segmented_reduce_config_selectorIN3c104HalfEEEZNS1_21segmented_reduce_implIS3_PKS6_PS6_PKiS6_N6hipcub16HIPCUB_304000_NS6detail27convert_result_type_wrapperISA_SB_N2at6native12_GLOBAL__N_19CustomMinEEEEE10hipError_tPvRmT0_T1_jT2_SS_T4_T3_P12ihipStream_tbEUlT_E_NS1_11comp_targetILNS1_3genE5ELNS1_11target_archE942ELNS1_3gpuE9ELNS1_3repE0EEENS1_30default_config_static_selectorELNS0_4arch9wavefront6targetE0EEEvSR_
	.p2align	8
	.type	_ZN7rocprim17ROCPRIM_400000_NS6detail17trampoline_kernelINS0_14default_configENS1_32segmented_reduce_config_selectorIN3c104HalfEEEZNS1_21segmented_reduce_implIS3_PKS6_PS6_PKiS6_N6hipcub16HIPCUB_304000_NS6detail27convert_result_type_wrapperISA_SB_N2at6native12_GLOBAL__N_19CustomMinEEEEE10hipError_tPvRmT0_T1_jT2_SS_T4_T3_P12ihipStream_tbEUlT_E_NS1_11comp_targetILNS1_3genE5ELNS1_11target_archE942ELNS1_3gpuE9ELNS1_3repE0EEENS1_30default_config_static_selectorELNS0_4arch9wavefront6targetE0EEEvSR_,@function
_ZN7rocprim17ROCPRIM_400000_NS6detail17trampoline_kernelINS0_14default_configENS1_32segmented_reduce_config_selectorIN3c104HalfEEEZNS1_21segmented_reduce_implIS3_PKS6_PS6_PKiS6_N6hipcub16HIPCUB_304000_NS6detail27convert_result_type_wrapperISA_SB_N2at6native12_GLOBAL__N_19CustomMinEEEEE10hipError_tPvRmT0_T1_jT2_SS_T4_T3_P12ihipStream_tbEUlT_E_NS1_11comp_targetILNS1_3genE5ELNS1_11target_archE942ELNS1_3gpuE9ELNS1_3repE0EEENS1_30default_config_static_selectorELNS0_4arch9wavefront6targetE0EEEvSR_: ; @_ZN7rocprim17ROCPRIM_400000_NS6detail17trampoline_kernelINS0_14default_configENS1_32segmented_reduce_config_selectorIN3c104HalfEEEZNS1_21segmented_reduce_implIS3_PKS6_PS6_PKiS6_N6hipcub16HIPCUB_304000_NS6detail27convert_result_type_wrapperISA_SB_N2at6native12_GLOBAL__N_19CustomMinEEEEE10hipError_tPvRmT0_T1_jT2_SS_T4_T3_P12ihipStream_tbEUlT_E_NS1_11comp_targetILNS1_3genE5ELNS1_11target_archE942ELNS1_3gpuE9ELNS1_3repE0EEENS1_30default_config_static_selectorELNS0_4arch9wavefront6targetE0EEEvSR_
; %bb.0:
	.section	.rodata,"a",@progbits
	.p2align	6, 0x0
	.amdhsa_kernel _ZN7rocprim17ROCPRIM_400000_NS6detail17trampoline_kernelINS0_14default_configENS1_32segmented_reduce_config_selectorIN3c104HalfEEEZNS1_21segmented_reduce_implIS3_PKS6_PS6_PKiS6_N6hipcub16HIPCUB_304000_NS6detail27convert_result_type_wrapperISA_SB_N2at6native12_GLOBAL__N_19CustomMinEEEEE10hipError_tPvRmT0_T1_jT2_SS_T4_T3_P12ihipStream_tbEUlT_E_NS1_11comp_targetILNS1_3genE5ELNS1_11target_archE942ELNS1_3gpuE9ELNS1_3repE0EEENS1_30default_config_static_selectorELNS0_4arch9wavefront6targetE0EEEvSR_
		.amdhsa_group_segment_fixed_size 0
		.amdhsa_private_segment_fixed_size 0
		.amdhsa_kernarg_size 48
		.amdhsa_user_sgpr_count 6
		.amdhsa_user_sgpr_private_segment_buffer 1
		.amdhsa_user_sgpr_dispatch_ptr 0
		.amdhsa_user_sgpr_queue_ptr 0
		.amdhsa_user_sgpr_kernarg_segment_ptr 1
		.amdhsa_user_sgpr_dispatch_id 0
		.amdhsa_user_sgpr_flat_scratch_init 0
		.amdhsa_user_sgpr_private_segment_size 0
		.amdhsa_wavefront_size32 1
		.amdhsa_uses_dynamic_stack 0
		.amdhsa_system_sgpr_private_segment_wavefront_offset 0
		.amdhsa_system_sgpr_workgroup_id_x 1
		.amdhsa_system_sgpr_workgroup_id_y 0
		.amdhsa_system_sgpr_workgroup_id_z 0
		.amdhsa_system_sgpr_workgroup_info 0
		.amdhsa_system_vgpr_workitem_id 0
		.amdhsa_next_free_vgpr 1
		.amdhsa_next_free_sgpr 1
		.amdhsa_reserve_vcc 0
		.amdhsa_reserve_flat_scratch 0
		.amdhsa_float_round_mode_32 0
		.amdhsa_float_round_mode_16_64 0
		.amdhsa_float_denorm_mode_32 3
		.amdhsa_float_denorm_mode_16_64 3
		.amdhsa_dx10_clamp 1
		.amdhsa_ieee_mode 1
		.amdhsa_fp16_overflow 0
		.amdhsa_workgroup_processor_mode 1
		.amdhsa_memory_ordered 1
		.amdhsa_forward_progress 1
		.amdhsa_shared_vgpr_count 0
		.amdhsa_exception_fp_ieee_invalid_op 0
		.amdhsa_exception_fp_denorm_src 0
		.amdhsa_exception_fp_ieee_div_zero 0
		.amdhsa_exception_fp_ieee_overflow 0
		.amdhsa_exception_fp_ieee_underflow 0
		.amdhsa_exception_fp_ieee_inexact 0
		.amdhsa_exception_int_div_zero 0
	.end_amdhsa_kernel
	.section	.text._ZN7rocprim17ROCPRIM_400000_NS6detail17trampoline_kernelINS0_14default_configENS1_32segmented_reduce_config_selectorIN3c104HalfEEEZNS1_21segmented_reduce_implIS3_PKS6_PS6_PKiS6_N6hipcub16HIPCUB_304000_NS6detail27convert_result_type_wrapperISA_SB_N2at6native12_GLOBAL__N_19CustomMinEEEEE10hipError_tPvRmT0_T1_jT2_SS_T4_T3_P12ihipStream_tbEUlT_E_NS1_11comp_targetILNS1_3genE5ELNS1_11target_archE942ELNS1_3gpuE9ELNS1_3repE0EEENS1_30default_config_static_selectorELNS0_4arch9wavefront6targetE0EEEvSR_,"axG",@progbits,_ZN7rocprim17ROCPRIM_400000_NS6detail17trampoline_kernelINS0_14default_configENS1_32segmented_reduce_config_selectorIN3c104HalfEEEZNS1_21segmented_reduce_implIS3_PKS6_PS6_PKiS6_N6hipcub16HIPCUB_304000_NS6detail27convert_result_type_wrapperISA_SB_N2at6native12_GLOBAL__N_19CustomMinEEEEE10hipError_tPvRmT0_T1_jT2_SS_T4_T3_P12ihipStream_tbEUlT_E_NS1_11comp_targetILNS1_3genE5ELNS1_11target_archE942ELNS1_3gpuE9ELNS1_3repE0EEENS1_30default_config_static_selectorELNS0_4arch9wavefront6targetE0EEEvSR_,comdat
.Lfunc_end95:
	.size	_ZN7rocprim17ROCPRIM_400000_NS6detail17trampoline_kernelINS0_14default_configENS1_32segmented_reduce_config_selectorIN3c104HalfEEEZNS1_21segmented_reduce_implIS3_PKS6_PS6_PKiS6_N6hipcub16HIPCUB_304000_NS6detail27convert_result_type_wrapperISA_SB_N2at6native12_GLOBAL__N_19CustomMinEEEEE10hipError_tPvRmT0_T1_jT2_SS_T4_T3_P12ihipStream_tbEUlT_E_NS1_11comp_targetILNS1_3genE5ELNS1_11target_archE942ELNS1_3gpuE9ELNS1_3repE0EEENS1_30default_config_static_selectorELNS0_4arch9wavefront6targetE0EEEvSR_, .Lfunc_end95-_ZN7rocprim17ROCPRIM_400000_NS6detail17trampoline_kernelINS0_14default_configENS1_32segmented_reduce_config_selectorIN3c104HalfEEEZNS1_21segmented_reduce_implIS3_PKS6_PS6_PKiS6_N6hipcub16HIPCUB_304000_NS6detail27convert_result_type_wrapperISA_SB_N2at6native12_GLOBAL__N_19CustomMinEEEEE10hipError_tPvRmT0_T1_jT2_SS_T4_T3_P12ihipStream_tbEUlT_E_NS1_11comp_targetILNS1_3genE5ELNS1_11target_archE942ELNS1_3gpuE9ELNS1_3repE0EEENS1_30default_config_static_selectorELNS0_4arch9wavefront6targetE0EEEvSR_
                                        ; -- End function
	.set _ZN7rocprim17ROCPRIM_400000_NS6detail17trampoline_kernelINS0_14default_configENS1_32segmented_reduce_config_selectorIN3c104HalfEEEZNS1_21segmented_reduce_implIS3_PKS6_PS6_PKiS6_N6hipcub16HIPCUB_304000_NS6detail27convert_result_type_wrapperISA_SB_N2at6native12_GLOBAL__N_19CustomMinEEEEE10hipError_tPvRmT0_T1_jT2_SS_T4_T3_P12ihipStream_tbEUlT_E_NS1_11comp_targetILNS1_3genE5ELNS1_11target_archE942ELNS1_3gpuE9ELNS1_3repE0EEENS1_30default_config_static_selectorELNS0_4arch9wavefront6targetE0EEEvSR_.num_vgpr, 0
	.set _ZN7rocprim17ROCPRIM_400000_NS6detail17trampoline_kernelINS0_14default_configENS1_32segmented_reduce_config_selectorIN3c104HalfEEEZNS1_21segmented_reduce_implIS3_PKS6_PS6_PKiS6_N6hipcub16HIPCUB_304000_NS6detail27convert_result_type_wrapperISA_SB_N2at6native12_GLOBAL__N_19CustomMinEEEEE10hipError_tPvRmT0_T1_jT2_SS_T4_T3_P12ihipStream_tbEUlT_E_NS1_11comp_targetILNS1_3genE5ELNS1_11target_archE942ELNS1_3gpuE9ELNS1_3repE0EEENS1_30default_config_static_selectorELNS0_4arch9wavefront6targetE0EEEvSR_.num_agpr, 0
	.set _ZN7rocprim17ROCPRIM_400000_NS6detail17trampoline_kernelINS0_14default_configENS1_32segmented_reduce_config_selectorIN3c104HalfEEEZNS1_21segmented_reduce_implIS3_PKS6_PS6_PKiS6_N6hipcub16HIPCUB_304000_NS6detail27convert_result_type_wrapperISA_SB_N2at6native12_GLOBAL__N_19CustomMinEEEEE10hipError_tPvRmT0_T1_jT2_SS_T4_T3_P12ihipStream_tbEUlT_E_NS1_11comp_targetILNS1_3genE5ELNS1_11target_archE942ELNS1_3gpuE9ELNS1_3repE0EEENS1_30default_config_static_selectorELNS0_4arch9wavefront6targetE0EEEvSR_.numbered_sgpr, 0
	.set _ZN7rocprim17ROCPRIM_400000_NS6detail17trampoline_kernelINS0_14default_configENS1_32segmented_reduce_config_selectorIN3c104HalfEEEZNS1_21segmented_reduce_implIS3_PKS6_PS6_PKiS6_N6hipcub16HIPCUB_304000_NS6detail27convert_result_type_wrapperISA_SB_N2at6native12_GLOBAL__N_19CustomMinEEEEE10hipError_tPvRmT0_T1_jT2_SS_T4_T3_P12ihipStream_tbEUlT_E_NS1_11comp_targetILNS1_3genE5ELNS1_11target_archE942ELNS1_3gpuE9ELNS1_3repE0EEENS1_30default_config_static_selectorELNS0_4arch9wavefront6targetE0EEEvSR_.num_named_barrier, 0
	.set _ZN7rocprim17ROCPRIM_400000_NS6detail17trampoline_kernelINS0_14default_configENS1_32segmented_reduce_config_selectorIN3c104HalfEEEZNS1_21segmented_reduce_implIS3_PKS6_PS6_PKiS6_N6hipcub16HIPCUB_304000_NS6detail27convert_result_type_wrapperISA_SB_N2at6native12_GLOBAL__N_19CustomMinEEEEE10hipError_tPvRmT0_T1_jT2_SS_T4_T3_P12ihipStream_tbEUlT_E_NS1_11comp_targetILNS1_3genE5ELNS1_11target_archE942ELNS1_3gpuE9ELNS1_3repE0EEENS1_30default_config_static_selectorELNS0_4arch9wavefront6targetE0EEEvSR_.private_seg_size, 0
	.set _ZN7rocprim17ROCPRIM_400000_NS6detail17trampoline_kernelINS0_14default_configENS1_32segmented_reduce_config_selectorIN3c104HalfEEEZNS1_21segmented_reduce_implIS3_PKS6_PS6_PKiS6_N6hipcub16HIPCUB_304000_NS6detail27convert_result_type_wrapperISA_SB_N2at6native12_GLOBAL__N_19CustomMinEEEEE10hipError_tPvRmT0_T1_jT2_SS_T4_T3_P12ihipStream_tbEUlT_E_NS1_11comp_targetILNS1_3genE5ELNS1_11target_archE942ELNS1_3gpuE9ELNS1_3repE0EEENS1_30default_config_static_selectorELNS0_4arch9wavefront6targetE0EEEvSR_.uses_vcc, 0
	.set _ZN7rocprim17ROCPRIM_400000_NS6detail17trampoline_kernelINS0_14default_configENS1_32segmented_reduce_config_selectorIN3c104HalfEEEZNS1_21segmented_reduce_implIS3_PKS6_PS6_PKiS6_N6hipcub16HIPCUB_304000_NS6detail27convert_result_type_wrapperISA_SB_N2at6native12_GLOBAL__N_19CustomMinEEEEE10hipError_tPvRmT0_T1_jT2_SS_T4_T3_P12ihipStream_tbEUlT_E_NS1_11comp_targetILNS1_3genE5ELNS1_11target_archE942ELNS1_3gpuE9ELNS1_3repE0EEENS1_30default_config_static_selectorELNS0_4arch9wavefront6targetE0EEEvSR_.uses_flat_scratch, 0
	.set _ZN7rocprim17ROCPRIM_400000_NS6detail17trampoline_kernelINS0_14default_configENS1_32segmented_reduce_config_selectorIN3c104HalfEEEZNS1_21segmented_reduce_implIS3_PKS6_PS6_PKiS6_N6hipcub16HIPCUB_304000_NS6detail27convert_result_type_wrapperISA_SB_N2at6native12_GLOBAL__N_19CustomMinEEEEE10hipError_tPvRmT0_T1_jT2_SS_T4_T3_P12ihipStream_tbEUlT_E_NS1_11comp_targetILNS1_3genE5ELNS1_11target_archE942ELNS1_3gpuE9ELNS1_3repE0EEENS1_30default_config_static_selectorELNS0_4arch9wavefront6targetE0EEEvSR_.has_dyn_sized_stack, 0
	.set _ZN7rocprim17ROCPRIM_400000_NS6detail17trampoline_kernelINS0_14default_configENS1_32segmented_reduce_config_selectorIN3c104HalfEEEZNS1_21segmented_reduce_implIS3_PKS6_PS6_PKiS6_N6hipcub16HIPCUB_304000_NS6detail27convert_result_type_wrapperISA_SB_N2at6native12_GLOBAL__N_19CustomMinEEEEE10hipError_tPvRmT0_T1_jT2_SS_T4_T3_P12ihipStream_tbEUlT_E_NS1_11comp_targetILNS1_3genE5ELNS1_11target_archE942ELNS1_3gpuE9ELNS1_3repE0EEENS1_30default_config_static_selectorELNS0_4arch9wavefront6targetE0EEEvSR_.has_recursion, 0
	.set _ZN7rocprim17ROCPRIM_400000_NS6detail17trampoline_kernelINS0_14default_configENS1_32segmented_reduce_config_selectorIN3c104HalfEEEZNS1_21segmented_reduce_implIS3_PKS6_PS6_PKiS6_N6hipcub16HIPCUB_304000_NS6detail27convert_result_type_wrapperISA_SB_N2at6native12_GLOBAL__N_19CustomMinEEEEE10hipError_tPvRmT0_T1_jT2_SS_T4_T3_P12ihipStream_tbEUlT_E_NS1_11comp_targetILNS1_3genE5ELNS1_11target_archE942ELNS1_3gpuE9ELNS1_3repE0EEENS1_30default_config_static_selectorELNS0_4arch9wavefront6targetE0EEEvSR_.has_indirect_call, 0
	.section	.AMDGPU.csdata,"",@progbits
; Kernel info:
; codeLenInByte = 0
; TotalNumSgprs: 0
; NumVgprs: 0
; ScratchSize: 0
; MemoryBound: 0
; FloatMode: 240
; IeeeMode: 1
; LDSByteSize: 0 bytes/workgroup (compile time only)
; SGPRBlocks: 0
; VGPRBlocks: 0
; NumSGPRsForWavesPerEU: 1
; NumVGPRsForWavesPerEU: 1
; Occupancy: 16
; WaveLimiterHint : 0
; COMPUTE_PGM_RSRC2:SCRATCH_EN: 0
; COMPUTE_PGM_RSRC2:USER_SGPR: 6
; COMPUTE_PGM_RSRC2:TRAP_HANDLER: 0
; COMPUTE_PGM_RSRC2:TGID_X_EN: 1
; COMPUTE_PGM_RSRC2:TGID_Y_EN: 0
; COMPUTE_PGM_RSRC2:TGID_Z_EN: 0
; COMPUTE_PGM_RSRC2:TIDIG_COMP_CNT: 0
	.section	.text._ZN7rocprim17ROCPRIM_400000_NS6detail17trampoline_kernelINS0_14default_configENS1_32segmented_reduce_config_selectorIN3c104HalfEEEZNS1_21segmented_reduce_implIS3_PKS6_PS6_PKiS6_N6hipcub16HIPCUB_304000_NS6detail27convert_result_type_wrapperISA_SB_N2at6native12_GLOBAL__N_19CustomMinEEEEE10hipError_tPvRmT0_T1_jT2_SS_T4_T3_P12ihipStream_tbEUlT_E_NS1_11comp_targetILNS1_3genE10ELNS1_11target_archE1201ELNS1_3gpuE5ELNS1_3repE0EEENS1_30default_config_static_selectorELNS0_4arch9wavefront6targetE0EEEvSR_,"axG",@progbits,_ZN7rocprim17ROCPRIM_400000_NS6detail17trampoline_kernelINS0_14default_configENS1_32segmented_reduce_config_selectorIN3c104HalfEEEZNS1_21segmented_reduce_implIS3_PKS6_PS6_PKiS6_N6hipcub16HIPCUB_304000_NS6detail27convert_result_type_wrapperISA_SB_N2at6native12_GLOBAL__N_19CustomMinEEEEE10hipError_tPvRmT0_T1_jT2_SS_T4_T3_P12ihipStream_tbEUlT_E_NS1_11comp_targetILNS1_3genE10ELNS1_11target_archE1201ELNS1_3gpuE5ELNS1_3repE0EEENS1_30default_config_static_selectorELNS0_4arch9wavefront6targetE0EEEvSR_,comdat
	.globl	_ZN7rocprim17ROCPRIM_400000_NS6detail17trampoline_kernelINS0_14default_configENS1_32segmented_reduce_config_selectorIN3c104HalfEEEZNS1_21segmented_reduce_implIS3_PKS6_PS6_PKiS6_N6hipcub16HIPCUB_304000_NS6detail27convert_result_type_wrapperISA_SB_N2at6native12_GLOBAL__N_19CustomMinEEEEE10hipError_tPvRmT0_T1_jT2_SS_T4_T3_P12ihipStream_tbEUlT_E_NS1_11comp_targetILNS1_3genE10ELNS1_11target_archE1201ELNS1_3gpuE5ELNS1_3repE0EEENS1_30default_config_static_selectorELNS0_4arch9wavefront6targetE0EEEvSR_ ; -- Begin function _ZN7rocprim17ROCPRIM_400000_NS6detail17trampoline_kernelINS0_14default_configENS1_32segmented_reduce_config_selectorIN3c104HalfEEEZNS1_21segmented_reduce_implIS3_PKS6_PS6_PKiS6_N6hipcub16HIPCUB_304000_NS6detail27convert_result_type_wrapperISA_SB_N2at6native12_GLOBAL__N_19CustomMinEEEEE10hipError_tPvRmT0_T1_jT2_SS_T4_T3_P12ihipStream_tbEUlT_E_NS1_11comp_targetILNS1_3genE10ELNS1_11target_archE1201ELNS1_3gpuE5ELNS1_3repE0EEENS1_30default_config_static_selectorELNS0_4arch9wavefront6targetE0EEEvSR_
	.p2align	8
	.type	_ZN7rocprim17ROCPRIM_400000_NS6detail17trampoline_kernelINS0_14default_configENS1_32segmented_reduce_config_selectorIN3c104HalfEEEZNS1_21segmented_reduce_implIS3_PKS6_PS6_PKiS6_N6hipcub16HIPCUB_304000_NS6detail27convert_result_type_wrapperISA_SB_N2at6native12_GLOBAL__N_19CustomMinEEEEE10hipError_tPvRmT0_T1_jT2_SS_T4_T3_P12ihipStream_tbEUlT_E_NS1_11comp_targetILNS1_3genE10ELNS1_11target_archE1201ELNS1_3gpuE5ELNS1_3repE0EEENS1_30default_config_static_selectorELNS0_4arch9wavefront6targetE0EEEvSR_,@function
_ZN7rocprim17ROCPRIM_400000_NS6detail17trampoline_kernelINS0_14default_configENS1_32segmented_reduce_config_selectorIN3c104HalfEEEZNS1_21segmented_reduce_implIS3_PKS6_PS6_PKiS6_N6hipcub16HIPCUB_304000_NS6detail27convert_result_type_wrapperISA_SB_N2at6native12_GLOBAL__N_19CustomMinEEEEE10hipError_tPvRmT0_T1_jT2_SS_T4_T3_P12ihipStream_tbEUlT_E_NS1_11comp_targetILNS1_3genE10ELNS1_11target_archE1201ELNS1_3gpuE5ELNS1_3repE0EEENS1_30default_config_static_selectorELNS0_4arch9wavefront6targetE0EEEvSR_: ; @_ZN7rocprim17ROCPRIM_400000_NS6detail17trampoline_kernelINS0_14default_configENS1_32segmented_reduce_config_selectorIN3c104HalfEEEZNS1_21segmented_reduce_implIS3_PKS6_PS6_PKiS6_N6hipcub16HIPCUB_304000_NS6detail27convert_result_type_wrapperISA_SB_N2at6native12_GLOBAL__N_19CustomMinEEEEE10hipError_tPvRmT0_T1_jT2_SS_T4_T3_P12ihipStream_tbEUlT_E_NS1_11comp_targetILNS1_3genE10ELNS1_11target_archE1201ELNS1_3gpuE5ELNS1_3repE0EEENS1_30default_config_static_selectorELNS0_4arch9wavefront6targetE0EEEvSR_
; %bb.0:
	.section	.rodata,"a",@progbits
	.p2align	6, 0x0
	.amdhsa_kernel _ZN7rocprim17ROCPRIM_400000_NS6detail17trampoline_kernelINS0_14default_configENS1_32segmented_reduce_config_selectorIN3c104HalfEEEZNS1_21segmented_reduce_implIS3_PKS6_PS6_PKiS6_N6hipcub16HIPCUB_304000_NS6detail27convert_result_type_wrapperISA_SB_N2at6native12_GLOBAL__N_19CustomMinEEEEE10hipError_tPvRmT0_T1_jT2_SS_T4_T3_P12ihipStream_tbEUlT_E_NS1_11comp_targetILNS1_3genE10ELNS1_11target_archE1201ELNS1_3gpuE5ELNS1_3repE0EEENS1_30default_config_static_selectorELNS0_4arch9wavefront6targetE0EEEvSR_
		.amdhsa_group_segment_fixed_size 0
		.amdhsa_private_segment_fixed_size 0
		.amdhsa_kernarg_size 48
		.amdhsa_user_sgpr_count 6
		.amdhsa_user_sgpr_private_segment_buffer 1
		.amdhsa_user_sgpr_dispatch_ptr 0
		.amdhsa_user_sgpr_queue_ptr 0
		.amdhsa_user_sgpr_kernarg_segment_ptr 1
		.amdhsa_user_sgpr_dispatch_id 0
		.amdhsa_user_sgpr_flat_scratch_init 0
		.amdhsa_user_sgpr_private_segment_size 0
		.amdhsa_wavefront_size32 1
		.amdhsa_uses_dynamic_stack 0
		.amdhsa_system_sgpr_private_segment_wavefront_offset 0
		.amdhsa_system_sgpr_workgroup_id_x 1
		.amdhsa_system_sgpr_workgroup_id_y 0
		.amdhsa_system_sgpr_workgroup_id_z 0
		.amdhsa_system_sgpr_workgroup_info 0
		.amdhsa_system_vgpr_workitem_id 0
		.amdhsa_next_free_vgpr 1
		.amdhsa_next_free_sgpr 1
		.amdhsa_reserve_vcc 0
		.amdhsa_reserve_flat_scratch 0
		.amdhsa_float_round_mode_32 0
		.amdhsa_float_round_mode_16_64 0
		.amdhsa_float_denorm_mode_32 3
		.amdhsa_float_denorm_mode_16_64 3
		.amdhsa_dx10_clamp 1
		.amdhsa_ieee_mode 1
		.amdhsa_fp16_overflow 0
		.amdhsa_workgroup_processor_mode 1
		.amdhsa_memory_ordered 1
		.amdhsa_forward_progress 1
		.amdhsa_shared_vgpr_count 0
		.amdhsa_exception_fp_ieee_invalid_op 0
		.amdhsa_exception_fp_denorm_src 0
		.amdhsa_exception_fp_ieee_div_zero 0
		.amdhsa_exception_fp_ieee_overflow 0
		.amdhsa_exception_fp_ieee_underflow 0
		.amdhsa_exception_fp_ieee_inexact 0
		.amdhsa_exception_int_div_zero 0
	.end_amdhsa_kernel
	.section	.text._ZN7rocprim17ROCPRIM_400000_NS6detail17trampoline_kernelINS0_14default_configENS1_32segmented_reduce_config_selectorIN3c104HalfEEEZNS1_21segmented_reduce_implIS3_PKS6_PS6_PKiS6_N6hipcub16HIPCUB_304000_NS6detail27convert_result_type_wrapperISA_SB_N2at6native12_GLOBAL__N_19CustomMinEEEEE10hipError_tPvRmT0_T1_jT2_SS_T4_T3_P12ihipStream_tbEUlT_E_NS1_11comp_targetILNS1_3genE10ELNS1_11target_archE1201ELNS1_3gpuE5ELNS1_3repE0EEENS1_30default_config_static_selectorELNS0_4arch9wavefront6targetE0EEEvSR_,"axG",@progbits,_ZN7rocprim17ROCPRIM_400000_NS6detail17trampoline_kernelINS0_14default_configENS1_32segmented_reduce_config_selectorIN3c104HalfEEEZNS1_21segmented_reduce_implIS3_PKS6_PS6_PKiS6_N6hipcub16HIPCUB_304000_NS6detail27convert_result_type_wrapperISA_SB_N2at6native12_GLOBAL__N_19CustomMinEEEEE10hipError_tPvRmT0_T1_jT2_SS_T4_T3_P12ihipStream_tbEUlT_E_NS1_11comp_targetILNS1_3genE10ELNS1_11target_archE1201ELNS1_3gpuE5ELNS1_3repE0EEENS1_30default_config_static_selectorELNS0_4arch9wavefront6targetE0EEEvSR_,comdat
.Lfunc_end96:
	.size	_ZN7rocprim17ROCPRIM_400000_NS6detail17trampoline_kernelINS0_14default_configENS1_32segmented_reduce_config_selectorIN3c104HalfEEEZNS1_21segmented_reduce_implIS3_PKS6_PS6_PKiS6_N6hipcub16HIPCUB_304000_NS6detail27convert_result_type_wrapperISA_SB_N2at6native12_GLOBAL__N_19CustomMinEEEEE10hipError_tPvRmT0_T1_jT2_SS_T4_T3_P12ihipStream_tbEUlT_E_NS1_11comp_targetILNS1_3genE10ELNS1_11target_archE1201ELNS1_3gpuE5ELNS1_3repE0EEENS1_30default_config_static_selectorELNS0_4arch9wavefront6targetE0EEEvSR_, .Lfunc_end96-_ZN7rocprim17ROCPRIM_400000_NS6detail17trampoline_kernelINS0_14default_configENS1_32segmented_reduce_config_selectorIN3c104HalfEEEZNS1_21segmented_reduce_implIS3_PKS6_PS6_PKiS6_N6hipcub16HIPCUB_304000_NS6detail27convert_result_type_wrapperISA_SB_N2at6native12_GLOBAL__N_19CustomMinEEEEE10hipError_tPvRmT0_T1_jT2_SS_T4_T3_P12ihipStream_tbEUlT_E_NS1_11comp_targetILNS1_3genE10ELNS1_11target_archE1201ELNS1_3gpuE5ELNS1_3repE0EEENS1_30default_config_static_selectorELNS0_4arch9wavefront6targetE0EEEvSR_
                                        ; -- End function
	.set _ZN7rocprim17ROCPRIM_400000_NS6detail17trampoline_kernelINS0_14default_configENS1_32segmented_reduce_config_selectorIN3c104HalfEEEZNS1_21segmented_reduce_implIS3_PKS6_PS6_PKiS6_N6hipcub16HIPCUB_304000_NS6detail27convert_result_type_wrapperISA_SB_N2at6native12_GLOBAL__N_19CustomMinEEEEE10hipError_tPvRmT0_T1_jT2_SS_T4_T3_P12ihipStream_tbEUlT_E_NS1_11comp_targetILNS1_3genE10ELNS1_11target_archE1201ELNS1_3gpuE5ELNS1_3repE0EEENS1_30default_config_static_selectorELNS0_4arch9wavefront6targetE0EEEvSR_.num_vgpr, 0
	.set _ZN7rocprim17ROCPRIM_400000_NS6detail17trampoline_kernelINS0_14default_configENS1_32segmented_reduce_config_selectorIN3c104HalfEEEZNS1_21segmented_reduce_implIS3_PKS6_PS6_PKiS6_N6hipcub16HIPCUB_304000_NS6detail27convert_result_type_wrapperISA_SB_N2at6native12_GLOBAL__N_19CustomMinEEEEE10hipError_tPvRmT0_T1_jT2_SS_T4_T3_P12ihipStream_tbEUlT_E_NS1_11comp_targetILNS1_3genE10ELNS1_11target_archE1201ELNS1_3gpuE5ELNS1_3repE0EEENS1_30default_config_static_selectorELNS0_4arch9wavefront6targetE0EEEvSR_.num_agpr, 0
	.set _ZN7rocprim17ROCPRIM_400000_NS6detail17trampoline_kernelINS0_14default_configENS1_32segmented_reduce_config_selectorIN3c104HalfEEEZNS1_21segmented_reduce_implIS3_PKS6_PS6_PKiS6_N6hipcub16HIPCUB_304000_NS6detail27convert_result_type_wrapperISA_SB_N2at6native12_GLOBAL__N_19CustomMinEEEEE10hipError_tPvRmT0_T1_jT2_SS_T4_T3_P12ihipStream_tbEUlT_E_NS1_11comp_targetILNS1_3genE10ELNS1_11target_archE1201ELNS1_3gpuE5ELNS1_3repE0EEENS1_30default_config_static_selectorELNS0_4arch9wavefront6targetE0EEEvSR_.numbered_sgpr, 0
	.set _ZN7rocprim17ROCPRIM_400000_NS6detail17trampoline_kernelINS0_14default_configENS1_32segmented_reduce_config_selectorIN3c104HalfEEEZNS1_21segmented_reduce_implIS3_PKS6_PS6_PKiS6_N6hipcub16HIPCUB_304000_NS6detail27convert_result_type_wrapperISA_SB_N2at6native12_GLOBAL__N_19CustomMinEEEEE10hipError_tPvRmT0_T1_jT2_SS_T4_T3_P12ihipStream_tbEUlT_E_NS1_11comp_targetILNS1_3genE10ELNS1_11target_archE1201ELNS1_3gpuE5ELNS1_3repE0EEENS1_30default_config_static_selectorELNS0_4arch9wavefront6targetE0EEEvSR_.num_named_barrier, 0
	.set _ZN7rocprim17ROCPRIM_400000_NS6detail17trampoline_kernelINS0_14default_configENS1_32segmented_reduce_config_selectorIN3c104HalfEEEZNS1_21segmented_reduce_implIS3_PKS6_PS6_PKiS6_N6hipcub16HIPCUB_304000_NS6detail27convert_result_type_wrapperISA_SB_N2at6native12_GLOBAL__N_19CustomMinEEEEE10hipError_tPvRmT0_T1_jT2_SS_T4_T3_P12ihipStream_tbEUlT_E_NS1_11comp_targetILNS1_3genE10ELNS1_11target_archE1201ELNS1_3gpuE5ELNS1_3repE0EEENS1_30default_config_static_selectorELNS0_4arch9wavefront6targetE0EEEvSR_.private_seg_size, 0
	.set _ZN7rocprim17ROCPRIM_400000_NS6detail17trampoline_kernelINS0_14default_configENS1_32segmented_reduce_config_selectorIN3c104HalfEEEZNS1_21segmented_reduce_implIS3_PKS6_PS6_PKiS6_N6hipcub16HIPCUB_304000_NS6detail27convert_result_type_wrapperISA_SB_N2at6native12_GLOBAL__N_19CustomMinEEEEE10hipError_tPvRmT0_T1_jT2_SS_T4_T3_P12ihipStream_tbEUlT_E_NS1_11comp_targetILNS1_3genE10ELNS1_11target_archE1201ELNS1_3gpuE5ELNS1_3repE0EEENS1_30default_config_static_selectorELNS0_4arch9wavefront6targetE0EEEvSR_.uses_vcc, 0
	.set _ZN7rocprim17ROCPRIM_400000_NS6detail17trampoline_kernelINS0_14default_configENS1_32segmented_reduce_config_selectorIN3c104HalfEEEZNS1_21segmented_reduce_implIS3_PKS6_PS6_PKiS6_N6hipcub16HIPCUB_304000_NS6detail27convert_result_type_wrapperISA_SB_N2at6native12_GLOBAL__N_19CustomMinEEEEE10hipError_tPvRmT0_T1_jT2_SS_T4_T3_P12ihipStream_tbEUlT_E_NS1_11comp_targetILNS1_3genE10ELNS1_11target_archE1201ELNS1_3gpuE5ELNS1_3repE0EEENS1_30default_config_static_selectorELNS0_4arch9wavefront6targetE0EEEvSR_.uses_flat_scratch, 0
	.set _ZN7rocprim17ROCPRIM_400000_NS6detail17trampoline_kernelINS0_14default_configENS1_32segmented_reduce_config_selectorIN3c104HalfEEEZNS1_21segmented_reduce_implIS3_PKS6_PS6_PKiS6_N6hipcub16HIPCUB_304000_NS6detail27convert_result_type_wrapperISA_SB_N2at6native12_GLOBAL__N_19CustomMinEEEEE10hipError_tPvRmT0_T1_jT2_SS_T4_T3_P12ihipStream_tbEUlT_E_NS1_11comp_targetILNS1_3genE10ELNS1_11target_archE1201ELNS1_3gpuE5ELNS1_3repE0EEENS1_30default_config_static_selectorELNS0_4arch9wavefront6targetE0EEEvSR_.has_dyn_sized_stack, 0
	.set _ZN7rocprim17ROCPRIM_400000_NS6detail17trampoline_kernelINS0_14default_configENS1_32segmented_reduce_config_selectorIN3c104HalfEEEZNS1_21segmented_reduce_implIS3_PKS6_PS6_PKiS6_N6hipcub16HIPCUB_304000_NS6detail27convert_result_type_wrapperISA_SB_N2at6native12_GLOBAL__N_19CustomMinEEEEE10hipError_tPvRmT0_T1_jT2_SS_T4_T3_P12ihipStream_tbEUlT_E_NS1_11comp_targetILNS1_3genE10ELNS1_11target_archE1201ELNS1_3gpuE5ELNS1_3repE0EEENS1_30default_config_static_selectorELNS0_4arch9wavefront6targetE0EEEvSR_.has_recursion, 0
	.set _ZN7rocprim17ROCPRIM_400000_NS6detail17trampoline_kernelINS0_14default_configENS1_32segmented_reduce_config_selectorIN3c104HalfEEEZNS1_21segmented_reduce_implIS3_PKS6_PS6_PKiS6_N6hipcub16HIPCUB_304000_NS6detail27convert_result_type_wrapperISA_SB_N2at6native12_GLOBAL__N_19CustomMinEEEEE10hipError_tPvRmT0_T1_jT2_SS_T4_T3_P12ihipStream_tbEUlT_E_NS1_11comp_targetILNS1_3genE10ELNS1_11target_archE1201ELNS1_3gpuE5ELNS1_3repE0EEENS1_30default_config_static_selectorELNS0_4arch9wavefront6targetE0EEEvSR_.has_indirect_call, 0
	.section	.AMDGPU.csdata,"",@progbits
; Kernel info:
; codeLenInByte = 0
; TotalNumSgprs: 0
; NumVgprs: 0
; ScratchSize: 0
; MemoryBound: 0
; FloatMode: 240
; IeeeMode: 1
; LDSByteSize: 0 bytes/workgroup (compile time only)
; SGPRBlocks: 0
; VGPRBlocks: 0
; NumSGPRsForWavesPerEU: 1
; NumVGPRsForWavesPerEU: 1
; Occupancy: 16
; WaveLimiterHint : 0
; COMPUTE_PGM_RSRC2:SCRATCH_EN: 0
; COMPUTE_PGM_RSRC2:USER_SGPR: 6
; COMPUTE_PGM_RSRC2:TRAP_HANDLER: 0
; COMPUTE_PGM_RSRC2:TGID_X_EN: 1
; COMPUTE_PGM_RSRC2:TGID_Y_EN: 0
; COMPUTE_PGM_RSRC2:TGID_Z_EN: 0
; COMPUTE_PGM_RSRC2:TIDIG_COMP_CNT: 0
	.section	.text._ZN7rocprim17ROCPRIM_400000_NS6detail17trampoline_kernelINS0_14default_configENS1_32segmented_reduce_config_selectorIN3c104HalfEEEZNS1_21segmented_reduce_implIS3_PKS6_PS6_PKiS6_N6hipcub16HIPCUB_304000_NS6detail27convert_result_type_wrapperISA_SB_N2at6native12_GLOBAL__N_19CustomMinEEEEE10hipError_tPvRmT0_T1_jT2_SS_T4_T3_P12ihipStream_tbEUlT_E_NS1_11comp_targetILNS1_3genE4ELNS1_11target_archE910ELNS1_3gpuE8ELNS1_3repE0EEENS1_30default_config_static_selectorELNS0_4arch9wavefront6targetE0EEEvSR_,"axG",@progbits,_ZN7rocprim17ROCPRIM_400000_NS6detail17trampoline_kernelINS0_14default_configENS1_32segmented_reduce_config_selectorIN3c104HalfEEEZNS1_21segmented_reduce_implIS3_PKS6_PS6_PKiS6_N6hipcub16HIPCUB_304000_NS6detail27convert_result_type_wrapperISA_SB_N2at6native12_GLOBAL__N_19CustomMinEEEEE10hipError_tPvRmT0_T1_jT2_SS_T4_T3_P12ihipStream_tbEUlT_E_NS1_11comp_targetILNS1_3genE4ELNS1_11target_archE910ELNS1_3gpuE8ELNS1_3repE0EEENS1_30default_config_static_selectorELNS0_4arch9wavefront6targetE0EEEvSR_,comdat
	.globl	_ZN7rocprim17ROCPRIM_400000_NS6detail17trampoline_kernelINS0_14default_configENS1_32segmented_reduce_config_selectorIN3c104HalfEEEZNS1_21segmented_reduce_implIS3_PKS6_PS6_PKiS6_N6hipcub16HIPCUB_304000_NS6detail27convert_result_type_wrapperISA_SB_N2at6native12_GLOBAL__N_19CustomMinEEEEE10hipError_tPvRmT0_T1_jT2_SS_T4_T3_P12ihipStream_tbEUlT_E_NS1_11comp_targetILNS1_3genE4ELNS1_11target_archE910ELNS1_3gpuE8ELNS1_3repE0EEENS1_30default_config_static_selectorELNS0_4arch9wavefront6targetE0EEEvSR_ ; -- Begin function _ZN7rocprim17ROCPRIM_400000_NS6detail17trampoline_kernelINS0_14default_configENS1_32segmented_reduce_config_selectorIN3c104HalfEEEZNS1_21segmented_reduce_implIS3_PKS6_PS6_PKiS6_N6hipcub16HIPCUB_304000_NS6detail27convert_result_type_wrapperISA_SB_N2at6native12_GLOBAL__N_19CustomMinEEEEE10hipError_tPvRmT0_T1_jT2_SS_T4_T3_P12ihipStream_tbEUlT_E_NS1_11comp_targetILNS1_3genE4ELNS1_11target_archE910ELNS1_3gpuE8ELNS1_3repE0EEENS1_30default_config_static_selectorELNS0_4arch9wavefront6targetE0EEEvSR_
	.p2align	8
	.type	_ZN7rocprim17ROCPRIM_400000_NS6detail17trampoline_kernelINS0_14default_configENS1_32segmented_reduce_config_selectorIN3c104HalfEEEZNS1_21segmented_reduce_implIS3_PKS6_PS6_PKiS6_N6hipcub16HIPCUB_304000_NS6detail27convert_result_type_wrapperISA_SB_N2at6native12_GLOBAL__N_19CustomMinEEEEE10hipError_tPvRmT0_T1_jT2_SS_T4_T3_P12ihipStream_tbEUlT_E_NS1_11comp_targetILNS1_3genE4ELNS1_11target_archE910ELNS1_3gpuE8ELNS1_3repE0EEENS1_30default_config_static_selectorELNS0_4arch9wavefront6targetE0EEEvSR_,@function
_ZN7rocprim17ROCPRIM_400000_NS6detail17trampoline_kernelINS0_14default_configENS1_32segmented_reduce_config_selectorIN3c104HalfEEEZNS1_21segmented_reduce_implIS3_PKS6_PS6_PKiS6_N6hipcub16HIPCUB_304000_NS6detail27convert_result_type_wrapperISA_SB_N2at6native12_GLOBAL__N_19CustomMinEEEEE10hipError_tPvRmT0_T1_jT2_SS_T4_T3_P12ihipStream_tbEUlT_E_NS1_11comp_targetILNS1_3genE4ELNS1_11target_archE910ELNS1_3gpuE8ELNS1_3repE0EEENS1_30default_config_static_selectorELNS0_4arch9wavefront6targetE0EEEvSR_: ; @_ZN7rocprim17ROCPRIM_400000_NS6detail17trampoline_kernelINS0_14default_configENS1_32segmented_reduce_config_selectorIN3c104HalfEEEZNS1_21segmented_reduce_implIS3_PKS6_PS6_PKiS6_N6hipcub16HIPCUB_304000_NS6detail27convert_result_type_wrapperISA_SB_N2at6native12_GLOBAL__N_19CustomMinEEEEE10hipError_tPvRmT0_T1_jT2_SS_T4_T3_P12ihipStream_tbEUlT_E_NS1_11comp_targetILNS1_3genE4ELNS1_11target_archE910ELNS1_3gpuE8ELNS1_3repE0EEENS1_30default_config_static_selectorELNS0_4arch9wavefront6targetE0EEEvSR_
; %bb.0:
	.section	.rodata,"a",@progbits
	.p2align	6, 0x0
	.amdhsa_kernel _ZN7rocprim17ROCPRIM_400000_NS6detail17trampoline_kernelINS0_14default_configENS1_32segmented_reduce_config_selectorIN3c104HalfEEEZNS1_21segmented_reduce_implIS3_PKS6_PS6_PKiS6_N6hipcub16HIPCUB_304000_NS6detail27convert_result_type_wrapperISA_SB_N2at6native12_GLOBAL__N_19CustomMinEEEEE10hipError_tPvRmT0_T1_jT2_SS_T4_T3_P12ihipStream_tbEUlT_E_NS1_11comp_targetILNS1_3genE4ELNS1_11target_archE910ELNS1_3gpuE8ELNS1_3repE0EEENS1_30default_config_static_selectorELNS0_4arch9wavefront6targetE0EEEvSR_
		.amdhsa_group_segment_fixed_size 0
		.amdhsa_private_segment_fixed_size 0
		.amdhsa_kernarg_size 48
		.amdhsa_user_sgpr_count 6
		.amdhsa_user_sgpr_private_segment_buffer 1
		.amdhsa_user_sgpr_dispatch_ptr 0
		.amdhsa_user_sgpr_queue_ptr 0
		.amdhsa_user_sgpr_kernarg_segment_ptr 1
		.amdhsa_user_sgpr_dispatch_id 0
		.amdhsa_user_sgpr_flat_scratch_init 0
		.amdhsa_user_sgpr_private_segment_size 0
		.amdhsa_wavefront_size32 1
		.amdhsa_uses_dynamic_stack 0
		.amdhsa_system_sgpr_private_segment_wavefront_offset 0
		.amdhsa_system_sgpr_workgroup_id_x 1
		.amdhsa_system_sgpr_workgroup_id_y 0
		.amdhsa_system_sgpr_workgroup_id_z 0
		.amdhsa_system_sgpr_workgroup_info 0
		.amdhsa_system_vgpr_workitem_id 0
		.amdhsa_next_free_vgpr 1
		.amdhsa_next_free_sgpr 1
		.amdhsa_reserve_vcc 0
		.amdhsa_reserve_flat_scratch 0
		.amdhsa_float_round_mode_32 0
		.amdhsa_float_round_mode_16_64 0
		.amdhsa_float_denorm_mode_32 3
		.amdhsa_float_denorm_mode_16_64 3
		.amdhsa_dx10_clamp 1
		.amdhsa_ieee_mode 1
		.amdhsa_fp16_overflow 0
		.amdhsa_workgroup_processor_mode 1
		.amdhsa_memory_ordered 1
		.amdhsa_forward_progress 1
		.amdhsa_shared_vgpr_count 0
		.amdhsa_exception_fp_ieee_invalid_op 0
		.amdhsa_exception_fp_denorm_src 0
		.amdhsa_exception_fp_ieee_div_zero 0
		.amdhsa_exception_fp_ieee_overflow 0
		.amdhsa_exception_fp_ieee_underflow 0
		.amdhsa_exception_fp_ieee_inexact 0
		.amdhsa_exception_int_div_zero 0
	.end_amdhsa_kernel
	.section	.text._ZN7rocprim17ROCPRIM_400000_NS6detail17trampoline_kernelINS0_14default_configENS1_32segmented_reduce_config_selectorIN3c104HalfEEEZNS1_21segmented_reduce_implIS3_PKS6_PS6_PKiS6_N6hipcub16HIPCUB_304000_NS6detail27convert_result_type_wrapperISA_SB_N2at6native12_GLOBAL__N_19CustomMinEEEEE10hipError_tPvRmT0_T1_jT2_SS_T4_T3_P12ihipStream_tbEUlT_E_NS1_11comp_targetILNS1_3genE4ELNS1_11target_archE910ELNS1_3gpuE8ELNS1_3repE0EEENS1_30default_config_static_selectorELNS0_4arch9wavefront6targetE0EEEvSR_,"axG",@progbits,_ZN7rocprim17ROCPRIM_400000_NS6detail17trampoline_kernelINS0_14default_configENS1_32segmented_reduce_config_selectorIN3c104HalfEEEZNS1_21segmented_reduce_implIS3_PKS6_PS6_PKiS6_N6hipcub16HIPCUB_304000_NS6detail27convert_result_type_wrapperISA_SB_N2at6native12_GLOBAL__N_19CustomMinEEEEE10hipError_tPvRmT0_T1_jT2_SS_T4_T3_P12ihipStream_tbEUlT_E_NS1_11comp_targetILNS1_3genE4ELNS1_11target_archE910ELNS1_3gpuE8ELNS1_3repE0EEENS1_30default_config_static_selectorELNS0_4arch9wavefront6targetE0EEEvSR_,comdat
.Lfunc_end97:
	.size	_ZN7rocprim17ROCPRIM_400000_NS6detail17trampoline_kernelINS0_14default_configENS1_32segmented_reduce_config_selectorIN3c104HalfEEEZNS1_21segmented_reduce_implIS3_PKS6_PS6_PKiS6_N6hipcub16HIPCUB_304000_NS6detail27convert_result_type_wrapperISA_SB_N2at6native12_GLOBAL__N_19CustomMinEEEEE10hipError_tPvRmT0_T1_jT2_SS_T4_T3_P12ihipStream_tbEUlT_E_NS1_11comp_targetILNS1_3genE4ELNS1_11target_archE910ELNS1_3gpuE8ELNS1_3repE0EEENS1_30default_config_static_selectorELNS0_4arch9wavefront6targetE0EEEvSR_, .Lfunc_end97-_ZN7rocprim17ROCPRIM_400000_NS6detail17trampoline_kernelINS0_14default_configENS1_32segmented_reduce_config_selectorIN3c104HalfEEEZNS1_21segmented_reduce_implIS3_PKS6_PS6_PKiS6_N6hipcub16HIPCUB_304000_NS6detail27convert_result_type_wrapperISA_SB_N2at6native12_GLOBAL__N_19CustomMinEEEEE10hipError_tPvRmT0_T1_jT2_SS_T4_T3_P12ihipStream_tbEUlT_E_NS1_11comp_targetILNS1_3genE4ELNS1_11target_archE910ELNS1_3gpuE8ELNS1_3repE0EEENS1_30default_config_static_selectorELNS0_4arch9wavefront6targetE0EEEvSR_
                                        ; -- End function
	.set _ZN7rocprim17ROCPRIM_400000_NS6detail17trampoline_kernelINS0_14default_configENS1_32segmented_reduce_config_selectorIN3c104HalfEEEZNS1_21segmented_reduce_implIS3_PKS6_PS6_PKiS6_N6hipcub16HIPCUB_304000_NS6detail27convert_result_type_wrapperISA_SB_N2at6native12_GLOBAL__N_19CustomMinEEEEE10hipError_tPvRmT0_T1_jT2_SS_T4_T3_P12ihipStream_tbEUlT_E_NS1_11comp_targetILNS1_3genE4ELNS1_11target_archE910ELNS1_3gpuE8ELNS1_3repE0EEENS1_30default_config_static_selectorELNS0_4arch9wavefront6targetE0EEEvSR_.num_vgpr, 0
	.set _ZN7rocprim17ROCPRIM_400000_NS6detail17trampoline_kernelINS0_14default_configENS1_32segmented_reduce_config_selectorIN3c104HalfEEEZNS1_21segmented_reduce_implIS3_PKS6_PS6_PKiS6_N6hipcub16HIPCUB_304000_NS6detail27convert_result_type_wrapperISA_SB_N2at6native12_GLOBAL__N_19CustomMinEEEEE10hipError_tPvRmT0_T1_jT2_SS_T4_T3_P12ihipStream_tbEUlT_E_NS1_11comp_targetILNS1_3genE4ELNS1_11target_archE910ELNS1_3gpuE8ELNS1_3repE0EEENS1_30default_config_static_selectorELNS0_4arch9wavefront6targetE0EEEvSR_.num_agpr, 0
	.set _ZN7rocprim17ROCPRIM_400000_NS6detail17trampoline_kernelINS0_14default_configENS1_32segmented_reduce_config_selectorIN3c104HalfEEEZNS1_21segmented_reduce_implIS3_PKS6_PS6_PKiS6_N6hipcub16HIPCUB_304000_NS6detail27convert_result_type_wrapperISA_SB_N2at6native12_GLOBAL__N_19CustomMinEEEEE10hipError_tPvRmT0_T1_jT2_SS_T4_T3_P12ihipStream_tbEUlT_E_NS1_11comp_targetILNS1_3genE4ELNS1_11target_archE910ELNS1_3gpuE8ELNS1_3repE0EEENS1_30default_config_static_selectorELNS0_4arch9wavefront6targetE0EEEvSR_.numbered_sgpr, 0
	.set _ZN7rocprim17ROCPRIM_400000_NS6detail17trampoline_kernelINS0_14default_configENS1_32segmented_reduce_config_selectorIN3c104HalfEEEZNS1_21segmented_reduce_implIS3_PKS6_PS6_PKiS6_N6hipcub16HIPCUB_304000_NS6detail27convert_result_type_wrapperISA_SB_N2at6native12_GLOBAL__N_19CustomMinEEEEE10hipError_tPvRmT0_T1_jT2_SS_T4_T3_P12ihipStream_tbEUlT_E_NS1_11comp_targetILNS1_3genE4ELNS1_11target_archE910ELNS1_3gpuE8ELNS1_3repE0EEENS1_30default_config_static_selectorELNS0_4arch9wavefront6targetE0EEEvSR_.num_named_barrier, 0
	.set _ZN7rocprim17ROCPRIM_400000_NS6detail17trampoline_kernelINS0_14default_configENS1_32segmented_reduce_config_selectorIN3c104HalfEEEZNS1_21segmented_reduce_implIS3_PKS6_PS6_PKiS6_N6hipcub16HIPCUB_304000_NS6detail27convert_result_type_wrapperISA_SB_N2at6native12_GLOBAL__N_19CustomMinEEEEE10hipError_tPvRmT0_T1_jT2_SS_T4_T3_P12ihipStream_tbEUlT_E_NS1_11comp_targetILNS1_3genE4ELNS1_11target_archE910ELNS1_3gpuE8ELNS1_3repE0EEENS1_30default_config_static_selectorELNS0_4arch9wavefront6targetE0EEEvSR_.private_seg_size, 0
	.set _ZN7rocprim17ROCPRIM_400000_NS6detail17trampoline_kernelINS0_14default_configENS1_32segmented_reduce_config_selectorIN3c104HalfEEEZNS1_21segmented_reduce_implIS3_PKS6_PS6_PKiS6_N6hipcub16HIPCUB_304000_NS6detail27convert_result_type_wrapperISA_SB_N2at6native12_GLOBAL__N_19CustomMinEEEEE10hipError_tPvRmT0_T1_jT2_SS_T4_T3_P12ihipStream_tbEUlT_E_NS1_11comp_targetILNS1_3genE4ELNS1_11target_archE910ELNS1_3gpuE8ELNS1_3repE0EEENS1_30default_config_static_selectorELNS0_4arch9wavefront6targetE0EEEvSR_.uses_vcc, 0
	.set _ZN7rocprim17ROCPRIM_400000_NS6detail17trampoline_kernelINS0_14default_configENS1_32segmented_reduce_config_selectorIN3c104HalfEEEZNS1_21segmented_reduce_implIS3_PKS6_PS6_PKiS6_N6hipcub16HIPCUB_304000_NS6detail27convert_result_type_wrapperISA_SB_N2at6native12_GLOBAL__N_19CustomMinEEEEE10hipError_tPvRmT0_T1_jT2_SS_T4_T3_P12ihipStream_tbEUlT_E_NS1_11comp_targetILNS1_3genE4ELNS1_11target_archE910ELNS1_3gpuE8ELNS1_3repE0EEENS1_30default_config_static_selectorELNS0_4arch9wavefront6targetE0EEEvSR_.uses_flat_scratch, 0
	.set _ZN7rocprim17ROCPRIM_400000_NS6detail17trampoline_kernelINS0_14default_configENS1_32segmented_reduce_config_selectorIN3c104HalfEEEZNS1_21segmented_reduce_implIS3_PKS6_PS6_PKiS6_N6hipcub16HIPCUB_304000_NS6detail27convert_result_type_wrapperISA_SB_N2at6native12_GLOBAL__N_19CustomMinEEEEE10hipError_tPvRmT0_T1_jT2_SS_T4_T3_P12ihipStream_tbEUlT_E_NS1_11comp_targetILNS1_3genE4ELNS1_11target_archE910ELNS1_3gpuE8ELNS1_3repE0EEENS1_30default_config_static_selectorELNS0_4arch9wavefront6targetE0EEEvSR_.has_dyn_sized_stack, 0
	.set _ZN7rocprim17ROCPRIM_400000_NS6detail17trampoline_kernelINS0_14default_configENS1_32segmented_reduce_config_selectorIN3c104HalfEEEZNS1_21segmented_reduce_implIS3_PKS6_PS6_PKiS6_N6hipcub16HIPCUB_304000_NS6detail27convert_result_type_wrapperISA_SB_N2at6native12_GLOBAL__N_19CustomMinEEEEE10hipError_tPvRmT0_T1_jT2_SS_T4_T3_P12ihipStream_tbEUlT_E_NS1_11comp_targetILNS1_3genE4ELNS1_11target_archE910ELNS1_3gpuE8ELNS1_3repE0EEENS1_30default_config_static_selectorELNS0_4arch9wavefront6targetE0EEEvSR_.has_recursion, 0
	.set _ZN7rocprim17ROCPRIM_400000_NS6detail17trampoline_kernelINS0_14default_configENS1_32segmented_reduce_config_selectorIN3c104HalfEEEZNS1_21segmented_reduce_implIS3_PKS6_PS6_PKiS6_N6hipcub16HIPCUB_304000_NS6detail27convert_result_type_wrapperISA_SB_N2at6native12_GLOBAL__N_19CustomMinEEEEE10hipError_tPvRmT0_T1_jT2_SS_T4_T3_P12ihipStream_tbEUlT_E_NS1_11comp_targetILNS1_3genE4ELNS1_11target_archE910ELNS1_3gpuE8ELNS1_3repE0EEENS1_30default_config_static_selectorELNS0_4arch9wavefront6targetE0EEEvSR_.has_indirect_call, 0
	.section	.AMDGPU.csdata,"",@progbits
; Kernel info:
; codeLenInByte = 0
; TotalNumSgprs: 0
; NumVgprs: 0
; ScratchSize: 0
; MemoryBound: 0
; FloatMode: 240
; IeeeMode: 1
; LDSByteSize: 0 bytes/workgroup (compile time only)
; SGPRBlocks: 0
; VGPRBlocks: 0
; NumSGPRsForWavesPerEU: 1
; NumVGPRsForWavesPerEU: 1
; Occupancy: 16
; WaveLimiterHint : 0
; COMPUTE_PGM_RSRC2:SCRATCH_EN: 0
; COMPUTE_PGM_RSRC2:USER_SGPR: 6
; COMPUTE_PGM_RSRC2:TRAP_HANDLER: 0
; COMPUTE_PGM_RSRC2:TGID_X_EN: 1
; COMPUTE_PGM_RSRC2:TGID_Y_EN: 0
; COMPUTE_PGM_RSRC2:TGID_Z_EN: 0
; COMPUTE_PGM_RSRC2:TIDIG_COMP_CNT: 0
	.section	.text._ZN7rocprim17ROCPRIM_400000_NS6detail17trampoline_kernelINS0_14default_configENS1_32segmented_reduce_config_selectorIN3c104HalfEEEZNS1_21segmented_reduce_implIS3_PKS6_PS6_PKiS6_N6hipcub16HIPCUB_304000_NS6detail27convert_result_type_wrapperISA_SB_N2at6native12_GLOBAL__N_19CustomMinEEEEE10hipError_tPvRmT0_T1_jT2_SS_T4_T3_P12ihipStream_tbEUlT_E_NS1_11comp_targetILNS1_3genE3ELNS1_11target_archE908ELNS1_3gpuE7ELNS1_3repE0EEENS1_30default_config_static_selectorELNS0_4arch9wavefront6targetE0EEEvSR_,"axG",@progbits,_ZN7rocprim17ROCPRIM_400000_NS6detail17trampoline_kernelINS0_14default_configENS1_32segmented_reduce_config_selectorIN3c104HalfEEEZNS1_21segmented_reduce_implIS3_PKS6_PS6_PKiS6_N6hipcub16HIPCUB_304000_NS6detail27convert_result_type_wrapperISA_SB_N2at6native12_GLOBAL__N_19CustomMinEEEEE10hipError_tPvRmT0_T1_jT2_SS_T4_T3_P12ihipStream_tbEUlT_E_NS1_11comp_targetILNS1_3genE3ELNS1_11target_archE908ELNS1_3gpuE7ELNS1_3repE0EEENS1_30default_config_static_selectorELNS0_4arch9wavefront6targetE0EEEvSR_,comdat
	.globl	_ZN7rocprim17ROCPRIM_400000_NS6detail17trampoline_kernelINS0_14default_configENS1_32segmented_reduce_config_selectorIN3c104HalfEEEZNS1_21segmented_reduce_implIS3_PKS6_PS6_PKiS6_N6hipcub16HIPCUB_304000_NS6detail27convert_result_type_wrapperISA_SB_N2at6native12_GLOBAL__N_19CustomMinEEEEE10hipError_tPvRmT0_T1_jT2_SS_T4_T3_P12ihipStream_tbEUlT_E_NS1_11comp_targetILNS1_3genE3ELNS1_11target_archE908ELNS1_3gpuE7ELNS1_3repE0EEENS1_30default_config_static_selectorELNS0_4arch9wavefront6targetE0EEEvSR_ ; -- Begin function _ZN7rocprim17ROCPRIM_400000_NS6detail17trampoline_kernelINS0_14default_configENS1_32segmented_reduce_config_selectorIN3c104HalfEEEZNS1_21segmented_reduce_implIS3_PKS6_PS6_PKiS6_N6hipcub16HIPCUB_304000_NS6detail27convert_result_type_wrapperISA_SB_N2at6native12_GLOBAL__N_19CustomMinEEEEE10hipError_tPvRmT0_T1_jT2_SS_T4_T3_P12ihipStream_tbEUlT_E_NS1_11comp_targetILNS1_3genE3ELNS1_11target_archE908ELNS1_3gpuE7ELNS1_3repE0EEENS1_30default_config_static_selectorELNS0_4arch9wavefront6targetE0EEEvSR_
	.p2align	8
	.type	_ZN7rocprim17ROCPRIM_400000_NS6detail17trampoline_kernelINS0_14default_configENS1_32segmented_reduce_config_selectorIN3c104HalfEEEZNS1_21segmented_reduce_implIS3_PKS6_PS6_PKiS6_N6hipcub16HIPCUB_304000_NS6detail27convert_result_type_wrapperISA_SB_N2at6native12_GLOBAL__N_19CustomMinEEEEE10hipError_tPvRmT0_T1_jT2_SS_T4_T3_P12ihipStream_tbEUlT_E_NS1_11comp_targetILNS1_3genE3ELNS1_11target_archE908ELNS1_3gpuE7ELNS1_3repE0EEENS1_30default_config_static_selectorELNS0_4arch9wavefront6targetE0EEEvSR_,@function
_ZN7rocprim17ROCPRIM_400000_NS6detail17trampoline_kernelINS0_14default_configENS1_32segmented_reduce_config_selectorIN3c104HalfEEEZNS1_21segmented_reduce_implIS3_PKS6_PS6_PKiS6_N6hipcub16HIPCUB_304000_NS6detail27convert_result_type_wrapperISA_SB_N2at6native12_GLOBAL__N_19CustomMinEEEEE10hipError_tPvRmT0_T1_jT2_SS_T4_T3_P12ihipStream_tbEUlT_E_NS1_11comp_targetILNS1_3genE3ELNS1_11target_archE908ELNS1_3gpuE7ELNS1_3repE0EEENS1_30default_config_static_selectorELNS0_4arch9wavefront6targetE0EEEvSR_: ; @_ZN7rocprim17ROCPRIM_400000_NS6detail17trampoline_kernelINS0_14default_configENS1_32segmented_reduce_config_selectorIN3c104HalfEEEZNS1_21segmented_reduce_implIS3_PKS6_PS6_PKiS6_N6hipcub16HIPCUB_304000_NS6detail27convert_result_type_wrapperISA_SB_N2at6native12_GLOBAL__N_19CustomMinEEEEE10hipError_tPvRmT0_T1_jT2_SS_T4_T3_P12ihipStream_tbEUlT_E_NS1_11comp_targetILNS1_3genE3ELNS1_11target_archE908ELNS1_3gpuE7ELNS1_3repE0EEENS1_30default_config_static_selectorELNS0_4arch9wavefront6targetE0EEEvSR_
; %bb.0:
	.section	.rodata,"a",@progbits
	.p2align	6, 0x0
	.amdhsa_kernel _ZN7rocprim17ROCPRIM_400000_NS6detail17trampoline_kernelINS0_14default_configENS1_32segmented_reduce_config_selectorIN3c104HalfEEEZNS1_21segmented_reduce_implIS3_PKS6_PS6_PKiS6_N6hipcub16HIPCUB_304000_NS6detail27convert_result_type_wrapperISA_SB_N2at6native12_GLOBAL__N_19CustomMinEEEEE10hipError_tPvRmT0_T1_jT2_SS_T4_T3_P12ihipStream_tbEUlT_E_NS1_11comp_targetILNS1_3genE3ELNS1_11target_archE908ELNS1_3gpuE7ELNS1_3repE0EEENS1_30default_config_static_selectorELNS0_4arch9wavefront6targetE0EEEvSR_
		.amdhsa_group_segment_fixed_size 0
		.amdhsa_private_segment_fixed_size 0
		.amdhsa_kernarg_size 48
		.amdhsa_user_sgpr_count 6
		.amdhsa_user_sgpr_private_segment_buffer 1
		.amdhsa_user_sgpr_dispatch_ptr 0
		.amdhsa_user_sgpr_queue_ptr 0
		.amdhsa_user_sgpr_kernarg_segment_ptr 1
		.amdhsa_user_sgpr_dispatch_id 0
		.amdhsa_user_sgpr_flat_scratch_init 0
		.amdhsa_user_sgpr_private_segment_size 0
		.amdhsa_wavefront_size32 1
		.amdhsa_uses_dynamic_stack 0
		.amdhsa_system_sgpr_private_segment_wavefront_offset 0
		.amdhsa_system_sgpr_workgroup_id_x 1
		.amdhsa_system_sgpr_workgroup_id_y 0
		.amdhsa_system_sgpr_workgroup_id_z 0
		.amdhsa_system_sgpr_workgroup_info 0
		.amdhsa_system_vgpr_workitem_id 0
		.amdhsa_next_free_vgpr 1
		.amdhsa_next_free_sgpr 1
		.amdhsa_reserve_vcc 0
		.amdhsa_reserve_flat_scratch 0
		.amdhsa_float_round_mode_32 0
		.amdhsa_float_round_mode_16_64 0
		.amdhsa_float_denorm_mode_32 3
		.amdhsa_float_denorm_mode_16_64 3
		.amdhsa_dx10_clamp 1
		.amdhsa_ieee_mode 1
		.amdhsa_fp16_overflow 0
		.amdhsa_workgroup_processor_mode 1
		.amdhsa_memory_ordered 1
		.amdhsa_forward_progress 1
		.amdhsa_shared_vgpr_count 0
		.amdhsa_exception_fp_ieee_invalid_op 0
		.amdhsa_exception_fp_denorm_src 0
		.amdhsa_exception_fp_ieee_div_zero 0
		.amdhsa_exception_fp_ieee_overflow 0
		.amdhsa_exception_fp_ieee_underflow 0
		.amdhsa_exception_fp_ieee_inexact 0
		.amdhsa_exception_int_div_zero 0
	.end_amdhsa_kernel
	.section	.text._ZN7rocprim17ROCPRIM_400000_NS6detail17trampoline_kernelINS0_14default_configENS1_32segmented_reduce_config_selectorIN3c104HalfEEEZNS1_21segmented_reduce_implIS3_PKS6_PS6_PKiS6_N6hipcub16HIPCUB_304000_NS6detail27convert_result_type_wrapperISA_SB_N2at6native12_GLOBAL__N_19CustomMinEEEEE10hipError_tPvRmT0_T1_jT2_SS_T4_T3_P12ihipStream_tbEUlT_E_NS1_11comp_targetILNS1_3genE3ELNS1_11target_archE908ELNS1_3gpuE7ELNS1_3repE0EEENS1_30default_config_static_selectorELNS0_4arch9wavefront6targetE0EEEvSR_,"axG",@progbits,_ZN7rocprim17ROCPRIM_400000_NS6detail17trampoline_kernelINS0_14default_configENS1_32segmented_reduce_config_selectorIN3c104HalfEEEZNS1_21segmented_reduce_implIS3_PKS6_PS6_PKiS6_N6hipcub16HIPCUB_304000_NS6detail27convert_result_type_wrapperISA_SB_N2at6native12_GLOBAL__N_19CustomMinEEEEE10hipError_tPvRmT0_T1_jT2_SS_T4_T3_P12ihipStream_tbEUlT_E_NS1_11comp_targetILNS1_3genE3ELNS1_11target_archE908ELNS1_3gpuE7ELNS1_3repE0EEENS1_30default_config_static_selectorELNS0_4arch9wavefront6targetE0EEEvSR_,comdat
.Lfunc_end98:
	.size	_ZN7rocprim17ROCPRIM_400000_NS6detail17trampoline_kernelINS0_14default_configENS1_32segmented_reduce_config_selectorIN3c104HalfEEEZNS1_21segmented_reduce_implIS3_PKS6_PS6_PKiS6_N6hipcub16HIPCUB_304000_NS6detail27convert_result_type_wrapperISA_SB_N2at6native12_GLOBAL__N_19CustomMinEEEEE10hipError_tPvRmT0_T1_jT2_SS_T4_T3_P12ihipStream_tbEUlT_E_NS1_11comp_targetILNS1_3genE3ELNS1_11target_archE908ELNS1_3gpuE7ELNS1_3repE0EEENS1_30default_config_static_selectorELNS0_4arch9wavefront6targetE0EEEvSR_, .Lfunc_end98-_ZN7rocprim17ROCPRIM_400000_NS6detail17trampoline_kernelINS0_14default_configENS1_32segmented_reduce_config_selectorIN3c104HalfEEEZNS1_21segmented_reduce_implIS3_PKS6_PS6_PKiS6_N6hipcub16HIPCUB_304000_NS6detail27convert_result_type_wrapperISA_SB_N2at6native12_GLOBAL__N_19CustomMinEEEEE10hipError_tPvRmT0_T1_jT2_SS_T4_T3_P12ihipStream_tbEUlT_E_NS1_11comp_targetILNS1_3genE3ELNS1_11target_archE908ELNS1_3gpuE7ELNS1_3repE0EEENS1_30default_config_static_selectorELNS0_4arch9wavefront6targetE0EEEvSR_
                                        ; -- End function
	.set _ZN7rocprim17ROCPRIM_400000_NS6detail17trampoline_kernelINS0_14default_configENS1_32segmented_reduce_config_selectorIN3c104HalfEEEZNS1_21segmented_reduce_implIS3_PKS6_PS6_PKiS6_N6hipcub16HIPCUB_304000_NS6detail27convert_result_type_wrapperISA_SB_N2at6native12_GLOBAL__N_19CustomMinEEEEE10hipError_tPvRmT0_T1_jT2_SS_T4_T3_P12ihipStream_tbEUlT_E_NS1_11comp_targetILNS1_3genE3ELNS1_11target_archE908ELNS1_3gpuE7ELNS1_3repE0EEENS1_30default_config_static_selectorELNS0_4arch9wavefront6targetE0EEEvSR_.num_vgpr, 0
	.set _ZN7rocprim17ROCPRIM_400000_NS6detail17trampoline_kernelINS0_14default_configENS1_32segmented_reduce_config_selectorIN3c104HalfEEEZNS1_21segmented_reduce_implIS3_PKS6_PS6_PKiS6_N6hipcub16HIPCUB_304000_NS6detail27convert_result_type_wrapperISA_SB_N2at6native12_GLOBAL__N_19CustomMinEEEEE10hipError_tPvRmT0_T1_jT2_SS_T4_T3_P12ihipStream_tbEUlT_E_NS1_11comp_targetILNS1_3genE3ELNS1_11target_archE908ELNS1_3gpuE7ELNS1_3repE0EEENS1_30default_config_static_selectorELNS0_4arch9wavefront6targetE0EEEvSR_.num_agpr, 0
	.set _ZN7rocprim17ROCPRIM_400000_NS6detail17trampoline_kernelINS0_14default_configENS1_32segmented_reduce_config_selectorIN3c104HalfEEEZNS1_21segmented_reduce_implIS3_PKS6_PS6_PKiS6_N6hipcub16HIPCUB_304000_NS6detail27convert_result_type_wrapperISA_SB_N2at6native12_GLOBAL__N_19CustomMinEEEEE10hipError_tPvRmT0_T1_jT2_SS_T4_T3_P12ihipStream_tbEUlT_E_NS1_11comp_targetILNS1_3genE3ELNS1_11target_archE908ELNS1_3gpuE7ELNS1_3repE0EEENS1_30default_config_static_selectorELNS0_4arch9wavefront6targetE0EEEvSR_.numbered_sgpr, 0
	.set _ZN7rocprim17ROCPRIM_400000_NS6detail17trampoline_kernelINS0_14default_configENS1_32segmented_reduce_config_selectorIN3c104HalfEEEZNS1_21segmented_reduce_implIS3_PKS6_PS6_PKiS6_N6hipcub16HIPCUB_304000_NS6detail27convert_result_type_wrapperISA_SB_N2at6native12_GLOBAL__N_19CustomMinEEEEE10hipError_tPvRmT0_T1_jT2_SS_T4_T3_P12ihipStream_tbEUlT_E_NS1_11comp_targetILNS1_3genE3ELNS1_11target_archE908ELNS1_3gpuE7ELNS1_3repE0EEENS1_30default_config_static_selectorELNS0_4arch9wavefront6targetE0EEEvSR_.num_named_barrier, 0
	.set _ZN7rocprim17ROCPRIM_400000_NS6detail17trampoline_kernelINS0_14default_configENS1_32segmented_reduce_config_selectorIN3c104HalfEEEZNS1_21segmented_reduce_implIS3_PKS6_PS6_PKiS6_N6hipcub16HIPCUB_304000_NS6detail27convert_result_type_wrapperISA_SB_N2at6native12_GLOBAL__N_19CustomMinEEEEE10hipError_tPvRmT0_T1_jT2_SS_T4_T3_P12ihipStream_tbEUlT_E_NS1_11comp_targetILNS1_3genE3ELNS1_11target_archE908ELNS1_3gpuE7ELNS1_3repE0EEENS1_30default_config_static_selectorELNS0_4arch9wavefront6targetE0EEEvSR_.private_seg_size, 0
	.set _ZN7rocprim17ROCPRIM_400000_NS6detail17trampoline_kernelINS0_14default_configENS1_32segmented_reduce_config_selectorIN3c104HalfEEEZNS1_21segmented_reduce_implIS3_PKS6_PS6_PKiS6_N6hipcub16HIPCUB_304000_NS6detail27convert_result_type_wrapperISA_SB_N2at6native12_GLOBAL__N_19CustomMinEEEEE10hipError_tPvRmT0_T1_jT2_SS_T4_T3_P12ihipStream_tbEUlT_E_NS1_11comp_targetILNS1_3genE3ELNS1_11target_archE908ELNS1_3gpuE7ELNS1_3repE0EEENS1_30default_config_static_selectorELNS0_4arch9wavefront6targetE0EEEvSR_.uses_vcc, 0
	.set _ZN7rocprim17ROCPRIM_400000_NS6detail17trampoline_kernelINS0_14default_configENS1_32segmented_reduce_config_selectorIN3c104HalfEEEZNS1_21segmented_reduce_implIS3_PKS6_PS6_PKiS6_N6hipcub16HIPCUB_304000_NS6detail27convert_result_type_wrapperISA_SB_N2at6native12_GLOBAL__N_19CustomMinEEEEE10hipError_tPvRmT0_T1_jT2_SS_T4_T3_P12ihipStream_tbEUlT_E_NS1_11comp_targetILNS1_3genE3ELNS1_11target_archE908ELNS1_3gpuE7ELNS1_3repE0EEENS1_30default_config_static_selectorELNS0_4arch9wavefront6targetE0EEEvSR_.uses_flat_scratch, 0
	.set _ZN7rocprim17ROCPRIM_400000_NS6detail17trampoline_kernelINS0_14default_configENS1_32segmented_reduce_config_selectorIN3c104HalfEEEZNS1_21segmented_reduce_implIS3_PKS6_PS6_PKiS6_N6hipcub16HIPCUB_304000_NS6detail27convert_result_type_wrapperISA_SB_N2at6native12_GLOBAL__N_19CustomMinEEEEE10hipError_tPvRmT0_T1_jT2_SS_T4_T3_P12ihipStream_tbEUlT_E_NS1_11comp_targetILNS1_3genE3ELNS1_11target_archE908ELNS1_3gpuE7ELNS1_3repE0EEENS1_30default_config_static_selectorELNS0_4arch9wavefront6targetE0EEEvSR_.has_dyn_sized_stack, 0
	.set _ZN7rocprim17ROCPRIM_400000_NS6detail17trampoline_kernelINS0_14default_configENS1_32segmented_reduce_config_selectorIN3c104HalfEEEZNS1_21segmented_reduce_implIS3_PKS6_PS6_PKiS6_N6hipcub16HIPCUB_304000_NS6detail27convert_result_type_wrapperISA_SB_N2at6native12_GLOBAL__N_19CustomMinEEEEE10hipError_tPvRmT0_T1_jT2_SS_T4_T3_P12ihipStream_tbEUlT_E_NS1_11comp_targetILNS1_3genE3ELNS1_11target_archE908ELNS1_3gpuE7ELNS1_3repE0EEENS1_30default_config_static_selectorELNS0_4arch9wavefront6targetE0EEEvSR_.has_recursion, 0
	.set _ZN7rocprim17ROCPRIM_400000_NS6detail17trampoline_kernelINS0_14default_configENS1_32segmented_reduce_config_selectorIN3c104HalfEEEZNS1_21segmented_reduce_implIS3_PKS6_PS6_PKiS6_N6hipcub16HIPCUB_304000_NS6detail27convert_result_type_wrapperISA_SB_N2at6native12_GLOBAL__N_19CustomMinEEEEE10hipError_tPvRmT0_T1_jT2_SS_T4_T3_P12ihipStream_tbEUlT_E_NS1_11comp_targetILNS1_3genE3ELNS1_11target_archE908ELNS1_3gpuE7ELNS1_3repE0EEENS1_30default_config_static_selectorELNS0_4arch9wavefront6targetE0EEEvSR_.has_indirect_call, 0
	.section	.AMDGPU.csdata,"",@progbits
; Kernel info:
; codeLenInByte = 0
; TotalNumSgprs: 0
; NumVgprs: 0
; ScratchSize: 0
; MemoryBound: 0
; FloatMode: 240
; IeeeMode: 1
; LDSByteSize: 0 bytes/workgroup (compile time only)
; SGPRBlocks: 0
; VGPRBlocks: 0
; NumSGPRsForWavesPerEU: 1
; NumVGPRsForWavesPerEU: 1
; Occupancy: 16
; WaveLimiterHint : 0
; COMPUTE_PGM_RSRC2:SCRATCH_EN: 0
; COMPUTE_PGM_RSRC2:USER_SGPR: 6
; COMPUTE_PGM_RSRC2:TRAP_HANDLER: 0
; COMPUTE_PGM_RSRC2:TGID_X_EN: 1
; COMPUTE_PGM_RSRC2:TGID_Y_EN: 0
; COMPUTE_PGM_RSRC2:TGID_Z_EN: 0
; COMPUTE_PGM_RSRC2:TIDIG_COMP_CNT: 0
	.section	.text._ZN7rocprim17ROCPRIM_400000_NS6detail17trampoline_kernelINS0_14default_configENS1_32segmented_reduce_config_selectorIN3c104HalfEEEZNS1_21segmented_reduce_implIS3_PKS6_PS6_PKiS6_N6hipcub16HIPCUB_304000_NS6detail27convert_result_type_wrapperISA_SB_N2at6native12_GLOBAL__N_19CustomMinEEEEE10hipError_tPvRmT0_T1_jT2_SS_T4_T3_P12ihipStream_tbEUlT_E_NS1_11comp_targetILNS1_3genE2ELNS1_11target_archE906ELNS1_3gpuE6ELNS1_3repE0EEENS1_30default_config_static_selectorELNS0_4arch9wavefront6targetE0EEEvSR_,"axG",@progbits,_ZN7rocprim17ROCPRIM_400000_NS6detail17trampoline_kernelINS0_14default_configENS1_32segmented_reduce_config_selectorIN3c104HalfEEEZNS1_21segmented_reduce_implIS3_PKS6_PS6_PKiS6_N6hipcub16HIPCUB_304000_NS6detail27convert_result_type_wrapperISA_SB_N2at6native12_GLOBAL__N_19CustomMinEEEEE10hipError_tPvRmT0_T1_jT2_SS_T4_T3_P12ihipStream_tbEUlT_E_NS1_11comp_targetILNS1_3genE2ELNS1_11target_archE906ELNS1_3gpuE6ELNS1_3repE0EEENS1_30default_config_static_selectorELNS0_4arch9wavefront6targetE0EEEvSR_,comdat
	.globl	_ZN7rocprim17ROCPRIM_400000_NS6detail17trampoline_kernelINS0_14default_configENS1_32segmented_reduce_config_selectorIN3c104HalfEEEZNS1_21segmented_reduce_implIS3_PKS6_PS6_PKiS6_N6hipcub16HIPCUB_304000_NS6detail27convert_result_type_wrapperISA_SB_N2at6native12_GLOBAL__N_19CustomMinEEEEE10hipError_tPvRmT0_T1_jT2_SS_T4_T3_P12ihipStream_tbEUlT_E_NS1_11comp_targetILNS1_3genE2ELNS1_11target_archE906ELNS1_3gpuE6ELNS1_3repE0EEENS1_30default_config_static_selectorELNS0_4arch9wavefront6targetE0EEEvSR_ ; -- Begin function _ZN7rocprim17ROCPRIM_400000_NS6detail17trampoline_kernelINS0_14default_configENS1_32segmented_reduce_config_selectorIN3c104HalfEEEZNS1_21segmented_reduce_implIS3_PKS6_PS6_PKiS6_N6hipcub16HIPCUB_304000_NS6detail27convert_result_type_wrapperISA_SB_N2at6native12_GLOBAL__N_19CustomMinEEEEE10hipError_tPvRmT0_T1_jT2_SS_T4_T3_P12ihipStream_tbEUlT_E_NS1_11comp_targetILNS1_3genE2ELNS1_11target_archE906ELNS1_3gpuE6ELNS1_3repE0EEENS1_30default_config_static_selectorELNS0_4arch9wavefront6targetE0EEEvSR_
	.p2align	8
	.type	_ZN7rocprim17ROCPRIM_400000_NS6detail17trampoline_kernelINS0_14default_configENS1_32segmented_reduce_config_selectorIN3c104HalfEEEZNS1_21segmented_reduce_implIS3_PKS6_PS6_PKiS6_N6hipcub16HIPCUB_304000_NS6detail27convert_result_type_wrapperISA_SB_N2at6native12_GLOBAL__N_19CustomMinEEEEE10hipError_tPvRmT0_T1_jT2_SS_T4_T3_P12ihipStream_tbEUlT_E_NS1_11comp_targetILNS1_3genE2ELNS1_11target_archE906ELNS1_3gpuE6ELNS1_3repE0EEENS1_30default_config_static_selectorELNS0_4arch9wavefront6targetE0EEEvSR_,@function
_ZN7rocprim17ROCPRIM_400000_NS6detail17trampoline_kernelINS0_14default_configENS1_32segmented_reduce_config_selectorIN3c104HalfEEEZNS1_21segmented_reduce_implIS3_PKS6_PS6_PKiS6_N6hipcub16HIPCUB_304000_NS6detail27convert_result_type_wrapperISA_SB_N2at6native12_GLOBAL__N_19CustomMinEEEEE10hipError_tPvRmT0_T1_jT2_SS_T4_T3_P12ihipStream_tbEUlT_E_NS1_11comp_targetILNS1_3genE2ELNS1_11target_archE906ELNS1_3gpuE6ELNS1_3repE0EEENS1_30default_config_static_selectorELNS0_4arch9wavefront6targetE0EEEvSR_: ; @_ZN7rocprim17ROCPRIM_400000_NS6detail17trampoline_kernelINS0_14default_configENS1_32segmented_reduce_config_selectorIN3c104HalfEEEZNS1_21segmented_reduce_implIS3_PKS6_PS6_PKiS6_N6hipcub16HIPCUB_304000_NS6detail27convert_result_type_wrapperISA_SB_N2at6native12_GLOBAL__N_19CustomMinEEEEE10hipError_tPvRmT0_T1_jT2_SS_T4_T3_P12ihipStream_tbEUlT_E_NS1_11comp_targetILNS1_3genE2ELNS1_11target_archE906ELNS1_3gpuE6ELNS1_3repE0EEENS1_30default_config_static_selectorELNS0_4arch9wavefront6targetE0EEEvSR_
; %bb.0:
	.section	.rodata,"a",@progbits
	.p2align	6, 0x0
	.amdhsa_kernel _ZN7rocprim17ROCPRIM_400000_NS6detail17trampoline_kernelINS0_14default_configENS1_32segmented_reduce_config_selectorIN3c104HalfEEEZNS1_21segmented_reduce_implIS3_PKS6_PS6_PKiS6_N6hipcub16HIPCUB_304000_NS6detail27convert_result_type_wrapperISA_SB_N2at6native12_GLOBAL__N_19CustomMinEEEEE10hipError_tPvRmT0_T1_jT2_SS_T4_T3_P12ihipStream_tbEUlT_E_NS1_11comp_targetILNS1_3genE2ELNS1_11target_archE906ELNS1_3gpuE6ELNS1_3repE0EEENS1_30default_config_static_selectorELNS0_4arch9wavefront6targetE0EEEvSR_
		.amdhsa_group_segment_fixed_size 0
		.amdhsa_private_segment_fixed_size 0
		.amdhsa_kernarg_size 48
		.amdhsa_user_sgpr_count 6
		.amdhsa_user_sgpr_private_segment_buffer 1
		.amdhsa_user_sgpr_dispatch_ptr 0
		.amdhsa_user_sgpr_queue_ptr 0
		.amdhsa_user_sgpr_kernarg_segment_ptr 1
		.amdhsa_user_sgpr_dispatch_id 0
		.amdhsa_user_sgpr_flat_scratch_init 0
		.amdhsa_user_sgpr_private_segment_size 0
		.amdhsa_wavefront_size32 1
		.amdhsa_uses_dynamic_stack 0
		.amdhsa_system_sgpr_private_segment_wavefront_offset 0
		.amdhsa_system_sgpr_workgroup_id_x 1
		.amdhsa_system_sgpr_workgroup_id_y 0
		.amdhsa_system_sgpr_workgroup_id_z 0
		.amdhsa_system_sgpr_workgroup_info 0
		.amdhsa_system_vgpr_workitem_id 0
		.amdhsa_next_free_vgpr 1
		.amdhsa_next_free_sgpr 1
		.amdhsa_reserve_vcc 0
		.amdhsa_reserve_flat_scratch 0
		.amdhsa_float_round_mode_32 0
		.amdhsa_float_round_mode_16_64 0
		.amdhsa_float_denorm_mode_32 3
		.amdhsa_float_denorm_mode_16_64 3
		.amdhsa_dx10_clamp 1
		.amdhsa_ieee_mode 1
		.amdhsa_fp16_overflow 0
		.amdhsa_workgroup_processor_mode 1
		.amdhsa_memory_ordered 1
		.amdhsa_forward_progress 1
		.amdhsa_shared_vgpr_count 0
		.amdhsa_exception_fp_ieee_invalid_op 0
		.amdhsa_exception_fp_denorm_src 0
		.amdhsa_exception_fp_ieee_div_zero 0
		.amdhsa_exception_fp_ieee_overflow 0
		.amdhsa_exception_fp_ieee_underflow 0
		.amdhsa_exception_fp_ieee_inexact 0
		.amdhsa_exception_int_div_zero 0
	.end_amdhsa_kernel
	.section	.text._ZN7rocprim17ROCPRIM_400000_NS6detail17trampoline_kernelINS0_14default_configENS1_32segmented_reduce_config_selectorIN3c104HalfEEEZNS1_21segmented_reduce_implIS3_PKS6_PS6_PKiS6_N6hipcub16HIPCUB_304000_NS6detail27convert_result_type_wrapperISA_SB_N2at6native12_GLOBAL__N_19CustomMinEEEEE10hipError_tPvRmT0_T1_jT2_SS_T4_T3_P12ihipStream_tbEUlT_E_NS1_11comp_targetILNS1_3genE2ELNS1_11target_archE906ELNS1_3gpuE6ELNS1_3repE0EEENS1_30default_config_static_selectorELNS0_4arch9wavefront6targetE0EEEvSR_,"axG",@progbits,_ZN7rocprim17ROCPRIM_400000_NS6detail17trampoline_kernelINS0_14default_configENS1_32segmented_reduce_config_selectorIN3c104HalfEEEZNS1_21segmented_reduce_implIS3_PKS6_PS6_PKiS6_N6hipcub16HIPCUB_304000_NS6detail27convert_result_type_wrapperISA_SB_N2at6native12_GLOBAL__N_19CustomMinEEEEE10hipError_tPvRmT0_T1_jT2_SS_T4_T3_P12ihipStream_tbEUlT_E_NS1_11comp_targetILNS1_3genE2ELNS1_11target_archE906ELNS1_3gpuE6ELNS1_3repE0EEENS1_30default_config_static_selectorELNS0_4arch9wavefront6targetE0EEEvSR_,comdat
.Lfunc_end99:
	.size	_ZN7rocprim17ROCPRIM_400000_NS6detail17trampoline_kernelINS0_14default_configENS1_32segmented_reduce_config_selectorIN3c104HalfEEEZNS1_21segmented_reduce_implIS3_PKS6_PS6_PKiS6_N6hipcub16HIPCUB_304000_NS6detail27convert_result_type_wrapperISA_SB_N2at6native12_GLOBAL__N_19CustomMinEEEEE10hipError_tPvRmT0_T1_jT2_SS_T4_T3_P12ihipStream_tbEUlT_E_NS1_11comp_targetILNS1_3genE2ELNS1_11target_archE906ELNS1_3gpuE6ELNS1_3repE0EEENS1_30default_config_static_selectorELNS0_4arch9wavefront6targetE0EEEvSR_, .Lfunc_end99-_ZN7rocprim17ROCPRIM_400000_NS6detail17trampoline_kernelINS0_14default_configENS1_32segmented_reduce_config_selectorIN3c104HalfEEEZNS1_21segmented_reduce_implIS3_PKS6_PS6_PKiS6_N6hipcub16HIPCUB_304000_NS6detail27convert_result_type_wrapperISA_SB_N2at6native12_GLOBAL__N_19CustomMinEEEEE10hipError_tPvRmT0_T1_jT2_SS_T4_T3_P12ihipStream_tbEUlT_E_NS1_11comp_targetILNS1_3genE2ELNS1_11target_archE906ELNS1_3gpuE6ELNS1_3repE0EEENS1_30default_config_static_selectorELNS0_4arch9wavefront6targetE0EEEvSR_
                                        ; -- End function
	.set _ZN7rocprim17ROCPRIM_400000_NS6detail17trampoline_kernelINS0_14default_configENS1_32segmented_reduce_config_selectorIN3c104HalfEEEZNS1_21segmented_reduce_implIS3_PKS6_PS6_PKiS6_N6hipcub16HIPCUB_304000_NS6detail27convert_result_type_wrapperISA_SB_N2at6native12_GLOBAL__N_19CustomMinEEEEE10hipError_tPvRmT0_T1_jT2_SS_T4_T3_P12ihipStream_tbEUlT_E_NS1_11comp_targetILNS1_3genE2ELNS1_11target_archE906ELNS1_3gpuE6ELNS1_3repE0EEENS1_30default_config_static_selectorELNS0_4arch9wavefront6targetE0EEEvSR_.num_vgpr, 0
	.set _ZN7rocprim17ROCPRIM_400000_NS6detail17trampoline_kernelINS0_14default_configENS1_32segmented_reduce_config_selectorIN3c104HalfEEEZNS1_21segmented_reduce_implIS3_PKS6_PS6_PKiS6_N6hipcub16HIPCUB_304000_NS6detail27convert_result_type_wrapperISA_SB_N2at6native12_GLOBAL__N_19CustomMinEEEEE10hipError_tPvRmT0_T1_jT2_SS_T4_T3_P12ihipStream_tbEUlT_E_NS1_11comp_targetILNS1_3genE2ELNS1_11target_archE906ELNS1_3gpuE6ELNS1_3repE0EEENS1_30default_config_static_selectorELNS0_4arch9wavefront6targetE0EEEvSR_.num_agpr, 0
	.set _ZN7rocprim17ROCPRIM_400000_NS6detail17trampoline_kernelINS0_14default_configENS1_32segmented_reduce_config_selectorIN3c104HalfEEEZNS1_21segmented_reduce_implIS3_PKS6_PS6_PKiS6_N6hipcub16HIPCUB_304000_NS6detail27convert_result_type_wrapperISA_SB_N2at6native12_GLOBAL__N_19CustomMinEEEEE10hipError_tPvRmT0_T1_jT2_SS_T4_T3_P12ihipStream_tbEUlT_E_NS1_11comp_targetILNS1_3genE2ELNS1_11target_archE906ELNS1_3gpuE6ELNS1_3repE0EEENS1_30default_config_static_selectorELNS0_4arch9wavefront6targetE0EEEvSR_.numbered_sgpr, 0
	.set _ZN7rocprim17ROCPRIM_400000_NS6detail17trampoline_kernelINS0_14default_configENS1_32segmented_reduce_config_selectorIN3c104HalfEEEZNS1_21segmented_reduce_implIS3_PKS6_PS6_PKiS6_N6hipcub16HIPCUB_304000_NS6detail27convert_result_type_wrapperISA_SB_N2at6native12_GLOBAL__N_19CustomMinEEEEE10hipError_tPvRmT0_T1_jT2_SS_T4_T3_P12ihipStream_tbEUlT_E_NS1_11comp_targetILNS1_3genE2ELNS1_11target_archE906ELNS1_3gpuE6ELNS1_3repE0EEENS1_30default_config_static_selectorELNS0_4arch9wavefront6targetE0EEEvSR_.num_named_barrier, 0
	.set _ZN7rocprim17ROCPRIM_400000_NS6detail17trampoline_kernelINS0_14default_configENS1_32segmented_reduce_config_selectorIN3c104HalfEEEZNS1_21segmented_reduce_implIS3_PKS6_PS6_PKiS6_N6hipcub16HIPCUB_304000_NS6detail27convert_result_type_wrapperISA_SB_N2at6native12_GLOBAL__N_19CustomMinEEEEE10hipError_tPvRmT0_T1_jT2_SS_T4_T3_P12ihipStream_tbEUlT_E_NS1_11comp_targetILNS1_3genE2ELNS1_11target_archE906ELNS1_3gpuE6ELNS1_3repE0EEENS1_30default_config_static_selectorELNS0_4arch9wavefront6targetE0EEEvSR_.private_seg_size, 0
	.set _ZN7rocprim17ROCPRIM_400000_NS6detail17trampoline_kernelINS0_14default_configENS1_32segmented_reduce_config_selectorIN3c104HalfEEEZNS1_21segmented_reduce_implIS3_PKS6_PS6_PKiS6_N6hipcub16HIPCUB_304000_NS6detail27convert_result_type_wrapperISA_SB_N2at6native12_GLOBAL__N_19CustomMinEEEEE10hipError_tPvRmT0_T1_jT2_SS_T4_T3_P12ihipStream_tbEUlT_E_NS1_11comp_targetILNS1_3genE2ELNS1_11target_archE906ELNS1_3gpuE6ELNS1_3repE0EEENS1_30default_config_static_selectorELNS0_4arch9wavefront6targetE0EEEvSR_.uses_vcc, 0
	.set _ZN7rocprim17ROCPRIM_400000_NS6detail17trampoline_kernelINS0_14default_configENS1_32segmented_reduce_config_selectorIN3c104HalfEEEZNS1_21segmented_reduce_implIS3_PKS6_PS6_PKiS6_N6hipcub16HIPCUB_304000_NS6detail27convert_result_type_wrapperISA_SB_N2at6native12_GLOBAL__N_19CustomMinEEEEE10hipError_tPvRmT0_T1_jT2_SS_T4_T3_P12ihipStream_tbEUlT_E_NS1_11comp_targetILNS1_3genE2ELNS1_11target_archE906ELNS1_3gpuE6ELNS1_3repE0EEENS1_30default_config_static_selectorELNS0_4arch9wavefront6targetE0EEEvSR_.uses_flat_scratch, 0
	.set _ZN7rocprim17ROCPRIM_400000_NS6detail17trampoline_kernelINS0_14default_configENS1_32segmented_reduce_config_selectorIN3c104HalfEEEZNS1_21segmented_reduce_implIS3_PKS6_PS6_PKiS6_N6hipcub16HIPCUB_304000_NS6detail27convert_result_type_wrapperISA_SB_N2at6native12_GLOBAL__N_19CustomMinEEEEE10hipError_tPvRmT0_T1_jT2_SS_T4_T3_P12ihipStream_tbEUlT_E_NS1_11comp_targetILNS1_3genE2ELNS1_11target_archE906ELNS1_3gpuE6ELNS1_3repE0EEENS1_30default_config_static_selectorELNS0_4arch9wavefront6targetE0EEEvSR_.has_dyn_sized_stack, 0
	.set _ZN7rocprim17ROCPRIM_400000_NS6detail17trampoline_kernelINS0_14default_configENS1_32segmented_reduce_config_selectorIN3c104HalfEEEZNS1_21segmented_reduce_implIS3_PKS6_PS6_PKiS6_N6hipcub16HIPCUB_304000_NS6detail27convert_result_type_wrapperISA_SB_N2at6native12_GLOBAL__N_19CustomMinEEEEE10hipError_tPvRmT0_T1_jT2_SS_T4_T3_P12ihipStream_tbEUlT_E_NS1_11comp_targetILNS1_3genE2ELNS1_11target_archE906ELNS1_3gpuE6ELNS1_3repE0EEENS1_30default_config_static_selectorELNS0_4arch9wavefront6targetE0EEEvSR_.has_recursion, 0
	.set _ZN7rocprim17ROCPRIM_400000_NS6detail17trampoline_kernelINS0_14default_configENS1_32segmented_reduce_config_selectorIN3c104HalfEEEZNS1_21segmented_reduce_implIS3_PKS6_PS6_PKiS6_N6hipcub16HIPCUB_304000_NS6detail27convert_result_type_wrapperISA_SB_N2at6native12_GLOBAL__N_19CustomMinEEEEE10hipError_tPvRmT0_T1_jT2_SS_T4_T3_P12ihipStream_tbEUlT_E_NS1_11comp_targetILNS1_3genE2ELNS1_11target_archE906ELNS1_3gpuE6ELNS1_3repE0EEENS1_30default_config_static_selectorELNS0_4arch9wavefront6targetE0EEEvSR_.has_indirect_call, 0
	.section	.AMDGPU.csdata,"",@progbits
; Kernel info:
; codeLenInByte = 0
; TotalNumSgprs: 0
; NumVgprs: 0
; ScratchSize: 0
; MemoryBound: 0
; FloatMode: 240
; IeeeMode: 1
; LDSByteSize: 0 bytes/workgroup (compile time only)
; SGPRBlocks: 0
; VGPRBlocks: 0
; NumSGPRsForWavesPerEU: 1
; NumVGPRsForWavesPerEU: 1
; Occupancy: 16
; WaveLimiterHint : 0
; COMPUTE_PGM_RSRC2:SCRATCH_EN: 0
; COMPUTE_PGM_RSRC2:USER_SGPR: 6
; COMPUTE_PGM_RSRC2:TRAP_HANDLER: 0
; COMPUTE_PGM_RSRC2:TGID_X_EN: 1
; COMPUTE_PGM_RSRC2:TGID_Y_EN: 0
; COMPUTE_PGM_RSRC2:TGID_Z_EN: 0
; COMPUTE_PGM_RSRC2:TIDIG_COMP_CNT: 0
	.section	.text._ZN7rocprim17ROCPRIM_400000_NS6detail17trampoline_kernelINS0_14default_configENS1_32segmented_reduce_config_selectorIN3c104HalfEEEZNS1_21segmented_reduce_implIS3_PKS6_PS6_PKiS6_N6hipcub16HIPCUB_304000_NS6detail27convert_result_type_wrapperISA_SB_N2at6native12_GLOBAL__N_19CustomMinEEEEE10hipError_tPvRmT0_T1_jT2_SS_T4_T3_P12ihipStream_tbEUlT_E_NS1_11comp_targetILNS1_3genE9ELNS1_11target_archE1100ELNS1_3gpuE3ELNS1_3repE0EEENS1_30default_config_static_selectorELNS0_4arch9wavefront6targetE0EEEvSR_,"axG",@progbits,_ZN7rocprim17ROCPRIM_400000_NS6detail17trampoline_kernelINS0_14default_configENS1_32segmented_reduce_config_selectorIN3c104HalfEEEZNS1_21segmented_reduce_implIS3_PKS6_PS6_PKiS6_N6hipcub16HIPCUB_304000_NS6detail27convert_result_type_wrapperISA_SB_N2at6native12_GLOBAL__N_19CustomMinEEEEE10hipError_tPvRmT0_T1_jT2_SS_T4_T3_P12ihipStream_tbEUlT_E_NS1_11comp_targetILNS1_3genE9ELNS1_11target_archE1100ELNS1_3gpuE3ELNS1_3repE0EEENS1_30default_config_static_selectorELNS0_4arch9wavefront6targetE0EEEvSR_,comdat
	.globl	_ZN7rocprim17ROCPRIM_400000_NS6detail17trampoline_kernelINS0_14default_configENS1_32segmented_reduce_config_selectorIN3c104HalfEEEZNS1_21segmented_reduce_implIS3_PKS6_PS6_PKiS6_N6hipcub16HIPCUB_304000_NS6detail27convert_result_type_wrapperISA_SB_N2at6native12_GLOBAL__N_19CustomMinEEEEE10hipError_tPvRmT0_T1_jT2_SS_T4_T3_P12ihipStream_tbEUlT_E_NS1_11comp_targetILNS1_3genE9ELNS1_11target_archE1100ELNS1_3gpuE3ELNS1_3repE0EEENS1_30default_config_static_selectorELNS0_4arch9wavefront6targetE0EEEvSR_ ; -- Begin function _ZN7rocprim17ROCPRIM_400000_NS6detail17trampoline_kernelINS0_14default_configENS1_32segmented_reduce_config_selectorIN3c104HalfEEEZNS1_21segmented_reduce_implIS3_PKS6_PS6_PKiS6_N6hipcub16HIPCUB_304000_NS6detail27convert_result_type_wrapperISA_SB_N2at6native12_GLOBAL__N_19CustomMinEEEEE10hipError_tPvRmT0_T1_jT2_SS_T4_T3_P12ihipStream_tbEUlT_E_NS1_11comp_targetILNS1_3genE9ELNS1_11target_archE1100ELNS1_3gpuE3ELNS1_3repE0EEENS1_30default_config_static_selectorELNS0_4arch9wavefront6targetE0EEEvSR_
	.p2align	8
	.type	_ZN7rocprim17ROCPRIM_400000_NS6detail17trampoline_kernelINS0_14default_configENS1_32segmented_reduce_config_selectorIN3c104HalfEEEZNS1_21segmented_reduce_implIS3_PKS6_PS6_PKiS6_N6hipcub16HIPCUB_304000_NS6detail27convert_result_type_wrapperISA_SB_N2at6native12_GLOBAL__N_19CustomMinEEEEE10hipError_tPvRmT0_T1_jT2_SS_T4_T3_P12ihipStream_tbEUlT_E_NS1_11comp_targetILNS1_3genE9ELNS1_11target_archE1100ELNS1_3gpuE3ELNS1_3repE0EEENS1_30default_config_static_selectorELNS0_4arch9wavefront6targetE0EEEvSR_,@function
_ZN7rocprim17ROCPRIM_400000_NS6detail17trampoline_kernelINS0_14default_configENS1_32segmented_reduce_config_selectorIN3c104HalfEEEZNS1_21segmented_reduce_implIS3_PKS6_PS6_PKiS6_N6hipcub16HIPCUB_304000_NS6detail27convert_result_type_wrapperISA_SB_N2at6native12_GLOBAL__N_19CustomMinEEEEE10hipError_tPvRmT0_T1_jT2_SS_T4_T3_P12ihipStream_tbEUlT_E_NS1_11comp_targetILNS1_3genE9ELNS1_11target_archE1100ELNS1_3gpuE3ELNS1_3repE0EEENS1_30default_config_static_selectorELNS0_4arch9wavefront6targetE0EEEvSR_: ; @_ZN7rocprim17ROCPRIM_400000_NS6detail17trampoline_kernelINS0_14default_configENS1_32segmented_reduce_config_selectorIN3c104HalfEEEZNS1_21segmented_reduce_implIS3_PKS6_PS6_PKiS6_N6hipcub16HIPCUB_304000_NS6detail27convert_result_type_wrapperISA_SB_N2at6native12_GLOBAL__N_19CustomMinEEEEE10hipError_tPvRmT0_T1_jT2_SS_T4_T3_P12ihipStream_tbEUlT_E_NS1_11comp_targetILNS1_3genE9ELNS1_11target_archE1100ELNS1_3gpuE3ELNS1_3repE0EEENS1_30default_config_static_selectorELNS0_4arch9wavefront6targetE0EEEvSR_
; %bb.0:
	.section	.rodata,"a",@progbits
	.p2align	6, 0x0
	.amdhsa_kernel _ZN7rocprim17ROCPRIM_400000_NS6detail17trampoline_kernelINS0_14default_configENS1_32segmented_reduce_config_selectorIN3c104HalfEEEZNS1_21segmented_reduce_implIS3_PKS6_PS6_PKiS6_N6hipcub16HIPCUB_304000_NS6detail27convert_result_type_wrapperISA_SB_N2at6native12_GLOBAL__N_19CustomMinEEEEE10hipError_tPvRmT0_T1_jT2_SS_T4_T3_P12ihipStream_tbEUlT_E_NS1_11comp_targetILNS1_3genE9ELNS1_11target_archE1100ELNS1_3gpuE3ELNS1_3repE0EEENS1_30default_config_static_selectorELNS0_4arch9wavefront6targetE0EEEvSR_
		.amdhsa_group_segment_fixed_size 0
		.amdhsa_private_segment_fixed_size 0
		.amdhsa_kernarg_size 48
		.amdhsa_user_sgpr_count 6
		.amdhsa_user_sgpr_private_segment_buffer 1
		.amdhsa_user_sgpr_dispatch_ptr 0
		.amdhsa_user_sgpr_queue_ptr 0
		.amdhsa_user_sgpr_kernarg_segment_ptr 1
		.amdhsa_user_sgpr_dispatch_id 0
		.amdhsa_user_sgpr_flat_scratch_init 0
		.amdhsa_user_sgpr_private_segment_size 0
		.amdhsa_wavefront_size32 1
		.amdhsa_uses_dynamic_stack 0
		.amdhsa_system_sgpr_private_segment_wavefront_offset 0
		.amdhsa_system_sgpr_workgroup_id_x 1
		.amdhsa_system_sgpr_workgroup_id_y 0
		.amdhsa_system_sgpr_workgroup_id_z 0
		.amdhsa_system_sgpr_workgroup_info 0
		.amdhsa_system_vgpr_workitem_id 0
		.amdhsa_next_free_vgpr 1
		.amdhsa_next_free_sgpr 1
		.amdhsa_reserve_vcc 0
		.amdhsa_reserve_flat_scratch 0
		.amdhsa_float_round_mode_32 0
		.amdhsa_float_round_mode_16_64 0
		.amdhsa_float_denorm_mode_32 3
		.amdhsa_float_denorm_mode_16_64 3
		.amdhsa_dx10_clamp 1
		.amdhsa_ieee_mode 1
		.amdhsa_fp16_overflow 0
		.amdhsa_workgroup_processor_mode 1
		.amdhsa_memory_ordered 1
		.amdhsa_forward_progress 1
		.amdhsa_shared_vgpr_count 0
		.amdhsa_exception_fp_ieee_invalid_op 0
		.amdhsa_exception_fp_denorm_src 0
		.amdhsa_exception_fp_ieee_div_zero 0
		.amdhsa_exception_fp_ieee_overflow 0
		.amdhsa_exception_fp_ieee_underflow 0
		.amdhsa_exception_fp_ieee_inexact 0
		.amdhsa_exception_int_div_zero 0
	.end_amdhsa_kernel
	.section	.text._ZN7rocprim17ROCPRIM_400000_NS6detail17trampoline_kernelINS0_14default_configENS1_32segmented_reduce_config_selectorIN3c104HalfEEEZNS1_21segmented_reduce_implIS3_PKS6_PS6_PKiS6_N6hipcub16HIPCUB_304000_NS6detail27convert_result_type_wrapperISA_SB_N2at6native12_GLOBAL__N_19CustomMinEEEEE10hipError_tPvRmT0_T1_jT2_SS_T4_T3_P12ihipStream_tbEUlT_E_NS1_11comp_targetILNS1_3genE9ELNS1_11target_archE1100ELNS1_3gpuE3ELNS1_3repE0EEENS1_30default_config_static_selectorELNS0_4arch9wavefront6targetE0EEEvSR_,"axG",@progbits,_ZN7rocprim17ROCPRIM_400000_NS6detail17trampoline_kernelINS0_14default_configENS1_32segmented_reduce_config_selectorIN3c104HalfEEEZNS1_21segmented_reduce_implIS3_PKS6_PS6_PKiS6_N6hipcub16HIPCUB_304000_NS6detail27convert_result_type_wrapperISA_SB_N2at6native12_GLOBAL__N_19CustomMinEEEEE10hipError_tPvRmT0_T1_jT2_SS_T4_T3_P12ihipStream_tbEUlT_E_NS1_11comp_targetILNS1_3genE9ELNS1_11target_archE1100ELNS1_3gpuE3ELNS1_3repE0EEENS1_30default_config_static_selectorELNS0_4arch9wavefront6targetE0EEEvSR_,comdat
.Lfunc_end100:
	.size	_ZN7rocprim17ROCPRIM_400000_NS6detail17trampoline_kernelINS0_14default_configENS1_32segmented_reduce_config_selectorIN3c104HalfEEEZNS1_21segmented_reduce_implIS3_PKS6_PS6_PKiS6_N6hipcub16HIPCUB_304000_NS6detail27convert_result_type_wrapperISA_SB_N2at6native12_GLOBAL__N_19CustomMinEEEEE10hipError_tPvRmT0_T1_jT2_SS_T4_T3_P12ihipStream_tbEUlT_E_NS1_11comp_targetILNS1_3genE9ELNS1_11target_archE1100ELNS1_3gpuE3ELNS1_3repE0EEENS1_30default_config_static_selectorELNS0_4arch9wavefront6targetE0EEEvSR_, .Lfunc_end100-_ZN7rocprim17ROCPRIM_400000_NS6detail17trampoline_kernelINS0_14default_configENS1_32segmented_reduce_config_selectorIN3c104HalfEEEZNS1_21segmented_reduce_implIS3_PKS6_PS6_PKiS6_N6hipcub16HIPCUB_304000_NS6detail27convert_result_type_wrapperISA_SB_N2at6native12_GLOBAL__N_19CustomMinEEEEE10hipError_tPvRmT0_T1_jT2_SS_T4_T3_P12ihipStream_tbEUlT_E_NS1_11comp_targetILNS1_3genE9ELNS1_11target_archE1100ELNS1_3gpuE3ELNS1_3repE0EEENS1_30default_config_static_selectorELNS0_4arch9wavefront6targetE0EEEvSR_
                                        ; -- End function
	.set _ZN7rocprim17ROCPRIM_400000_NS6detail17trampoline_kernelINS0_14default_configENS1_32segmented_reduce_config_selectorIN3c104HalfEEEZNS1_21segmented_reduce_implIS3_PKS6_PS6_PKiS6_N6hipcub16HIPCUB_304000_NS6detail27convert_result_type_wrapperISA_SB_N2at6native12_GLOBAL__N_19CustomMinEEEEE10hipError_tPvRmT0_T1_jT2_SS_T4_T3_P12ihipStream_tbEUlT_E_NS1_11comp_targetILNS1_3genE9ELNS1_11target_archE1100ELNS1_3gpuE3ELNS1_3repE0EEENS1_30default_config_static_selectorELNS0_4arch9wavefront6targetE0EEEvSR_.num_vgpr, 0
	.set _ZN7rocprim17ROCPRIM_400000_NS6detail17trampoline_kernelINS0_14default_configENS1_32segmented_reduce_config_selectorIN3c104HalfEEEZNS1_21segmented_reduce_implIS3_PKS6_PS6_PKiS6_N6hipcub16HIPCUB_304000_NS6detail27convert_result_type_wrapperISA_SB_N2at6native12_GLOBAL__N_19CustomMinEEEEE10hipError_tPvRmT0_T1_jT2_SS_T4_T3_P12ihipStream_tbEUlT_E_NS1_11comp_targetILNS1_3genE9ELNS1_11target_archE1100ELNS1_3gpuE3ELNS1_3repE0EEENS1_30default_config_static_selectorELNS0_4arch9wavefront6targetE0EEEvSR_.num_agpr, 0
	.set _ZN7rocprim17ROCPRIM_400000_NS6detail17trampoline_kernelINS0_14default_configENS1_32segmented_reduce_config_selectorIN3c104HalfEEEZNS1_21segmented_reduce_implIS3_PKS6_PS6_PKiS6_N6hipcub16HIPCUB_304000_NS6detail27convert_result_type_wrapperISA_SB_N2at6native12_GLOBAL__N_19CustomMinEEEEE10hipError_tPvRmT0_T1_jT2_SS_T4_T3_P12ihipStream_tbEUlT_E_NS1_11comp_targetILNS1_3genE9ELNS1_11target_archE1100ELNS1_3gpuE3ELNS1_3repE0EEENS1_30default_config_static_selectorELNS0_4arch9wavefront6targetE0EEEvSR_.numbered_sgpr, 0
	.set _ZN7rocprim17ROCPRIM_400000_NS6detail17trampoline_kernelINS0_14default_configENS1_32segmented_reduce_config_selectorIN3c104HalfEEEZNS1_21segmented_reduce_implIS3_PKS6_PS6_PKiS6_N6hipcub16HIPCUB_304000_NS6detail27convert_result_type_wrapperISA_SB_N2at6native12_GLOBAL__N_19CustomMinEEEEE10hipError_tPvRmT0_T1_jT2_SS_T4_T3_P12ihipStream_tbEUlT_E_NS1_11comp_targetILNS1_3genE9ELNS1_11target_archE1100ELNS1_3gpuE3ELNS1_3repE0EEENS1_30default_config_static_selectorELNS0_4arch9wavefront6targetE0EEEvSR_.num_named_barrier, 0
	.set _ZN7rocprim17ROCPRIM_400000_NS6detail17trampoline_kernelINS0_14default_configENS1_32segmented_reduce_config_selectorIN3c104HalfEEEZNS1_21segmented_reduce_implIS3_PKS6_PS6_PKiS6_N6hipcub16HIPCUB_304000_NS6detail27convert_result_type_wrapperISA_SB_N2at6native12_GLOBAL__N_19CustomMinEEEEE10hipError_tPvRmT0_T1_jT2_SS_T4_T3_P12ihipStream_tbEUlT_E_NS1_11comp_targetILNS1_3genE9ELNS1_11target_archE1100ELNS1_3gpuE3ELNS1_3repE0EEENS1_30default_config_static_selectorELNS0_4arch9wavefront6targetE0EEEvSR_.private_seg_size, 0
	.set _ZN7rocprim17ROCPRIM_400000_NS6detail17trampoline_kernelINS0_14default_configENS1_32segmented_reduce_config_selectorIN3c104HalfEEEZNS1_21segmented_reduce_implIS3_PKS6_PS6_PKiS6_N6hipcub16HIPCUB_304000_NS6detail27convert_result_type_wrapperISA_SB_N2at6native12_GLOBAL__N_19CustomMinEEEEE10hipError_tPvRmT0_T1_jT2_SS_T4_T3_P12ihipStream_tbEUlT_E_NS1_11comp_targetILNS1_3genE9ELNS1_11target_archE1100ELNS1_3gpuE3ELNS1_3repE0EEENS1_30default_config_static_selectorELNS0_4arch9wavefront6targetE0EEEvSR_.uses_vcc, 0
	.set _ZN7rocprim17ROCPRIM_400000_NS6detail17trampoline_kernelINS0_14default_configENS1_32segmented_reduce_config_selectorIN3c104HalfEEEZNS1_21segmented_reduce_implIS3_PKS6_PS6_PKiS6_N6hipcub16HIPCUB_304000_NS6detail27convert_result_type_wrapperISA_SB_N2at6native12_GLOBAL__N_19CustomMinEEEEE10hipError_tPvRmT0_T1_jT2_SS_T4_T3_P12ihipStream_tbEUlT_E_NS1_11comp_targetILNS1_3genE9ELNS1_11target_archE1100ELNS1_3gpuE3ELNS1_3repE0EEENS1_30default_config_static_selectorELNS0_4arch9wavefront6targetE0EEEvSR_.uses_flat_scratch, 0
	.set _ZN7rocprim17ROCPRIM_400000_NS6detail17trampoline_kernelINS0_14default_configENS1_32segmented_reduce_config_selectorIN3c104HalfEEEZNS1_21segmented_reduce_implIS3_PKS6_PS6_PKiS6_N6hipcub16HIPCUB_304000_NS6detail27convert_result_type_wrapperISA_SB_N2at6native12_GLOBAL__N_19CustomMinEEEEE10hipError_tPvRmT0_T1_jT2_SS_T4_T3_P12ihipStream_tbEUlT_E_NS1_11comp_targetILNS1_3genE9ELNS1_11target_archE1100ELNS1_3gpuE3ELNS1_3repE0EEENS1_30default_config_static_selectorELNS0_4arch9wavefront6targetE0EEEvSR_.has_dyn_sized_stack, 0
	.set _ZN7rocprim17ROCPRIM_400000_NS6detail17trampoline_kernelINS0_14default_configENS1_32segmented_reduce_config_selectorIN3c104HalfEEEZNS1_21segmented_reduce_implIS3_PKS6_PS6_PKiS6_N6hipcub16HIPCUB_304000_NS6detail27convert_result_type_wrapperISA_SB_N2at6native12_GLOBAL__N_19CustomMinEEEEE10hipError_tPvRmT0_T1_jT2_SS_T4_T3_P12ihipStream_tbEUlT_E_NS1_11comp_targetILNS1_3genE9ELNS1_11target_archE1100ELNS1_3gpuE3ELNS1_3repE0EEENS1_30default_config_static_selectorELNS0_4arch9wavefront6targetE0EEEvSR_.has_recursion, 0
	.set _ZN7rocprim17ROCPRIM_400000_NS6detail17trampoline_kernelINS0_14default_configENS1_32segmented_reduce_config_selectorIN3c104HalfEEEZNS1_21segmented_reduce_implIS3_PKS6_PS6_PKiS6_N6hipcub16HIPCUB_304000_NS6detail27convert_result_type_wrapperISA_SB_N2at6native12_GLOBAL__N_19CustomMinEEEEE10hipError_tPvRmT0_T1_jT2_SS_T4_T3_P12ihipStream_tbEUlT_E_NS1_11comp_targetILNS1_3genE9ELNS1_11target_archE1100ELNS1_3gpuE3ELNS1_3repE0EEENS1_30default_config_static_selectorELNS0_4arch9wavefront6targetE0EEEvSR_.has_indirect_call, 0
	.section	.AMDGPU.csdata,"",@progbits
; Kernel info:
; codeLenInByte = 0
; TotalNumSgprs: 0
; NumVgprs: 0
; ScratchSize: 0
; MemoryBound: 0
; FloatMode: 240
; IeeeMode: 1
; LDSByteSize: 0 bytes/workgroup (compile time only)
; SGPRBlocks: 0
; VGPRBlocks: 0
; NumSGPRsForWavesPerEU: 1
; NumVGPRsForWavesPerEU: 1
; Occupancy: 16
; WaveLimiterHint : 0
; COMPUTE_PGM_RSRC2:SCRATCH_EN: 0
; COMPUTE_PGM_RSRC2:USER_SGPR: 6
; COMPUTE_PGM_RSRC2:TRAP_HANDLER: 0
; COMPUTE_PGM_RSRC2:TGID_X_EN: 1
; COMPUTE_PGM_RSRC2:TGID_Y_EN: 0
; COMPUTE_PGM_RSRC2:TGID_Z_EN: 0
; COMPUTE_PGM_RSRC2:TIDIG_COMP_CNT: 0
	.section	.text._ZN7rocprim17ROCPRIM_400000_NS6detail17trampoline_kernelINS0_14default_configENS1_32segmented_reduce_config_selectorIN3c104HalfEEEZNS1_21segmented_reduce_implIS3_PKS6_PS6_PKiS6_N6hipcub16HIPCUB_304000_NS6detail27convert_result_type_wrapperISA_SB_N2at6native12_GLOBAL__N_19CustomMinEEEEE10hipError_tPvRmT0_T1_jT2_SS_T4_T3_P12ihipStream_tbEUlT_E_NS1_11comp_targetILNS1_3genE8ELNS1_11target_archE1030ELNS1_3gpuE2ELNS1_3repE0EEENS1_30default_config_static_selectorELNS0_4arch9wavefront6targetE0EEEvSR_,"axG",@progbits,_ZN7rocprim17ROCPRIM_400000_NS6detail17trampoline_kernelINS0_14default_configENS1_32segmented_reduce_config_selectorIN3c104HalfEEEZNS1_21segmented_reduce_implIS3_PKS6_PS6_PKiS6_N6hipcub16HIPCUB_304000_NS6detail27convert_result_type_wrapperISA_SB_N2at6native12_GLOBAL__N_19CustomMinEEEEE10hipError_tPvRmT0_T1_jT2_SS_T4_T3_P12ihipStream_tbEUlT_E_NS1_11comp_targetILNS1_3genE8ELNS1_11target_archE1030ELNS1_3gpuE2ELNS1_3repE0EEENS1_30default_config_static_selectorELNS0_4arch9wavefront6targetE0EEEvSR_,comdat
	.globl	_ZN7rocprim17ROCPRIM_400000_NS6detail17trampoline_kernelINS0_14default_configENS1_32segmented_reduce_config_selectorIN3c104HalfEEEZNS1_21segmented_reduce_implIS3_PKS6_PS6_PKiS6_N6hipcub16HIPCUB_304000_NS6detail27convert_result_type_wrapperISA_SB_N2at6native12_GLOBAL__N_19CustomMinEEEEE10hipError_tPvRmT0_T1_jT2_SS_T4_T3_P12ihipStream_tbEUlT_E_NS1_11comp_targetILNS1_3genE8ELNS1_11target_archE1030ELNS1_3gpuE2ELNS1_3repE0EEENS1_30default_config_static_selectorELNS0_4arch9wavefront6targetE0EEEvSR_ ; -- Begin function _ZN7rocprim17ROCPRIM_400000_NS6detail17trampoline_kernelINS0_14default_configENS1_32segmented_reduce_config_selectorIN3c104HalfEEEZNS1_21segmented_reduce_implIS3_PKS6_PS6_PKiS6_N6hipcub16HIPCUB_304000_NS6detail27convert_result_type_wrapperISA_SB_N2at6native12_GLOBAL__N_19CustomMinEEEEE10hipError_tPvRmT0_T1_jT2_SS_T4_T3_P12ihipStream_tbEUlT_E_NS1_11comp_targetILNS1_3genE8ELNS1_11target_archE1030ELNS1_3gpuE2ELNS1_3repE0EEENS1_30default_config_static_selectorELNS0_4arch9wavefront6targetE0EEEvSR_
	.p2align	8
	.type	_ZN7rocprim17ROCPRIM_400000_NS6detail17trampoline_kernelINS0_14default_configENS1_32segmented_reduce_config_selectorIN3c104HalfEEEZNS1_21segmented_reduce_implIS3_PKS6_PS6_PKiS6_N6hipcub16HIPCUB_304000_NS6detail27convert_result_type_wrapperISA_SB_N2at6native12_GLOBAL__N_19CustomMinEEEEE10hipError_tPvRmT0_T1_jT2_SS_T4_T3_P12ihipStream_tbEUlT_E_NS1_11comp_targetILNS1_3genE8ELNS1_11target_archE1030ELNS1_3gpuE2ELNS1_3repE0EEENS1_30default_config_static_selectorELNS0_4arch9wavefront6targetE0EEEvSR_,@function
_ZN7rocprim17ROCPRIM_400000_NS6detail17trampoline_kernelINS0_14default_configENS1_32segmented_reduce_config_selectorIN3c104HalfEEEZNS1_21segmented_reduce_implIS3_PKS6_PS6_PKiS6_N6hipcub16HIPCUB_304000_NS6detail27convert_result_type_wrapperISA_SB_N2at6native12_GLOBAL__N_19CustomMinEEEEE10hipError_tPvRmT0_T1_jT2_SS_T4_T3_P12ihipStream_tbEUlT_E_NS1_11comp_targetILNS1_3genE8ELNS1_11target_archE1030ELNS1_3gpuE2ELNS1_3repE0EEENS1_30default_config_static_selectorELNS0_4arch9wavefront6targetE0EEEvSR_: ; @_ZN7rocprim17ROCPRIM_400000_NS6detail17trampoline_kernelINS0_14default_configENS1_32segmented_reduce_config_selectorIN3c104HalfEEEZNS1_21segmented_reduce_implIS3_PKS6_PS6_PKiS6_N6hipcub16HIPCUB_304000_NS6detail27convert_result_type_wrapperISA_SB_N2at6native12_GLOBAL__N_19CustomMinEEEEE10hipError_tPvRmT0_T1_jT2_SS_T4_T3_P12ihipStream_tbEUlT_E_NS1_11comp_targetILNS1_3genE8ELNS1_11target_archE1030ELNS1_3gpuE2ELNS1_3repE0EEENS1_30default_config_static_selectorELNS0_4arch9wavefront6targetE0EEEvSR_
; %bb.0:
	s_clause 0x2
	s_load_dwordx8 s[12:19], s[4:5], 0x0
	s_load_dword s8, s[4:5], 0x28
	s_load_dwordx2 s[0:1], s[4:5], 0x20
	s_mov_b32 s7, 0
	v_cmp_eq_u32_e32 vcc_lo, 0, v0
	s_mov_b32 s20, s7
	s_waitcnt lgkmcnt(0)
	s_lshl_b64 s[2:3], s[16:17], 2
	s_lshr_b32 s9, s8, 16
	s_add_u32 s4, s18, s2
	s_addc_u32 s5, s19, s3
	s_add_u32 s8, s0, s2
	s_addc_u32 s10, s1, s3
	s_lshl_b64 s[0:1], s[6:7], 2
	s_add_u32 s2, s4, s0
	s_addc_u32 s3, s5, s1
	s_add_u32 s0, s8, s0
	s_addc_u32 s1, s10, s1
	s_load_dword s10, s[2:3], 0x0
	s_load_dword s21, s[0:1], 0x0
	s_mov_b32 s0, -1
	s_waitcnt lgkmcnt(0)
	s_cmp_gt_i32 s21, s10
	s_cbranch_scc1 .LBB101_2
; %bb.1:
	s_mov_b32 s0, 0
	s_and_b32 s20, vcc_lo, exec_lo
.LBB101_2:
	s_andn2_b32 vcc_lo, exec_lo, s0
	s_cbranch_vccnz .LBB101_67
; %bb.3:
	s_add_i32 s0, s10, 0x800
	s_cmp_le_i32 s0, s21
	s_cbranch_scc0 .LBB101_68
; %bb.4:
	s_ashr_i32 s11, s10, 31
	v_lshlrev_b32_e32 v10, 1, v0
	s_lshl_b64 s[2:3], s[10:11], 1
	s_add_u32 s2, s12, s2
	s_addc_u32 s3, s13, s3
	v_add_co_u32 v1, s1, s2, v10
	v_add_co_ci_u32_e64 v2, null, s3, 0, s1
	s_mov_b32 s1, exec_lo
	v_add_co_u32 v11, vcc_lo, 0x800, v1
	v_add_co_ci_u32_e64 v12, null, 0, v2, vcc_lo
	s_clause 0x7
	global_load_ushort v9, v10, s[2:3]
	global_load_ushort v8, v10, s[2:3] offset:512
	global_load_ushort v7, v10, s[2:3] offset:1024
	;; [unrolled: 1-line block ×3, first 2 shown]
	global_load_ushort v5, v[11:12], off
	global_load_ushort v3, v[11:12], off offset:512
	global_load_ushort v2, v[11:12], off offset:1024
	;; [unrolled: 1-line block ×3, first 2 shown]
	s_waitcnt vmcnt(7)
	v_mov_b32_e32 v4, v9
	v_cmpx_o_f16_e32 v9, v9
	s_cbranch_execz .LBB101_8
; %bb.5:
	s_waitcnt vmcnt(6)
	v_mov_b32_e32 v4, v8
	s_mov_b32 s2, exec_lo
	v_cmpx_o_f16_e32 v8, v8
; %bb.6:
	v_cmp_lt_f16_e32 vcc_lo, v8, v9
	v_cndmask_b32_e32 v4, v9, v8, vcc_lo
; %bb.7:
	s_or_b32 exec_lo, exec_lo, s2
.LBB101_8:
	s_or_b32 exec_lo, exec_lo, s1
	s_mov_b32 s1, exec_lo
	v_cmpx_o_f16_e32 v4, v4
	s_cbranch_execz .LBB101_12
; %bb.9:
	s_waitcnt vmcnt(5)
	v_mov_b32_e32 v11, v7
	s_mov_b32 s2, exec_lo
	v_cmpx_o_f16_e32 v7, v7
; %bb.10:
	v_cmp_gt_f16_e32 vcc_lo, v4, v7
	v_cndmask_b32_e32 v11, v4, v7, vcc_lo
; %bb.11:
	s_or_b32 exec_lo, exec_lo, s2
	v_mov_b32_e32 v4, v11
.LBB101_12:
	s_or_b32 exec_lo, exec_lo, s1
	s_mov_b32 s1, exec_lo
	v_cmpx_o_f16_e32 v4, v4
	s_cbranch_execz .LBB101_16
; %bb.13:
	s_waitcnt vmcnt(4)
	v_mov_b32_e32 v11, v6
	s_mov_b32 s2, exec_lo
	v_cmpx_o_f16_e32 v6, v6
; %bb.14:
	v_cmp_gt_f16_e32 vcc_lo, v4, v6
	v_cndmask_b32_e32 v11, v4, v6, vcc_lo
; %bb.15:
	s_or_b32 exec_lo, exec_lo, s2
	v_mov_b32_e32 v4, v11
.LBB101_16:
	;; [unrolled: 16-line block ×6, first 2 shown]
	s_or_b32 exec_lo, exec_lo, s1
	s_add_i32 s1, s10, 0x1000
	s_cmp_ge_i32 s1, s21
	s_cbranch_scc1 .LBB101_69
; %bb.33:
	v_add_co_u32 v11, s1, s12, v10
	v_add_co_ci_u32_e64 v12, null, s13, 0, s1
	s_branch .LBB101_36
.LBB101_34:                             ;   in Loop: Header=BB101_36 Depth=1
	s_or_b32 exec_lo, exec_lo, s2
	v_mov_b32_e32 v4, v14
.LBB101_35:                             ;   in Loop: Header=BB101_36 Depth=1
	s_or_b32 exec_lo, exec_lo, s1
	s_add_i32 s1, s0, 0x1000
	s_addk_i32 s0, 0x800
	s_cmp_lt_i32 s1, s21
	s_cbranch_scc0 .LBB101_69
.LBB101_36:                             ; =>This Inner Loop Header: Depth=1
	s_ashr_i32 s1, s0, 31
	s_lshl_b64 s[2:3], s[0:1], 1
	s_mov_b32 s1, exec_lo
	s_waitcnt vmcnt(0)
	v_add_co_u32 v1, vcc_lo, v11, s2
	v_add_co_ci_u32_e64 v2, null, s3, v12, vcc_lo
	v_add_co_u32 v13, vcc_lo, 0x800, v1
	v_add_co_ci_u32_e64 v14, null, 0, v2, vcc_lo
	s_clause 0x7
	global_load_ushort v9, v[1:2], off
	global_load_ushort v8, v[1:2], off offset:512
	global_load_ushort v7, v[1:2], off offset:1024
	;; [unrolled: 1-line block ×3, first 2 shown]
	global_load_ushort v5, v[13:14], off
	global_load_ushort v3, v[13:14], off offset:512
	global_load_ushort v2, v[13:14], off offset:1024
	;; [unrolled: 1-line block ×3, first 2 shown]
	v_mov_b32_e32 v13, v4
	v_cmpx_o_f16_e32 v4, v4
	s_cbranch_execz .LBB101_40
; %bb.37:                               ;   in Loop: Header=BB101_36 Depth=1
	s_waitcnt vmcnt(7)
	v_mov_b32_e32 v13, v9
	s_mov_b32 s2, exec_lo
	v_cmpx_o_f16_e32 v9, v9
; %bb.38:                               ;   in Loop: Header=BB101_36 Depth=1
	v_cmp_lt_f16_e32 vcc_lo, v9, v4
	v_cndmask_b32_e32 v13, v4, v9, vcc_lo
; %bb.39:                               ;   in Loop: Header=BB101_36 Depth=1
	s_or_b32 exec_lo, exec_lo, s2
	v_mov_b32_e32 v4, v13
.LBB101_40:                             ;   in Loop: Header=BB101_36 Depth=1
	s_or_b32 exec_lo, exec_lo, s1
	s_mov_b32 s1, exec_lo
	v_cmpx_o_f16_e32 v13, v13
	s_cbranch_execz .LBB101_44
; %bb.41:                               ;   in Loop: Header=BB101_36 Depth=1
	s_waitcnt vmcnt(6)
	v_mov_b32_e32 v14, v8
	s_mov_b32 s2, exec_lo
	v_cmpx_o_f16_e32 v8, v8
; %bb.42:                               ;   in Loop: Header=BB101_36 Depth=1
	v_cmp_gt_f16_e32 vcc_lo, v13, v8
	v_cndmask_b32_e32 v14, v4, v8, vcc_lo
; %bb.43:                               ;   in Loop: Header=BB101_36 Depth=1
	s_or_b32 exec_lo, exec_lo, s2
	v_mov_b32_e32 v13, v14
	v_mov_b32_e32 v4, v14
.LBB101_44:                             ;   in Loop: Header=BB101_36 Depth=1
	s_or_b32 exec_lo, exec_lo, s1
	s_mov_b32 s1, exec_lo
	v_cmpx_o_f16_e32 v13, v13
	s_cbranch_execz .LBB101_48
; %bb.45:                               ;   in Loop: Header=BB101_36 Depth=1
	s_waitcnt vmcnt(5)
	v_mov_b32_e32 v14, v7
	s_mov_b32 s2, exec_lo
	v_cmpx_o_f16_e32 v7, v7
; %bb.46:                               ;   in Loop: Header=BB101_36 Depth=1
	v_cmp_gt_f16_e32 vcc_lo, v13, v7
	v_cndmask_b32_e32 v14, v4, v7, vcc_lo
; %bb.47:                               ;   in Loop: Header=BB101_36 Depth=1
	s_or_b32 exec_lo, exec_lo, s2
	v_mov_b32_e32 v13, v14
	v_mov_b32_e32 v4, v14
.LBB101_48:                             ;   in Loop: Header=BB101_36 Depth=1
	;; [unrolled: 17-line block ×6, first 2 shown]
	s_or_b32 exec_lo, exec_lo, s1
	s_mov_b32 s1, exec_lo
	v_cmpx_o_f16_e32 v13, v13
	s_cbranch_execz .LBB101_35
; %bb.65:                               ;   in Loop: Header=BB101_36 Depth=1
	s_waitcnt vmcnt(0)
	v_mov_b32_e32 v14, v1
	s_mov_b32 s2, exec_lo
	v_cmpx_o_f16_e32 v1, v1
	s_cbranch_execz .LBB101_34
; %bb.66:                               ;   in Loop: Header=BB101_36 Depth=1
	v_cmp_gt_f16_e32 vcc_lo, v13, v1
	v_cndmask_b32_e32 v14, v4, v1, vcc_lo
	s_branch .LBB101_34
.LBB101_67:
	v_mov_b32_e32 v1, s9
	s_and_saveexec_b32 s0, s20
	s_cbranch_execnz .LBB101_279
	s_branch .LBB101_280
.LBB101_68:
                                        ; implicit-def: $vgpr2
	s_cbranch_execnz .LBB101_170
	s_branch .LBB101_272
.LBB101_69:
	s_ashr_i32 s1, s0, 31
	s_sub_i32 s11, s21, s0
	s_lshl_b64 s[0:1], s[0:1], 1
	v_cmp_gt_u32_e64 s8, s11, v0
	s_add_u32 s18, s12, s0
	s_addc_u32 s19, s13, s1
	s_and_saveexec_b32 s0, s8
	s_cbranch_execz .LBB101_71
; %bb.70:
	global_load_ushort v9, v10, s[18:19]
.LBB101_71:
	s_or_b32 exec_lo, exec_lo, s0
	v_or_b32_e32 v11, 0x100, v0
	v_cmp_gt_u32_e64 s5, s11, v11
	s_and_saveexec_b32 s0, s5
	s_cbranch_execz .LBB101_73
; %bb.72:
	global_load_ushort v8, v10, s[18:19] offset:512
.LBB101_73:
	s_or_b32 exec_lo, exec_lo, s0
	v_or_b32_e32 v11, 0x200, v0
	v_cmp_gt_u32_e64 s4, s11, v11
	s_and_saveexec_b32 s0, s4
	s_cbranch_execz .LBB101_75
; %bb.74:
	global_load_ushort v7, v10, s[18:19] offset:1024
.LBB101_75:
	;; [unrolled: 8-line block ×3, first 2 shown]
	s_or_b32 exec_lo, exec_lo, s0
	v_or_b32_e32 v10, 0x400, v0
	v_cmp_gt_u32_e64 s2, s11, v10
	s_and_saveexec_b32 s0, s2
	s_cbranch_execz .LBB101_79
; %bb.78:
	s_waitcnt vmcnt(3)
	v_lshlrev_b32_e32 v5, 1, v10
	global_load_ushort v5, v5, s[18:19]
.LBB101_79:
	s_or_b32 exec_lo, exec_lo, s0
	v_or_b32_e32 v10, 0x500, v0
	v_cmp_gt_u32_e64 s1, s11, v10
	s_and_saveexec_b32 s0, s1
	s_cbranch_execz .LBB101_81
; %bb.80:
	s_waitcnt vmcnt(2)
	v_lshlrev_b32_e32 v3, 1, v10
	global_load_ushort v3, v3, s[18:19]
.LBB101_81:
	;; [unrolled: 10-line block ×3, first 2 shown]
	s_or_b32 exec_lo, exec_lo, s22
	v_or_b32_e32 v10, 0x700, v0
	v_cmp_gt_u32_e32 vcc_lo, s11, v10
	s_and_saveexec_b32 s11, vcc_lo
	s_cbranch_execnz .LBB101_92
; %bb.84:
	s_or_b32 exec_lo, exec_lo, s11
	s_and_saveexec_b32 s11, s8
	s_cbranch_execnz .LBB101_93
.LBB101_85:
	s_or_b32 exec_lo, exec_lo, s11
	s_and_saveexec_b32 s8, s5
	s_cbranch_execnz .LBB101_98
.LBB101_86:
	s_or_b32 exec_lo, exec_lo, s8
	s_and_saveexec_b32 s5, s4
	s_cbranch_execnz .LBB101_103
.LBB101_87:
	s_or_b32 exec_lo, exec_lo, s5
	s_and_saveexec_b32 s4, s3
	s_cbranch_execnz .LBB101_108
.LBB101_88:
	s_or_b32 exec_lo, exec_lo, s4
	s_and_saveexec_b32 s3, s2
	s_cbranch_execnz .LBB101_113
.LBB101_89:
	s_or_b32 exec_lo, exec_lo, s3
	s_and_saveexec_b32 s2, s1
	s_cbranch_execnz .LBB101_118
.LBB101_90:
	s_or_b32 exec_lo, exec_lo, s2
	s_and_saveexec_b32 s1, s0
	s_cbranch_execnz .LBB101_123
.LBB101_91:
	s_or_b32 exec_lo, exec_lo, s1
	s_and_saveexec_b32 s0, vcc_lo
	s_cbranch_execnz .LBB101_128
	s_branch .LBB101_133
.LBB101_92:
	s_waitcnt vmcnt(0)
	v_lshlrev_b32_e32 v1, 1, v10
	global_load_ushort v1, v1, s[18:19]
	s_or_b32 exec_lo, exec_lo, s11
	s_and_saveexec_b32 s11, s8
	s_cbranch_execz .LBB101_85
.LBB101_93:
	s_mov_b32 s18, exec_lo
	v_cmpx_o_f16_e32 v4, v4
	s_cbranch_execz .LBB101_97
; %bb.94:
	s_mov_b32 s19, exec_lo
	s_waitcnt vmcnt(0)
	v_cmpx_o_f16_e32 v9, v9
; %bb.95:
	v_cmp_lt_f16_e64 s8, v9, v4
	v_cndmask_b32_e64 v9, v4, v9, s8
; %bb.96:
	s_or_b32 exec_lo, exec_lo, s19
	v_mov_b32_e32 v4, v9
.LBB101_97:
	s_or_b32 exec_lo, exec_lo, s18
	s_or_b32 exec_lo, exec_lo, s11
	s_and_saveexec_b32 s8, s5
	s_cbranch_execz .LBB101_86
.LBB101_98:
	s_mov_b32 s11, exec_lo
	v_cmpx_o_f16_e32 v4, v4
	s_cbranch_execz .LBB101_102
; %bb.99:
	s_mov_b32 s18, exec_lo
	s_waitcnt vmcnt(0)
	v_cmpx_o_f16_e32 v8, v8
; %bb.100:
	v_cmp_lt_f16_e64 s5, v8, v4
	v_cndmask_b32_e64 v8, v4, v8, s5
; %bb.101:
	s_or_b32 exec_lo, exec_lo, s18
	v_mov_b32_e32 v4, v8
.LBB101_102:
	s_or_b32 exec_lo, exec_lo, s11
	s_or_b32 exec_lo, exec_lo, s8
	s_and_saveexec_b32 s5, s4
	s_cbranch_execz .LBB101_87
.LBB101_103:
	s_mov_b32 s8, exec_lo
	v_cmpx_o_f16_e32 v4, v4
	s_cbranch_execz .LBB101_107
; %bb.104:
	s_mov_b32 s11, exec_lo
	s_waitcnt vmcnt(0)
	v_cmpx_o_f16_e32 v7, v7
; %bb.105:
	v_cmp_lt_f16_e64 s4, v7, v4
	v_cndmask_b32_e64 v7, v4, v7, s4
; %bb.106:
	s_or_b32 exec_lo, exec_lo, s11
	v_mov_b32_e32 v4, v7
.LBB101_107:
	s_or_b32 exec_lo, exec_lo, s8
	s_or_b32 exec_lo, exec_lo, s5
	s_and_saveexec_b32 s4, s3
	s_cbranch_execz .LBB101_88
.LBB101_108:
	s_mov_b32 s5, exec_lo
	v_cmpx_o_f16_e32 v4, v4
	s_cbranch_execz .LBB101_112
; %bb.109:
	s_mov_b32 s8, exec_lo
	s_waitcnt vmcnt(0)
	v_cmpx_o_f16_e32 v6, v6
; %bb.110:
	v_cmp_lt_f16_e64 s3, v6, v4
	v_cndmask_b32_e64 v6, v4, v6, s3
; %bb.111:
	s_or_b32 exec_lo, exec_lo, s8
	v_mov_b32_e32 v4, v6
.LBB101_112:
	s_or_b32 exec_lo, exec_lo, s5
	s_or_b32 exec_lo, exec_lo, s4
	s_and_saveexec_b32 s3, s2
	s_cbranch_execz .LBB101_89
.LBB101_113:
	s_mov_b32 s4, exec_lo
	v_cmpx_o_f16_e32 v4, v4
	s_cbranch_execz .LBB101_117
; %bb.114:
	s_mov_b32 s5, exec_lo
	s_waitcnt vmcnt(0)
	v_cmpx_o_f16_e32 v5, v5
; %bb.115:
	v_cmp_lt_f16_e64 s2, v5, v4
	v_cndmask_b32_e64 v5, v4, v5, s2
; %bb.116:
	s_or_b32 exec_lo, exec_lo, s5
	v_mov_b32_e32 v4, v5
.LBB101_117:
	s_or_b32 exec_lo, exec_lo, s4
	s_or_b32 exec_lo, exec_lo, s3
	s_and_saveexec_b32 s2, s1
	s_cbranch_execz .LBB101_90
.LBB101_118:
	s_mov_b32 s3, exec_lo
	v_cmpx_o_f16_e32 v4, v4
	s_cbranch_execz .LBB101_122
; %bb.119:
	s_mov_b32 s4, exec_lo
	s_waitcnt vmcnt(0)
	v_cmpx_o_f16_e32 v3, v3
; %bb.120:
	v_cmp_lt_f16_e64 s1, v3, v4
	v_cndmask_b32_e64 v3, v4, v3, s1
; %bb.121:
	s_or_b32 exec_lo, exec_lo, s4
	v_mov_b32_e32 v4, v3
.LBB101_122:
	s_or_b32 exec_lo, exec_lo, s3
	s_or_b32 exec_lo, exec_lo, s2
	s_and_saveexec_b32 s1, s0
	s_cbranch_execz .LBB101_91
.LBB101_123:
	s_mov_b32 s2, exec_lo
	v_cmpx_o_f16_e32 v4, v4
	s_cbranch_execz .LBB101_127
; %bb.124:
	s_mov_b32 s3, exec_lo
	s_waitcnt vmcnt(0)
	v_cmpx_o_f16_e32 v2, v2
; %bb.125:
	v_cmp_lt_f16_e64 s0, v2, v4
	v_cndmask_b32_e64 v2, v4, v2, s0
; %bb.126:
	s_or_b32 exec_lo, exec_lo, s3
	v_mov_b32_e32 v4, v2
.LBB101_127:
	s_or_b32 exec_lo, exec_lo, s2
	s_or_b32 exec_lo, exec_lo, s1
	s_and_saveexec_b32 s0, vcc_lo
	s_cbranch_execz .LBB101_133
.LBB101_128:
	s_mov_b32 s1, exec_lo
	v_cmpx_o_f16_e32 v4, v4
	s_cbranch_execz .LBB101_132
; %bb.129:
	s_mov_b32 s2, exec_lo
	s_waitcnt vmcnt(0)
	v_cmpx_o_f16_e32 v1, v1
; %bb.130:
	v_cmp_lt_f16_e32 vcc_lo, v1, v4
	v_cndmask_b32_e32 v1, v4, v1, vcc_lo
; %bb.131:
	s_or_b32 exec_lo, exec_lo, s2
	v_mov_b32_e32 v4, v1
.LBB101_132:
	s_or_b32 exec_lo, exec_lo, s1
.LBB101_133:
	s_or_b32 exec_lo, exec_lo, s0
	s_waitcnt vmcnt(0)
	v_and_b32_e32 v1, 0xffff, v4
	s_mov_b32 s0, exec_lo
	v_mov_b32_dpp v1, v1 quad_perm:[1,0,3,2] row_mask:0xf bank_mask:0xf
	v_cmpx_o_f16_e32 v1, v1
	s_xor_b32 s0, exec_lo, s0
	s_cbranch_execz .LBB101_137
; %bb.134:
	s_mov_b32 s1, exec_lo
	v_cmpx_o_f16_e32 v4, v4
; %bb.135:
	v_cmp_lt_f16_e32 vcc_lo, v4, v1
	v_cndmask_b32_e32 v4, v1, v4, vcc_lo
; %bb.136:
	s_or_b32 exec_lo, exec_lo, s1
	v_mov_b32_e32 v1, v4
.LBB101_137:
	s_or_b32 exec_lo, exec_lo, s0
	v_and_b32_e32 v2, 0xffff, v1
	s_mov_b32 s0, exec_lo
	v_mov_b32_dpp v2, v2 quad_perm:[2,3,0,1] row_mask:0xf bank_mask:0xf
	v_cmpx_o_f16_e32 v2, v2
	s_cbranch_execz .LBB101_141
; %bb.138:
	s_mov_b32 s1, exec_lo
	v_cmpx_o_f16_e32 v1, v1
; %bb.139:
	v_cmp_lt_f16_e32 vcc_lo, v1, v2
	v_cndmask_b32_e32 v1, v2, v1, vcc_lo
; %bb.140:
	s_or_b32 exec_lo, exec_lo, s1
	v_mov_b32_e32 v2, v1
.LBB101_141:
	s_or_b32 exec_lo, exec_lo, s0
	v_and_b32_e32 v1, 0xffff, v2
	s_mov_b32 s0, exec_lo
	v_mov_b32_dpp v1, v1 row_ror:4 row_mask:0xf bank_mask:0xf
	v_cmpx_o_f16_e32 v1, v1
	s_cbranch_execz .LBB101_145
; %bb.142:
	s_mov_b32 s1, exec_lo
	v_cmpx_o_f16_e32 v2, v2
; %bb.143:
	v_cmp_lt_f16_e32 vcc_lo, v2, v1
	v_cndmask_b32_e32 v2, v1, v2, vcc_lo
; %bb.144:
	s_or_b32 exec_lo, exec_lo, s1
	v_mov_b32_e32 v1, v2
.LBB101_145:
	s_or_b32 exec_lo, exec_lo, s0
	v_and_b32_e32 v2, 0xffff, v1
	s_mov_b32 s0, exec_lo
	v_mov_b32_dpp v2, v2 row_ror:8 row_mask:0xf bank_mask:0xf
	v_cmpx_o_f16_e32 v2, v2
	s_cbranch_execz .LBB101_149
; %bb.146:
	s_mov_b32 s1, exec_lo
	v_cmpx_o_f16_e32 v1, v1
; %bb.147:
	v_cmp_lt_f16_e32 vcc_lo, v1, v2
	v_cndmask_b32_e32 v1, v2, v1, vcc_lo
; %bb.148:
	s_or_b32 exec_lo, exec_lo, s1
	v_mov_b32_e32 v2, v1
.LBB101_149:
	s_or_b32 exec_lo, exec_lo, s0
	v_and_b32_e32 v1, 0xffff, v2
	s_mov_b32 s0, exec_lo
	ds_swizzle_b32 v1, v1 offset:swizzle(BROADCAST,32,15)
	s_waitcnt lgkmcnt(0)
	v_cmpx_o_f16_e32 v1, v1
	s_cbranch_execz .LBB101_153
; %bb.150:
	s_mov_b32 s1, exec_lo
	v_cmpx_o_f16_e32 v2, v2
; %bb.151:
	v_cmp_lt_f16_e32 vcc_lo, v2, v1
	v_cndmask_b32_e32 v2, v1, v2, vcc_lo
; %bb.152:
	s_or_b32 exec_lo, exec_lo, s1
	v_mov_b32_e32 v1, v2
.LBB101_153:
	s_or_b32 exec_lo, exec_lo, s0
	v_and_b32_e32 v1, 0xffff, v1
	v_mov_b32_e32 v2, 0
	s_mov_b32 s0, exec_lo
	ds_bpermute_b32 v2, v2, v1 offset:124
	v_mbcnt_lo_u32_b32 v1, -1, 0
	v_cmpx_eq_u32_e32 0, v1
	s_cbranch_execz .LBB101_155
; %bb.154:
	v_lshrrev_b32_e32 v3, 4, v0
	v_and_b32_e32 v3, 14, v3
	s_waitcnt lgkmcnt(0)
	ds_write_b16 v3, v2
.LBB101_155:
	s_or_b32 exec_lo, exec_lo, s0
	s_mov_b32 s0, exec_lo
	s_waitcnt lgkmcnt(0)
	s_barrier
	buffer_gl0_inv
	v_cmpx_gt_u32_e32 32, v0
	s_cbranch_execz .LBB101_169
; %bb.156:
	v_and_b32_e32 v3, 7, v1
	s_mov_b32 s1, exec_lo
	v_lshlrev_b32_e32 v2, 1, v3
	v_cmp_ne_u32_e32 vcc_lo, 7, v3
	ds_read_u16 v2, v2
	v_add_co_ci_u32_e64 v4, null, 0, v1, vcc_lo
	v_lshlrev_b32_e32 v4, 2, v4
	s_waitcnt lgkmcnt(0)
	v_and_b32_e32 v5, 0xffff, v2
	ds_bpermute_b32 v4, v4, v5
	v_cmpx_o_f16_e32 v2, v2
	s_cbranch_execz .LBB101_160
; %bb.157:
	s_mov_b32 s2, exec_lo
	s_waitcnt lgkmcnt(0)
	v_cmpx_o_f16_e32 v4, v4
; %bb.158:
	v_cmp_gt_f16_e32 vcc_lo, v2, v4
	v_cndmask_b32_e32 v4, v2, v4, vcc_lo
; %bb.159:
	s_or_b32 exec_lo, exec_lo, s2
	v_mov_b32_e32 v2, v4
.LBB101_160:
	s_or_b32 exec_lo, exec_lo, s1
	v_cmp_gt_u32_e32 vcc_lo, 6, v3
	s_waitcnt lgkmcnt(0)
	v_and_b32_e32 v4, 0xffff, v2
	s_mov_b32 s1, exec_lo
	v_cndmask_b32_e64 v3, 0, 2, vcc_lo
	v_add_lshl_u32 v3, v3, v1, 2
	v_lshlrev_b32_e32 v1, 2, v1
	ds_bpermute_b32 v3, v3, v4
	v_cmpx_o_f16_e32 v2, v2
	s_cbranch_execz .LBB101_164
; %bb.161:
	s_mov_b32 s2, exec_lo
	s_waitcnt lgkmcnt(0)
	v_cmpx_o_f16_e32 v3, v3
; %bb.162:
	v_cmp_gt_f16_e32 vcc_lo, v2, v3
	v_cndmask_b32_e32 v3, v2, v3, vcc_lo
; %bb.163:
	s_or_b32 exec_lo, exec_lo, s2
	v_mov_b32_e32 v2, v3
.LBB101_164:
	s_or_b32 exec_lo, exec_lo, s1
	v_or_b32_e32 v1, 16, v1
	s_waitcnt lgkmcnt(0)
	v_and_b32_e32 v3, 0xffff, v2
	s_mov_b32 s1, exec_lo
	ds_bpermute_b32 v1, v1, v3
	v_cmpx_o_f16_e32 v2, v2
	s_cbranch_execz .LBB101_168
; %bb.165:
	s_mov_b32 s2, exec_lo
	s_waitcnt lgkmcnt(0)
	v_cmpx_o_f16_e32 v1, v1
; %bb.166:
	v_cmp_gt_f16_e32 vcc_lo, v2, v1
	v_cndmask_b32_e32 v1, v2, v1, vcc_lo
; %bb.167:
	s_or_b32 exec_lo, exec_lo, s2
	v_mov_b32_e32 v2, v1
.LBB101_168:
	s_or_b32 exec_lo, exec_lo, s1
.LBB101_169:
	s_or_b32 exec_lo, exec_lo, s0
	s_branch .LBB101_272
.LBB101_170:
	s_sub_i32 s0, s21, s10
	s_mov_b32 s1, exec_lo
                                        ; implicit-def: $vgpr4
	v_cmpx_gt_u32_e64 s0, v0
	s_cbranch_execz .LBB101_180
; %bb.171:
	s_waitcnt lgkmcnt(0)
	v_add_nc_u32_e32 v1, s10, v0
	s_mov_b32 s2, exec_lo
	v_ashrrev_i32_e32 v2, 31, v1
	v_lshlrev_b64 v[2:3], 1, v[1:2]
	v_add_nc_u32_e32 v1, 0x100, v1
	v_add_co_u32 v2, vcc_lo, s12, v2
	v_add_co_ci_u32_e64 v3, null, s13, v3, vcc_lo
	global_load_ushort v4, v[2:3], off
	v_cmpx_gt_i32_e64 s21, v1
	s_cbranch_execz .LBB101_179
; %bb.172:
	s_mov_b32 s3, 0
	s_inst_prefetch 0x1
	s_branch .LBB101_175
	.p2align	6
.LBB101_173:                            ;   in Loop: Header=BB101_175 Depth=1
	s_or_b32 exec_lo, exec_lo, s5
	v_mov_b32_e32 v4, v2
.LBB101_174:                            ;   in Loop: Header=BB101_175 Depth=1
	s_or_b32 exec_lo, exec_lo, s4
	v_add_nc_u32_e32 v1, 0x100, v1
	v_cmp_le_i32_e32 vcc_lo, s21, v1
	s_or_b32 s3, vcc_lo, s3
	s_andn2_b32 exec_lo, exec_lo, s3
	s_cbranch_execz .LBB101_178
.LBB101_175:                            ; =>This Inner Loop Header: Depth=1
	s_mov_b32 s4, exec_lo
	s_waitcnt vmcnt(0)
	v_cmpx_o_f16_e32 v4, v4
	s_cbranch_execz .LBB101_174
; %bb.176:                              ;   in Loop: Header=BB101_175 Depth=1
	v_ashrrev_i32_e32 v2, 31, v1
	s_mov_b32 s5, exec_lo
	v_lshlrev_b64 v[2:3], 1, v[1:2]
	v_add_co_u32 v2, vcc_lo, s12, v2
	v_add_co_ci_u32_e64 v3, null, s13, v3, vcc_lo
	global_load_ushort v2, v[2:3], off
	s_waitcnt vmcnt(0)
	v_cmpx_o_f16_e32 v2, v2
	s_cbranch_execz .LBB101_173
; %bb.177:                              ;   in Loop: Header=BB101_175 Depth=1
	v_cmp_lt_f16_e32 vcc_lo, v2, v4
	v_cndmask_b32_e32 v2, v4, v2, vcc_lo
	s_branch .LBB101_173
.LBB101_178:
	s_inst_prefetch 0x2
	s_or_b32 exec_lo, exec_lo, s3
.LBB101_179:
	s_or_b32 exec_lo, exec_lo, s2
.LBB101_180:
	s_or_b32 exec_lo, exec_lo, s1
	v_lshrrev_b32_e32 v3, 5, v0
	s_waitcnt lgkmcnt(0)
	v_mbcnt_lo_u32_b32 v1, -1, 0
	s_waitcnt vmcnt(0)
	v_and_b32_e32 v5, 0xffff, v4
	s_cmpk_lt_u32 s0, 0x100
	s_mov_b32 s1, -1
                                        ; implicit-def: $vgpr2
	s_cbranch_scc0 .LBB101_234
; %bb.181:
	v_cmp_ne_u32_e32 vcc_lo, 31, v1
	v_mov_b32_e32 v8, v5
	v_add_co_ci_u32_e64 v2, null, 0, v1, vcc_lo
	v_lshlrev_b32_e32 v2, 2, v2
	ds_bpermute_b32 v7, v2, v5
	v_and_b32_e32 v2, 0xe0, v0
	v_sub_nc_u32_e64 v6, s0, v2 clamp
	v_add_nc_u32_e32 v2, 1, v1
	v_cmp_lt_u32_e32 vcc_lo, v2, v6
	v_mov_b32_e32 v2, v4
	s_and_saveexec_b32 s1, vcc_lo
	s_cbranch_execz .LBB101_187
; %bb.182:
	v_mov_b32_e32 v2, v4
	s_mov_b32 s2, exec_lo
	v_cmpx_o_f16_e32 v4, v4
	s_cbranch_execz .LBB101_186
; %bb.183:
	s_mov_b32 s3, exec_lo
	s_waitcnt lgkmcnt(0)
	v_cmpx_o_f16_e32 v7, v7
; %bb.184:
	v_cmp_gt_f16_e32 vcc_lo, v4, v7
	v_cndmask_b32_e32 v7, v4, v7, vcc_lo
; %bb.185:
	s_or_b32 exec_lo, exec_lo, s3
	v_mov_b32_e32 v2, v7
.LBB101_186:
	s_or_b32 exec_lo, exec_lo, s2
	v_and_b32_e32 v8, 0xffff, v2
.LBB101_187:
	s_or_b32 exec_lo, exec_lo, s1
	v_cmp_gt_u32_e32 vcc_lo, 30, v1
	v_add_nc_u32_e32 v9, 2, v1
	s_mov_b32 s1, exec_lo
	s_waitcnt lgkmcnt(0)
	v_cndmask_b32_e64 v7, 0, 2, vcc_lo
	v_add_lshl_u32 v7, v7, v1, 2
	ds_bpermute_b32 v7, v7, v8
	v_cmpx_lt_u32_e64 v9, v6
	s_cbranch_execz .LBB101_193
; %bb.188:
	s_mov_b32 s2, exec_lo
	v_cmpx_o_f16_e32 v2, v2
	s_cbranch_execz .LBB101_192
; %bb.189:
	s_mov_b32 s3, exec_lo
	s_waitcnt lgkmcnt(0)
	v_cmpx_o_f16_e32 v7, v7
; %bb.190:
	v_cmp_gt_f16_e32 vcc_lo, v2, v7
	v_cndmask_b32_e32 v7, v2, v7, vcc_lo
; %bb.191:
	s_or_b32 exec_lo, exec_lo, s3
	v_mov_b32_e32 v2, v7
.LBB101_192:
	s_or_b32 exec_lo, exec_lo, s2
	v_and_b32_e32 v8, 0xffff, v2
.LBB101_193:
	s_or_b32 exec_lo, exec_lo, s1
	v_cmp_gt_u32_e32 vcc_lo, 28, v1
	v_add_nc_u32_e32 v9, 4, v1
	s_mov_b32 s1, exec_lo
	s_waitcnt lgkmcnt(0)
	v_cndmask_b32_e64 v7, 0, 4, vcc_lo
	v_add_lshl_u32 v7, v7, v1, 2
	ds_bpermute_b32 v7, v7, v8
	v_cmpx_lt_u32_e64 v9, v6
	s_cbranch_execz .LBB101_199
; %bb.194:
	s_mov_b32 s2, exec_lo
	v_cmpx_o_f16_e32 v2, v2
	s_cbranch_execz .LBB101_198
; %bb.195:
	s_mov_b32 s3, exec_lo
	s_waitcnt lgkmcnt(0)
	v_cmpx_o_f16_e32 v7, v7
; %bb.196:
	v_cmp_gt_f16_e32 vcc_lo, v2, v7
	v_cndmask_b32_e32 v7, v2, v7, vcc_lo
; %bb.197:
	s_or_b32 exec_lo, exec_lo, s3
	v_mov_b32_e32 v2, v7
.LBB101_198:
	s_or_b32 exec_lo, exec_lo, s2
	v_and_b32_e32 v8, 0xffff, v2
.LBB101_199:
	;; [unrolled: 28-line block ×3, first 2 shown]
	s_or_b32 exec_lo, exec_lo, s1
	s_waitcnt lgkmcnt(0)
	v_lshlrev_b32_e32 v7, 2, v1
	s_mov_b32 s1, exec_lo
	v_or_b32_e32 v9, 64, v7
	ds_bpermute_b32 v8, v9, v8
	v_add_nc_u32_e32 v9, 16, v1
	v_cmpx_lt_u32_e64 v9, v6
	s_cbranch_execz .LBB101_211
; %bb.206:
	s_mov_b32 s2, exec_lo
	v_cmpx_o_f16_e32 v2, v2
	s_cbranch_execz .LBB101_210
; %bb.207:
	s_mov_b32 s3, exec_lo
	s_waitcnt lgkmcnt(0)
	v_cmpx_o_f16_e32 v8, v8
; %bb.208:
	v_cmp_gt_f16_e32 vcc_lo, v2, v8
	v_cndmask_b32_e32 v8, v2, v8, vcc_lo
; %bb.209:
	s_or_b32 exec_lo, exec_lo, s3
	v_mov_b32_e32 v2, v8
.LBB101_210:
	s_or_b32 exec_lo, exec_lo, s2
.LBB101_211:
	s_or_b32 exec_lo, exec_lo, s1
	s_mov_b32 s1, exec_lo
	v_cmpx_eq_u32_e32 0, v1
; %bb.212:
	v_lshlrev_b32_e32 v6, 1, v3
	ds_write_b16 v6, v2
; %bb.213:
	s_or_b32 exec_lo, exec_lo, s1
	s_mov_b32 s1, exec_lo
	s_waitcnt lgkmcnt(0)
	s_barrier
	buffer_gl0_inv
	v_cmpx_gt_u32_e32 8, v0
	s_cbranch_execz .LBB101_233
; %bb.214:
	v_lshlrev_b32_e32 v2, 1, v1
	v_and_b32_e32 v6, 7, v1
	s_add_i32 s0, s0, 31
	s_mov_b32 s2, exec_lo
	s_lshr_b32 s0, s0, 5
	ds_read_u16 v2, v2
	v_cmp_ne_u32_e32 vcc_lo, 7, v6
	v_add_nc_u32_e32 v10, 1, v6
	v_add_co_ci_u32_e64 v8, null, 0, v1, vcc_lo
	v_lshlrev_b32_e32 v9, 2, v8
	s_waitcnt lgkmcnt(0)
	v_and_b32_e32 v8, 0xffff, v2
	ds_bpermute_b32 v9, v9, v8
	v_cmpx_gt_u32_e64 s0, v10
	s_cbranch_execz .LBB101_220
; %bb.215:
	s_mov_b32 s3, exec_lo
	v_cmpx_o_f16_e32 v2, v2
	s_cbranch_execz .LBB101_219
; %bb.216:
	s_mov_b32 s4, exec_lo
	s_waitcnt lgkmcnt(0)
	v_cmpx_o_f16_e32 v9, v9
; %bb.217:
	v_cmp_gt_f16_e32 vcc_lo, v2, v9
	v_cndmask_b32_e32 v9, v2, v9, vcc_lo
; %bb.218:
	s_or_b32 exec_lo, exec_lo, s4
	v_mov_b32_e32 v2, v9
.LBB101_219:
	s_or_b32 exec_lo, exec_lo, s3
	v_and_b32_e32 v8, 0xffff, v2
.LBB101_220:
	s_or_b32 exec_lo, exec_lo, s2
	v_cmp_gt_u32_e32 vcc_lo, 6, v6
	v_add_nc_u32_e32 v10, 2, v6
	s_mov_b32 s2, exec_lo
	s_waitcnt lgkmcnt(0)
	v_cndmask_b32_e64 v9, 0, 2, vcc_lo
	v_add_lshl_u32 v9, v9, v1, 2
	ds_bpermute_b32 v9, v9, v8
	v_cmpx_gt_u32_e64 s0, v10
	s_cbranch_execz .LBB101_226
; %bb.221:
	s_mov_b32 s3, exec_lo
	v_cmpx_o_f16_e32 v2, v2
	s_cbranch_execz .LBB101_225
; %bb.222:
	s_mov_b32 s4, exec_lo
	s_waitcnt lgkmcnt(0)
	v_cmpx_o_f16_e32 v9, v9
; %bb.223:
	v_cmp_gt_f16_e32 vcc_lo, v2, v9
	v_cndmask_b32_e32 v9, v2, v9, vcc_lo
; %bb.224:
	s_or_b32 exec_lo, exec_lo, s4
	v_mov_b32_e32 v2, v9
.LBB101_225:
	s_or_b32 exec_lo, exec_lo, s3
	v_and_b32_e32 v8, 0xffff, v2
.LBB101_226:
	s_or_b32 exec_lo, exec_lo, s2
	v_or_b32_e32 v7, 16, v7
	v_add_nc_u32_e32 v6, 4, v6
	ds_bpermute_b32 v7, v7, v8
	v_cmp_gt_u32_e32 vcc_lo, s0, v6
	s_and_saveexec_b32 s0, vcc_lo
	s_cbranch_execz .LBB101_232
; %bb.227:
	s_mov_b32 s2, exec_lo
	v_cmpx_o_f16_e32 v2, v2
	s_cbranch_execz .LBB101_231
; %bb.228:
	s_mov_b32 s3, exec_lo
	s_waitcnt lgkmcnt(0)
	v_cmpx_o_f16_e32 v7, v7
; %bb.229:
	v_cmp_gt_f16_e32 vcc_lo, v2, v7
	v_cndmask_b32_e32 v7, v2, v7, vcc_lo
; %bb.230:
	s_or_b32 exec_lo, exec_lo, s3
	v_mov_b32_e32 v2, v7
.LBB101_231:
	s_or_b32 exec_lo, exec_lo, s2
.LBB101_232:
	s_or_b32 exec_lo, exec_lo, s0
.LBB101_233:
	s_or_b32 exec_lo, exec_lo, s1
	s_mov_b32 s1, 0
.LBB101_234:
	s_and_b32 vcc_lo, exec_lo, s1
	s_cbranch_vccz .LBB101_272
; %bb.235:
	v_mov_b32_dpp v2, v5 quad_perm:[1,0,3,2] row_mask:0xf bank_mask:0xf
	s_mov_b32 s0, exec_lo
	v_cmpx_o_f16_e32 v2, v2
	s_cbranch_execz .LBB101_239
; %bb.236:
	s_mov_b32 s1, exec_lo
	v_cmpx_o_f16_e32 v4, v4
; %bb.237:
	v_cmp_lt_f16_e32 vcc_lo, v4, v2
	v_cndmask_b32_e32 v4, v2, v4, vcc_lo
; %bb.238:
	s_or_b32 exec_lo, exec_lo, s1
	v_mov_b32_e32 v2, v4
.LBB101_239:
	s_or_b32 exec_lo, exec_lo, s0
	v_and_b32_e32 v4, 0xffff, v2
	s_mov_b32 s0, exec_lo
	v_mov_b32_dpp v4, v4 quad_perm:[2,3,0,1] row_mask:0xf bank_mask:0xf
	v_cmpx_o_f16_e32 v4, v4
	s_cbranch_execz .LBB101_243
; %bb.240:
	s_mov_b32 s1, exec_lo
	v_cmpx_o_f16_e32 v2, v2
; %bb.241:
	v_cmp_lt_f16_e32 vcc_lo, v2, v4
	v_cndmask_b32_e32 v2, v4, v2, vcc_lo
; %bb.242:
	s_or_b32 exec_lo, exec_lo, s1
	v_mov_b32_e32 v4, v2
.LBB101_243:
	s_or_b32 exec_lo, exec_lo, s0
	v_and_b32_e32 v2, 0xffff, v4
	s_mov_b32 s0, exec_lo
	v_mov_b32_dpp v2, v2 row_ror:4 row_mask:0xf bank_mask:0xf
	v_cmpx_o_f16_e32 v2, v2
	s_cbranch_execz .LBB101_247
; %bb.244:
	s_mov_b32 s1, exec_lo
	v_cmpx_o_f16_e32 v4, v4
; %bb.245:
	v_cmp_lt_f16_e32 vcc_lo, v4, v2
	v_cndmask_b32_e32 v4, v2, v4, vcc_lo
; %bb.246:
	s_or_b32 exec_lo, exec_lo, s1
	v_mov_b32_e32 v2, v4
.LBB101_247:
	s_or_b32 exec_lo, exec_lo, s0
	v_and_b32_e32 v4, 0xffff, v2
	s_mov_b32 s0, exec_lo
	v_mov_b32_dpp v4, v4 row_ror:8 row_mask:0xf bank_mask:0xf
	v_cmpx_o_f16_e32 v4, v4
	s_cbranch_execz .LBB101_251
; %bb.248:
	s_mov_b32 s1, exec_lo
	v_cmpx_o_f16_e32 v2, v2
; %bb.249:
	v_cmp_lt_f16_e32 vcc_lo, v2, v4
	v_cndmask_b32_e32 v2, v4, v2, vcc_lo
; %bb.250:
	s_or_b32 exec_lo, exec_lo, s1
	v_mov_b32_e32 v4, v2
.LBB101_251:
	s_or_b32 exec_lo, exec_lo, s0
	v_and_b32_e32 v2, 0xffff, v4
	s_mov_b32 s0, exec_lo
	ds_swizzle_b32 v2, v2 offset:swizzle(BROADCAST,32,15)
	s_waitcnt lgkmcnt(0)
	v_cmpx_o_f16_e32 v2, v2
	s_cbranch_execz .LBB101_255
; %bb.252:
	s_mov_b32 s1, exec_lo
	v_cmpx_o_f16_e32 v4, v4
; %bb.253:
	v_cmp_lt_f16_e32 vcc_lo, v4, v2
	v_cndmask_b32_e32 v4, v2, v4, vcc_lo
; %bb.254:
	s_or_b32 exec_lo, exec_lo, s1
	v_mov_b32_e32 v2, v4
.LBB101_255:
	s_or_b32 exec_lo, exec_lo, s0
	v_and_b32_e32 v2, 0xffff, v2
	v_mov_b32_e32 v4, 0
	s_mov_b32 s0, exec_lo
	ds_bpermute_b32 v2, v4, v2 offset:124
	v_cmpx_eq_u32_e32 0, v1
	s_cbranch_execz .LBB101_257
; %bb.256:
	v_lshlrev_b32_e32 v3, 1, v3
	s_waitcnt lgkmcnt(0)
	ds_write_b16 v3, v2
.LBB101_257:
	s_or_b32 exec_lo, exec_lo, s0
	s_mov_b32 s0, exec_lo
	s_waitcnt lgkmcnt(0)
	s_barrier
	buffer_gl0_inv
	v_cmpx_gt_u32_e32 32, v0
	s_cbranch_execz .LBB101_271
; %bb.258:
	v_and_b32_e32 v3, 7, v1
	s_mov_b32 s1, exec_lo
	v_lshlrev_b32_e32 v2, 1, v3
	v_cmp_ne_u32_e32 vcc_lo, 7, v3
	ds_read_u16 v2, v2
	v_add_co_ci_u32_e64 v4, null, 0, v1, vcc_lo
	v_lshlrev_b32_e32 v4, 2, v4
	s_waitcnt lgkmcnt(0)
	v_and_b32_e32 v5, 0xffff, v2
	ds_bpermute_b32 v4, v4, v5
	v_cmpx_o_f16_e32 v2, v2
	s_cbranch_execz .LBB101_262
; %bb.259:
	s_mov_b32 s2, exec_lo
	s_waitcnt lgkmcnt(0)
	v_cmpx_o_f16_e32 v4, v4
; %bb.260:
	v_cmp_gt_f16_e32 vcc_lo, v2, v4
	v_cndmask_b32_e32 v4, v2, v4, vcc_lo
; %bb.261:
	s_or_b32 exec_lo, exec_lo, s2
	v_mov_b32_e32 v2, v4
.LBB101_262:
	s_or_b32 exec_lo, exec_lo, s1
	v_cmp_gt_u32_e32 vcc_lo, 6, v3
	s_waitcnt lgkmcnt(0)
	v_and_b32_e32 v4, 0xffff, v2
	s_mov_b32 s1, exec_lo
	v_cndmask_b32_e64 v3, 0, 2, vcc_lo
	v_add_lshl_u32 v3, v3, v1, 2
	v_lshlrev_b32_e32 v1, 2, v1
	ds_bpermute_b32 v3, v3, v4
	v_cmpx_o_f16_e32 v2, v2
	s_cbranch_execz .LBB101_266
; %bb.263:
	s_mov_b32 s2, exec_lo
	s_waitcnt lgkmcnt(0)
	v_cmpx_o_f16_e32 v3, v3
; %bb.264:
	v_cmp_gt_f16_e32 vcc_lo, v2, v3
	v_cndmask_b32_e32 v3, v2, v3, vcc_lo
; %bb.265:
	s_or_b32 exec_lo, exec_lo, s2
	v_mov_b32_e32 v2, v3
.LBB101_266:
	s_or_b32 exec_lo, exec_lo, s1
	v_or_b32_e32 v1, 16, v1
	s_waitcnt lgkmcnt(0)
	v_and_b32_e32 v3, 0xffff, v2
	s_mov_b32 s1, exec_lo
	ds_bpermute_b32 v1, v1, v3
	v_cmpx_o_f16_e32 v2, v2
	s_cbranch_execz .LBB101_270
; %bb.267:
	s_mov_b32 s2, exec_lo
	s_waitcnt lgkmcnt(0)
	v_cmpx_o_f16_e32 v1, v1
; %bb.268:
	v_cmp_gt_f16_e32 vcc_lo, v2, v1
	v_cndmask_b32_e32 v1, v2, v1, vcc_lo
; %bb.269:
	s_or_b32 exec_lo, exec_lo, s2
	v_mov_b32_e32 v2, v1
.LBB101_270:
	s_or_b32 exec_lo, exec_lo, s1
.LBB101_271:
	s_or_b32 exec_lo, exec_lo, s0
.LBB101_272:
	s_mov_b32 s0, exec_lo
                                        ; implicit-def: $vgpr1
	v_cmpx_eq_u32_e32 0, v0
	s_cbranch_execz .LBB101_278
; %bb.273:
	v_cmp_u_f16_e64 s1, s9, s9
	s_waitcnt lgkmcnt(0)
	v_mov_b32_e32 v1, s9
	s_and_b32 vcc_lo, exec_lo, s1
	s_cbranch_vccnz .LBB101_277
; %bb.274:
	s_mov_b32 s1, exec_lo
	v_cmpx_o_f16_e32 v2, v2
; %bb.275:
	v_cmp_gt_f16_e32 vcc_lo, s9, v2
	v_cndmask_b32_e32 v2, s9, v2, vcc_lo
; %bb.276:
	s_or_b32 exec_lo, exec_lo, s1
	v_mov_b32_e32 v1, v2
.LBB101_277:
	s_or_b32 s20, s20, exec_lo
.LBB101_278:
	s_or_b32 exec_lo, exec_lo, s0
	s_and_saveexec_b32 s0, s20
	s_cbranch_execz .LBB101_280
.LBB101_279:
	s_lshl_b64 s[0:1], s[16:17], 1
	v_mov_b32_e32 v0, 0
	s_add_u32 s2, s14, s0
	s_addc_u32 s3, s15, s1
	s_lshl_b64 s[0:1], s[6:7], 1
	s_add_u32 s0, s2, s0
	s_addc_u32 s1, s3, s1
	s_waitcnt lgkmcnt(0)
	global_store_short v0, v1, s[0:1]
.LBB101_280:
	s_endpgm
	.section	.rodata,"a",@progbits
	.p2align	6, 0x0
	.amdhsa_kernel _ZN7rocprim17ROCPRIM_400000_NS6detail17trampoline_kernelINS0_14default_configENS1_32segmented_reduce_config_selectorIN3c104HalfEEEZNS1_21segmented_reduce_implIS3_PKS6_PS6_PKiS6_N6hipcub16HIPCUB_304000_NS6detail27convert_result_type_wrapperISA_SB_N2at6native12_GLOBAL__N_19CustomMinEEEEE10hipError_tPvRmT0_T1_jT2_SS_T4_T3_P12ihipStream_tbEUlT_E_NS1_11comp_targetILNS1_3genE8ELNS1_11target_archE1030ELNS1_3gpuE2ELNS1_3repE0EEENS1_30default_config_static_selectorELNS0_4arch9wavefront6targetE0EEEvSR_
		.amdhsa_group_segment_fixed_size 16
		.amdhsa_private_segment_fixed_size 0
		.amdhsa_kernarg_size 48
		.amdhsa_user_sgpr_count 6
		.amdhsa_user_sgpr_private_segment_buffer 1
		.amdhsa_user_sgpr_dispatch_ptr 0
		.amdhsa_user_sgpr_queue_ptr 0
		.amdhsa_user_sgpr_kernarg_segment_ptr 1
		.amdhsa_user_sgpr_dispatch_id 0
		.amdhsa_user_sgpr_flat_scratch_init 0
		.amdhsa_user_sgpr_private_segment_size 0
		.amdhsa_wavefront_size32 1
		.amdhsa_uses_dynamic_stack 0
		.amdhsa_system_sgpr_private_segment_wavefront_offset 0
		.amdhsa_system_sgpr_workgroup_id_x 1
		.amdhsa_system_sgpr_workgroup_id_y 0
		.amdhsa_system_sgpr_workgroup_id_z 0
		.amdhsa_system_sgpr_workgroup_info 0
		.amdhsa_system_vgpr_workitem_id 0
		.amdhsa_next_free_vgpr 15
		.amdhsa_next_free_sgpr 23
		.amdhsa_reserve_vcc 1
		.amdhsa_reserve_flat_scratch 0
		.amdhsa_float_round_mode_32 0
		.amdhsa_float_round_mode_16_64 0
		.amdhsa_float_denorm_mode_32 3
		.amdhsa_float_denorm_mode_16_64 3
		.amdhsa_dx10_clamp 1
		.amdhsa_ieee_mode 1
		.amdhsa_fp16_overflow 0
		.amdhsa_workgroup_processor_mode 1
		.amdhsa_memory_ordered 1
		.amdhsa_forward_progress 1
		.amdhsa_shared_vgpr_count 0
		.amdhsa_exception_fp_ieee_invalid_op 0
		.amdhsa_exception_fp_denorm_src 0
		.amdhsa_exception_fp_ieee_div_zero 0
		.amdhsa_exception_fp_ieee_overflow 0
		.amdhsa_exception_fp_ieee_underflow 0
		.amdhsa_exception_fp_ieee_inexact 0
		.amdhsa_exception_int_div_zero 0
	.end_amdhsa_kernel
	.section	.text._ZN7rocprim17ROCPRIM_400000_NS6detail17trampoline_kernelINS0_14default_configENS1_32segmented_reduce_config_selectorIN3c104HalfEEEZNS1_21segmented_reduce_implIS3_PKS6_PS6_PKiS6_N6hipcub16HIPCUB_304000_NS6detail27convert_result_type_wrapperISA_SB_N2at6native12_GLOBAL__N_19CustomMinEEEEE10hipError_tPvRmT0_T1_jT2_SS_T4_T3_P12ihipStream_tbEUlT_E_NS1_11comp_targetILNS1_3genE8ELNS1_11target_archE1030ELNS1_3gpuE2ELNS1_3repE0EEENS1_30default_config_static_selectorELNS0_4arch9wavefront6targetE0EEEvSR_,"axG",@progbits,_ZN7rocprim17ROCPRIM_400000_NS6detail17trampoline_kernelINS0_14default_configENS1_32segmented_reduce_config_selectorIN3c104HalfEEEZNS1_21segmented_reduce_implIS3_PKS6_PS6_PKiS6_N6hipcub16HIPCUB_304000_NS6detail27convert_result_type_wrapperISA_SB_N2at6native12_GLOBAL__N_19CustomMinEEEEE10hipError_tPvRmT0_T1_jT2_SS_T4_T3_P12ihipStream_tbEUlT_E_NS1_11comp_targetILNS1_3genE8ELNS1_11target_archE1030ELNS1_3gpuE2ELNS1_3repE0EEENS1_30default_config_static_selectorELNS0_4arch9wavefront6targetE0EEEvSR_,comdat
.Lfunc_end101:
	.size	_ZN7rocprim17ROCPRIM_400000_NS6detail17trampoline_kernelINS0_14default_configENS1_32segmented_reduce_config_selectorIN3c104HalfEEEZNS1_21segmented_reduce_implIS3_PKS6_PS6_PKiS6_N6hipcub16HIPCUB_304000_NS6detail27convert_result_type_wrapperISA_SB_N2at6native12_GLOBAL__N_19CustomMinEEEEE10hipError_tPvRmT0_T1_jT2_SS_T4_T3_P12ihipStream_tbEUlT_E_NS1_11comp_targetILNS1_3genE8ELNS1_11target_archE1030ELNS1_3gpuE2ELNS1_3repE0EEENS1_30default_config_static_selectorELNS0_4arch9wavefront6targetE0EEEvSR_, .Lfunc_end101-_ZN7rocprim17ROCPRIM_400000_NS6detail17trampoline_kernelINS0_14default_configENS1_32segmented_reduce_config_selectorIN3c104HalfEEEZNS1_21segmented_reduce_implIS3_PKS6_PS6_PKiS6_N6hipcub16HIPCUB_304000_NS6detail27convert_result_type_wrapperISA_SB_N2at6native12_GLOBAL__N_19CustomMinEEEEE10hipError_tPvRmT0_T1_jT2_SS_T4_T3_P12ihipStream_tbEUlT_E_NS1_11comp_targetILNS1_3genE8ELNS1_11target_archE1030ELNS1_3gpuE2ELNS1_3repE0EEENS1_30default_config_static_selectorELNS0_4arch9wavefront6targetE0EEEvSR_
                                        ; -- End function
	.set _ZN7rocprim17ROCPRIM_400000_NS6detail17trampoline_kernelINS0_14default_configENS1_32segmented_reduce_config_selectorIN3c104HalfEEEZNS1_21segmented_reduce_implIS3_PKS6_PS6_PKiS6_N6hipcub16HIPCUB_304000_NS6detail27convert_result_type_wrapperISA_SB_N2at6native12_GLOBAL__N_19CustomMinEEEEE10hipError_tPvRmT0_T1_jT2_SS_T4_T3_P12ihipStream_tbEUlT_E_NS1_11comp_targetILNS1_3genE8ELNS1_11target_archE1030ELNS1_3gpuE2ELNS1_3repE0EEENS1_30default_config_static_selectorELNS0_4arch9wavefront6targetE0EEEvSR_.num_vgpr, 15
	.set _ZN7rocprim17ROCPRIM_400000_NS6detail17trampoline_kernelINS0_14default_configENS1_32segmented_reduce_config_selectorIN3c104HalfEEEZNS1_21segmented_reduce_implIS3_PKS6_PS6_PKiS6_N6hipcub16HIPCUB_304000_NS6detail27convert_result_type_wrapperISA_SB_N2at6native12_GLOBAL__N_19CustomMinEEEEE10hipError_tPvRmT0_T1_jT2_SS_T4_T3_P12ihipStream_tbEUlT_E_NS1_11comp_targetILNS1_3genE8ELNS1_11target_archE1030ELNS1_3gpuE2ELNS1_3repE0EEENS1_30default_config_static_selectorELNS0_4arch9wavefront6targetE0EEEvSR_.num_agpr, 0
	.set _ZN7rocprim17ROCPRIM_400000_NS6detail17trampoline_kernelINS0_14default_configENS1_32segmented_reduce_config_selectorIN3c104HalfEEEZNS1_21segmented_reduce_implIS3_PKS6_PS6_PKiS6_N6hipcub16HIPCUB_304000_NS6detail27convert_result_type_wrapperISA_SB_N2at6native12_GLOBAL__N_19CustomMinEEEEE10hipError_tPvRmT0_T1_jT2_SS_T4_T3_P12ihipStream_tbEUlT_E_NS1_11comp_targetILNS1_3genE8ELNS1_11target_archE1030ELNS1_3gpuE2ELNS1_3repE0EEENS1_30default_config_static_selectorELNS0_4arch9wavefront6targetE0EEEvSR_.numbered_sgpr, 23
	.set _ZN7rocprim17ROCPRIM_400000_NS6detail17trampoline_kernelINS0_14default_configENS1_32segmented_reduce_config_selectorIN3c104HalfEEEZNS1_21segmented_reduce_implIS3_PKS6_PS6_PKiS6_N6hipcub16HIPCUB_304000_NS6detail27convert_result_type_wrapperISA_SB_N2at6native12_GLOBAL__N_19CustomMinEEEEE10hipError_tPvRmT0_T1_jT2_SS_T4_T3_P12ihipStream_tbEUlT_E_NS1_11comp_targetILNS1_3genE8ELNS1_11target_archE1030ELNS1_3gpuE2ELNS1_3repE0EEENS1_30default_config_static_selectorELNS0_4arch9wavefront6targetE0EEEvSR_.num_named_barrier, 0
	.set _ZN7rocprim17ROCPRIM_400000_NS6detail17trampoline_kernelINS0_14default_configENS1_32segmented_reduce_config_selectorIN3c104HalfEEEZNS1_21segmented_reduce_implIS3_PKS6_PS6_PKiS6_N6hipcub16HIPCUB_304000_NS6detail27convert_result_type_wrapperISA_SB_N2at6native12_GLOBAL__N_19CustomMinEEEEE10hipError_tPvRmT0_T1_jT2_SS_T4_T3_P12ihipStream_tbEUlT_E_NS1_11comp_targetILNS1_3genE8ELNS1_11target_archE1030ELNS1_3gpuE2ELNS1_3repE0EEENS1_30default_config_static_selectorELNS0_4arch9wavefront6targetE0EEEvSR_.private_seg_size, 0
	.set _ZN7rocprim17ROCPRIM_400000_NS6detail17trampoline_kernelINS0_14default_configENS1_32segmented_reduce_config_selectorIN3c104HalfEEEZNS1_21segmented_reduce_implIS3_PKS6_PS6_PKiS6_N6hipcub16HIPCUB_304000_NS6detail27convert_result_type_wrapperISA_SB_N2at6native12_GLOBAL__N_19CustomMinEEEEE10hipError_tPvRmT0_T1_jT2_SS_T4_T3_P12ihipStream_tbEUlT_E_NS1_11comp_targetILNS1_3genE8ELNS1_11target_archE1030ELNS1_3gpuE2ELNS1_3repE0EEENS1_30default_config_static_selectorELNS0_4arch9wavefront6targetE0EEEvSR_.uses_vcc, 1
	.set _ZN7rocprim17ROCPRIM_400000_NS6detail17trampoline_kernelINS0_14default_configENS1_32segmented_reduce_config_selectorIN3c104HalfEEEZNS1_21segmented_reduce_implIS3_PKS6_PS6_PKiS6_N6hipcub16HIPCUB_304000_NS6detail27convert_result_type_wrapperISA_SB_N2at6native12_GLOBAL__N_19CustomMinEEEEE10hipError_tPvRmT0_T1_jT2_SS_T4_T3_P12ihipStream_tbEUlT_E_NS1_11comp_targetILNS1_3genE8ELNS1_11target_archE1030ELNS1_3gpuE2ELNS1_3repE0EEENS1_30default_config_static_selectorELNS0_4arch9wavefront6targetE0EEEvSR_.uses_flat_scratch, 0
	.set _ZN7rocprim17ROCPRIM_400000_NS6detail17trampoline_kernelINS0_14default_configENS1_32segmented_reduce_config_selectorIN3c104HalfEEEZNS1_21segmented_reduce_implIS3_PKS6_PS6_PKiS6_N6hipcub16HIPCUB_304000_NS6detail27convert_result_type_wrapperISA_SB_N2at6native12_GLOBAL__N_19CustomMinEEEEE10hipError_tPvRmT0_T1_jT2_SS_T4_T3_P12ihipStream_tbEUlT_E_NS1_11comp_targetILNS1_3genE8ELNS1_11target_archE1030ELNS1_3gpuE2ELNS1_3repE0EEENS1_30default_config_static_selectorELNS0_4arch9wavefront6targetE0EEEvSR_.has_dyn_sized_stack, 0
	.set _ZN7rocprim17ROCPRIM_400000_NS6detail17trampoline_kernelINS0_14default_configENS1_32segmented_reduce_config_selectorIN3c104HalfEEEZNS1_21segmented_reduce_implIS3_PKS6_PS6_PKiS6_N6hipcub16HIPCUB_304000_NS6detail27convert_result_type_wrapperISA_SB_N2at6native12_GLOBAL__N_19CustomMinEEEEE10hipError_tPvRmT0_T1_jT2_SS_T4_T3_P12ihipStream_tbEUlT_E_NS1_11comp_targetILNS1_3genE8ELNS1_11target_archE1030ELNS1_3gpuE2ELNS1_3repE0EEENS1_30default_config_static_selectorELNS0_4arch9wavefront6targetE0EEEvSR_.has_recursion, 0
	.set _ZN7rocprim17ROCPRIM_400000_NS6detail17trampoline_kernelINS0_14default_configENS1_32segmented_reduce_config_selectorIN3c104HalfEEEZNS1_21segmented_reduce_implIS3_PKS6_PS6_PKiS6_N6hipcub16HIPCUB_304000_NS6detail27convert_result_type_wrapperISA_SB_N2at6native12_GLOBAL__N_19CustomMinEEEEE10hipError_tPvRmT0_T1_jT2_SS_T4_T3_P12ihipStream_tbEUlT_E_NS1_11comp_targetILNS1_3genE8ELNS1_11target_archE1030ELNS1_3gpuE2ELNS1_3repE0EEENS1_30default_config_static_selectorELNS0_4arch9wavefront6targetE0EEEvSR_.has_indirect_call, 0
	.section	.AMDGPU.csdata,"",@progbits
; Kernel info:
; codeLenInByte = 4772
; TotalNumSgprs: 25
; NumVgprs: 15
; ScratchSize: 0
; MemoryBound: 0
; FloatMode: 240
; IeeeMode: 1
; LDSByteSize: 16 bytes/workgroup (compile time only)
; SGPRBlocks: 0
; VGPRBlocks: 1
; NumSGPRsForWavesPerEU: 25
; NumVGPRsForWavesPerEU: 15
; Occupancy: 16
; WaveLimiterHint : 1
; COMPUTE_PGM_RSRC2:SCRATCH_EN: 0
; COMPUTE_PGM_RSRC2:USER_SGPR: 6
; COMPUTE_PGM_RSRC2:TRAP_HANDLER: 0
; COMPUTE_PGM_RSRC2:TGID_X_EN: 1
; COMPUTE_PGM_RSRC2:TGID_Y_EN: 0
; COMPUTE_PGM_RSRC2:TGID_Z_EN: 0
; COMPUTE_PGM_RSRC2:TIDIG_COMP_CNT: 0
	.section	.text._ZN7rocprim17ROCPRIM_400000_NS6detail17trampoline_kernelINS0_14default_configENS1_32segmented_reduce_config_selectorIN3c104HalfEEEZNS1_21segmented_reduce_implIS3_PKS6_PS6_PKiS6_N6hipcub16HIPCUB_304000_NS6detail27convert_result_type_wrapperISA_SB_N2at6native12_GLOBAL__N_110CustomProdEEEEE10hipError_tPvRmT0_T1_jT2_SS_T4_T3_P12ihipStream_tbEUlT_E_NS1_11comp_targetILNS1_3genE0ELNS1_11target_archE4294967295ELNS1_3gpuE0ELNS1_3repE0EEENS1_30default_config_static_selectorELNS0_4arch9wavefront6targetE0EEEvSR_,"axG",@progbits,_ZN7rocprim17ROCPRIM_400000_NS6detail17trampoline_kernelINS0_14default_configENS1_32segmented_reduce_config_selectorIN3c104HalfEEEZNS1_21segmented_reduce_implIS3_PKS6_PS6_PKiS6_N6hipcub16HIPCUB_304000_NS6detail27convert_result_type_wrapperISA_SB_N2at6native12_GLOBAL__N_110CustomProdEEEEE10hipError_tPvRmT0_T1_jT2_SS_T4_T3_P12ihipStream_tbEUlT_E_NS1_11comp_targetILNS1_3genE0ELNS1_11target_archE4294967295ELNS1_3gpuE0ELNS1_3repE0EEENS1_30default_config_static_selectorELNS0_4arch9wavefront6targetE0EEEvSR_,comdat
	.globl	_ZN7rocprim17ROCPRIM_400000_NS6detail17trampoline_kernelINS0_14default_configENS1_32segmented_reduce_config_selectorIN3c104HalfEEEZNS1_21segmented_reduce_implIS3_PKS6_PS6_PKiS6_N6hipcub16HIPCUB_304000_NS6detail27convert_result_type_wrapperISA_SB_N2at6native12_GLOBAL__N_110CustomProdEEEEE10hipError_tPvRmT0_T1_jT2_SS_T4_T3_P12ihipStream_tbEUlT_E_NS1_11comp_targetILNS1_3genE0ELNS1_11target_archE4294967295ELNS1_3gpuE0ELNS1_3repE0EEENS1_30default_config_static_selectorELNS0_4arch9wavefront6targetE0EEEvSR_ ; -- Begin function _ZN7rocprim17ROCPRIM_400000_NS6detail17trampoline_kernelINS0_14default_configENS1_32segmented_reduce_config_selectorIN3c104HalfEEEZNS1_21segmented_reduce_implIS3_PKS6_PS6_PKiS6_N6hipcub16HIPCUB_304000_NS6detail27convert_result_type_wrapperISA_SB_N2at6native12_GLOBAL__N_110CustomProdEEEEE10hipError_tPvRmT0_T1_jT2_SS_T4_T3_P12ihipStream_tbEUlT_E_NS1_11comp_targetILNS1_3genE0ELNS1_11target_archE4294967295ELNS1_3gpuE0ELNS1_3repE0EEENS1_30default_config_static_selectorELNS0_4arch9wavefront6targetE0EEEvSR_
	.p2align	8
	.type	_ZN7rocprim17ROCPRIM_400000_NS6detail17trampoline_kernelINS0_14default_configENS1_32segmented_reduce_config_selectorIN3c104HalfEEEZNS1_21segmented_reduce_implIS3_PKS6_PS6_PKiS6_N6hipcub16HIPCUB_304000_NS6detail27convert_result_type_wrapperISA_SB_N2at6native12_GLOBAL__N_110CustomProdEEEEE10hipError_tPvRmT0_T1_jT2_SS_T4_T3_P12ihipStream_tbEUlT_E_NS1_11comp_targetILNS1_3genE0ELNS1_11target_archE4294967295ELNS1_3gpuE0ELNS1_3repE0EEENS1_30default_config_static_selectorELNS0_4arch9wavefront6targetE0EEEvSR_,@function
_ZN7rocprim17ROCPRIM_400000_NS6detail17trampoline_kernelINS0_14default_configENS1_32segmented_reduce_config_selectorIN3c104HalfEEEZNS1_21segmented_reduce_implIS3_PKS6_PS6_PKiS6_N6hipcub16HIPCUB_304000_NS6detail27convert_result_type_wrapperISA_SB_N2at6native12_GLOBAL__N_110CustomProdEEEEE10hipError_tPvRmT0_T1_jT2_SS_T4_T3_P12ihipStream_tbEUlT_E_NS1_11comp_targetILNS1_3genE0ELNS1_11target_archE4294967295ELNS1_3gpuE0ELNS1_3repE0EEENS1_30default_config_static_selectorELNS0_4arch9wavefront6targetE0EEEvSR_: ; @_ZN7rocprim17ROCPRIM_400000_NS6detail17trampoline_kernelINS0_14default_configENS1_32segmented_reduce_config_selectorIN3c104HalfEEEZNS1_21segmented_reduce_implIS3_PKS6_PS6_PKiS6_N6hipcub16HIPCUB_304000_NS6detail27convert_result_type_wrapperISA_SB_N2at6native12_GLOBAL__N_110CustomProdEEEEE10hipError_tPvRmT0_T1_jT2_SS_T4_T3_P12ihipStream_tbEUlT_E_NS1_11comp_targetILNS1_3genE0ELNS1_11target_archE4294967295ELNS1_3gpuE0ELNS1_3repE0EEENS1_30default_config_static_selectorELNS0_4arch9wavefront6targetE0EEEvSR_
; %bb.0:
	.section	.rodata,"a",@progbits
	.p2align	6, 0x0
	.amdhsa_kernel _ZN7rocprim17ROCPRIM_400000_NS6detail17trampoline_kernelINS0_14default_configENS1_32segmented_reduce_config_selectorIN3c104HalfEEEZNS1_21segmented_reduce_implIS3_PKS6_PS6_PKiS6_N6hipcub16HIPCUB_304000_NS6detail27convert_result_type_wrapperISA_SB_N2at6native12_GLOBAL__N_110CustomProdEEEEE10hipError_tPvRmT0_T1_jT2_SS_T4_T3_P12ihipStream_tbEUlT_E_NS1_11comp_targetILNS1_3genE0ELNS1_11target_archE4294967295ELNS1_3gpuE0ELNS1_3repE0EEENS1_30default_config_static_selectorELNS0_4arch9wavefront6targetE0EEEvSR_
		.amdhsa_group_segment_fixed_size 0
		.amdhsa_private_segment_fixed_size 0
		.amdhsa_kernarg_size 48
		.amdhsa_user_sgpr_count 6
		.amdhsa_user_sgpr_private_segment_buffer 1
		.amdhsa_user_sgpr_dispatch_ptr 0
		.amdhsa_user_sgpr_queue_ptr 0
		.amdhsa_user_sgpr_kernarg_segment_ptr 1
		.amdhsa_user_sgpr_dispatch_id 0
		.amdhsa_user_sgpr_flat_scratch_init 0
		.amdhsa_user_sgpr_private_segment_size 0
		.amdhsa_wavefront_size32 1
		.amdhsa_uses_dynamic_stack 0
		.amdhsa_system_sgpr_private_segment_wavefront_offset 0
		.amdhsa_system_sgpr_workgroup_id_x 1
		.amdhsa_system_sgpr_workgroup_id_y 0
		.amdhsa_system_sgpr_workgroup_id_z 0
		.amdhsa_system_sgpr_workgroup_info 0
		.amdhsa_system_vgpr_workitem_id 0
		.amdhsa_next_free_vgpr 1
		.amdhsa_next_free_sgpr 1
		.amdhsa_reserve_vcc 0
		.amdhsa_reserve_flat_scratch 0
		.amdhsa_float_round_mode_32 0
		.amdhsa_float_round_mode_16_64 0
		.amdhsa_float_denorm_mode_32 3
		.amdhsa_float_denorm_mode_16_64 3
		.amdhsa_dx10_clamp 1
		.amdhsa_ieee_mode 1
		.amdhsa_fp16_overflow 0
		.amdhsa_workgroup_processor_mode 1
		.amdhsa_memory_ordered 1
		.amdhsa_forward_progress 1
		.amdhsa_shared_vgpr_count 0
		.amdhsa_exception_fp_ieee_invalid_op 0
		.amdhsa_exception_fp_denorm_src 0
		.amdhsa_exception_fp_ieee_div_zero 0
		.amdhsa_exception_fp_ieee_overflow 0
		.amdhsa_exception_fp_ieee_underflow 0
		.amdhsa_exception_fp_ieee_inexact 0
		.amdhsa_exception_int_div_zero 0
	.end_amdhsa_kernel
	.section	.text._ZN7rocprim17ROCPRIM_400000_NS6detail17trampoline_kernelINS0_14default_configENS1_32segmented_reduce_config_selectorIN3c104HalfEEEZNS1_21segmented_reduce_implIS3_PKS6_PS6_PKiS6_N6hipcub16HIPCUB_304000_NS6detail27convert_result_type_wrapperISA_SB_N2at6native12_GLOBAL__N_110CustomProdEEEEE10hipError_tPvRmT0_T1_jT2_SS_T4_T3_P12ihipStream_tbEUlT_E_NS1_11comp_targetILNS1_3genE0ELNS1_11target_archE4294967295ELNS1_3gpuE0ELNS1_3repE0EEENS1_30default_config_static_selectorELNS0_4arch9wavefront6targetE0EEEvSR_,"axG",@progbits,_ZN7rocprim17ROCPRIM_400000_NS6detail17trampoline_kernelINS0_14default_configENS1_32segmented_reduce_config_selectorIN3c104HalfEEEZNS1_21segmented_reduce_implIS3_PKS6_PS6_PKiS6_N6hipcub16HIPCUB_304000_NS6detail27convert_result_type_wrapperISA_SB_N2at6native12_GLOBAL__N_110CustomProdEEEEE10hipError_tPvRmT0_T1_jT2_SS_T4_T3_P12ihipStream_tbEUlT_E_NS1_11comp_targetILNS1_3genE0ELNS1_11target_archE4294967295ELNS1_3gpuE0ELNS1_3repE0EEENS1_30default_config_static_selectorELNS0_4arch9wavefront6targetE0EEEvSR_,comdat
.Lfunc_end102:
	.size	_ZN7rocprim17ROCPRIM_400000_NS6detail17trampoline_kernelINS0_14default_configENS1_32segmented_reduce_config_selectorIN3c104HalfEEEZNS1_21segmented_reduce_implIS3_PKS6_PS6_PKiS6_N6hipcub16HIPCUB_304000_NS6detail27convert_result_type_wrapperISA_SB_N2at6native12_GLOBAL__N_110CustomProdEEEEE10hipError_tPvRmT0_T1_jT2_SS_T4_T3_P12ihipStream_tbEUlT_E_NS1_11comp_targetILNS1_3genE0ELNS1_11target_archE4294967295ELNS1_3gpuE0ELNS1_3repE0EEENS1_30default_config_static_selectorELNS0_4arch9wavefront6targetE0EEEvSR_, .Lfunc_end102-_ZN7rocprim17ROCPRIM_400000_NS6detail17trampoline_kernelINS0_14default_configENS1_32segmented_reduce_config_selectorIN3c104HalfEEEZNS1_21segmented_reduce_implIS3_PKS6_PS6_PKiS6_N6hipcub16HIPCUB_304000_NS6detail27convert_result_type_wrapperISA_SB_N2at6native12_GLOBAL__N_110CustomProdEEEEE10hipError_tPvRmT0_T1_jT2_SS_T4_T3_P12ihipStream_tbEUlT_E_NS1_11comp_targetILNS1_3genE0ELNS1_11target_archE4294967295ELNS1_3gpuE0ELNS1_3repE0EEENS1_30default_config_static_selectorELNS0_4arch9wavefront6targetE0EEEvSR_
                                        ; -- End function
	.set _ZN7rocprim17ROCPRIM_400000_NS6detail17trampoline_kernelINS0_14default_configENS1_32segmented_reduce_config_selectorIN3c104HalfEEEZNS1_21segmented_reduce_implIS3_PKS6_PS6_PKiS6_N6hipcub16HIPCUB_304000_NS6detail27convert_result_type_wrapperISA_SB_N2at6native12_GLOBAL__N_110CustomProdEEEEE10hipError_tPvRmT0_T1_jT2_SS_T4_T3_P12ihipStream_tbEUlT_E_NS1_11comp_targetILNS1_3genE0ELNS1_11target_archE4294967295ELNS1_3gpuE0ELNS1_3repE0EEENS1_30default_config_static_selectorELNS0_4arch9wavefront6targetE0EEEvSR_.num_vgpr, 0
	.set _ZN7rocprim17ROCPRIM_400000_NS6detail17trampoline_kernelINS0_14default_configENS1_32segmented_reduce_config_selectorIN3c104HalfEEEZNS1_21segmented_reduce_implIS3_PKS6_PS6_PKiS6_N6hipcub16HIPCUB_304000_NS6detail27convert_result_type_wrapperISA_SB_N2at6native12_GLOBAL__N_110CustomProdEEEEE10hipError_tPvRmT0_T1_jT2_SS_T4_T3_P12ihipStream_tbEUlT_E_NS1_11comp_targetILNS1_3genE0ELNS1_11target_archE4294967295ELNS1_3gpuE0ELNS1_3repE0EEENS1_30default_config_static_selectorELNS0_4arch9wavefront6targetE0EEEvSR_.num_agpr, 0
	.set _ZN7rocprim17ROCPRIM_400000_NS6detail17trampoline_kernelINS0_14default_configENS1_32segmented_reduce_config_selectorIN3c104HalfEEEZNS1_21segmented_reduce_implIS3_PKS6_PS6_PKiS6_N6hipcub16HIPCUB_304000_NS6detail27convert_result_type_wrapperISA_SB_N2at6native12_GLOBAL__N_110CustomProdEEEEE10hipError_tPvRmT0_T1_jT2_SS_T4_T3_P12ihipStream_tbEUlT_E_NS1_11comp_targetILNS1_3genE0ELNS1_11target_archE4294967295ELNS1_3gpuE0ELNS1_3repE0EEENS1_30default_config_static_selectorELNS0_4arch9wavefront6targetE0EEEvSR_.numbered_sgpr, 0
	.set _ZN7rocprim17ROCPRIM_400000_NS6detail17trampoline_kernelINS0_14default_configENS1_32segmented_reduce_config_selectorIN3c104HalfEEEZNS1_21segmented_reduce_implIS3_PKS6_PS6_PKiS6_N6hipcub16HIPCUB_304000_NS6detail27convert_result_type_wrapperISA_SB_N2at6native12_GLOBAL__N_110CustomProdEEEEE10hipError_tPvRmT0_T1_jT2_SS_T4_T3_P12ihipStream_tbEUlT_E_NS1_11comp_targetILNS1_3genE0ELNS1_11target_archE4294967295ELNS1_3gpuE0ELNS1_3repE0EEENS1_30default_config_static_selectorELNS0_4arch9wavefront6targetE0EEEvSR_.num_named_barrier, 0
	.set _ZN7rocprim17ROCPRIM_400000_NS6detail17trampoline_kernelINS0_14default_configENS1_32segmented_reduce_config_selectorIN3c104HalfEEEZNS1_21segmented_reduce_implIS3_PKS6_PS6_PKiS6_N6hipcub16HIPCUB_304000_NS6detail27convert_result_type_wrapperISA_SB_N2at6native12_GLOBAL__N_110CustomProdEEEEE10hipError_tPvRmT0_T1_jT2_SS_T4_T3_P12ihipStream_tbEUlT_E_NS1_11comp_targetILNS1_3genE0ELNS1_11target_archE4294967295ELNS1_3gpuE0ELNS1_3repE0EEENS1_30default_config_static_selectorELNS0_4arch9wavefront6targetE0EEEvSR_.private_seg_size, 0
	.set _ZN7rocprim17ROCPRIM_400000_NS6detail17trampoline_kernelINS0_14default_configENS1_32segmented_reduce_config_selectorIN3c104HalfEEEZNS1_21segmented_reduce_implIS3_PKS6_PS6_PKiS6_N6hipcub16HIPCUB_304000_NS6detail27convert_result_type_wrapperISA_SB_N2at6native12_GLOBAL__N_110CustomProdEEEEE10hipError_tPvRmT0_T1_jT2_SS_T4_T3_P12ihipStream_tbEUlT_E_NS1_11comp_targetILNS1_3genE0ELNS1_11target_archE4294967295ELNS1_3gpuE0ELNS1_3repE0EEENS1_30default_config_static_selectorELNS0_4arch9wavefront6targetE0EEEvSR_.uses_vcc, 0
	.set _ZN7rocprim17ROCPRIM_400000_NS6detail17trampoline_kernelINS0_14default_configENS1_32segmented_reduce_config_selectorIN3c104HalfEEEZNS1_21segmented_reduce_implIS3_PKS6_PS6_PKiS6_N6hipcub16HIPCUB_304000_NS6detail27convert_result_type_wrapperISA_SB_N2at6native12_GLOBAL__N_110CustomProdEEEEE10hipError_tPvRmT0_T1_jT2_SS_T4_T3_P12ihipStream_tbEUlT_E_NS1_11comp_targetILNS1_3genE0ELNS1_11target_archE4294967295ELNS1_3gpuE0ELNS1_3repE0EEENS1_30default_config_static_selectorELNS0_4arch9wavefront6targetE0EEEvSR_.uses_flat_scratch, 0
	.set _ZN7rocprim17ROCPRIM_400000_NS6detail17trampoline_kernelINS0_14default_configENS1_32segmented_reduce_config_selectorIN3c104HalfEEEZNS1_21segmented_reduce_implIS3_PKS6_PS6_PKiS6_N6hipcub16HIPCUB_304000_NS6detail27convert_result_type_wrapperISA_SB_N2at6native12_GLOBAL__N_110CustomProdEEEEE10hipError_tPvRmT0_T1_jT2_SS_T4_T3_P12ihipStream_tbEUlT_E_NS1_11comp_targetILNS1_3genE0ELNS1_11target_archE4294967295ELNS1_3gpuE0ELNS1_3repE0EEENS1_30default_config_static_selectorELNS0_4arch9wavefront6targetE0EEEvSR_.has_dyn_sized_stack, 0
	.set _ZN7rocprim17ROCPRIM_400000_NS6detail17trampoline_kernelINS0_14default_configENS1_32segmented_reduce_config_selectorIN3c104HalfEEEZNS1_21segmented_reduce_implIS3_PKS6_PS6_PKiS6_N6hipcub16HIPCUB_304000_NS6detail27convert_result_type_wrapperISA_SB_N2at6native12_GLOBAL__N_110CustomProdEEEEE10hipError_tPvRmT0_T1_jT2_SS_T4_T3_P12ihipStream_tbEUlT_E_NS1_11comp_targetILNS1_3genE0ELNS1_11target_archE4294967295ELNS1_3gpuE0ELNS1_3repE0EEENS1_30default_config_static_selectorELNS0_4arch9wavefront6targetE0EEEvSR_.has_recursion, 0
	.set _ZN7rocprim17ROCPRIM_400000_NS6detail17trampoline_kernelINS0_14default_configENS1_32segmented_reduce_config_selectorIN3c104HalfEEEZNS1_21segmented_reduce_implIS3_PKS6_PS6_PKiS6_N6hipcub16HIPCUB_304000_NS6detail27convert_result_type_wrapperISA_SB_N2at6native12_GLOBAL__N_110CustomProdEEEEE10hipError_tPvRmT0_T1_jT2_SS_T4_T3_P12ihipStream_tbEUlT_E_NS1_11comp_targetILNS1_3genE0ELNS1_11target_archE4294967295ELNS1_3gpuE0ELNS1_3repE0EEENS1_30default_config_static_selectorELNS0_4arch9wavefront6targetE0EEEvSR_.has_indirect_call, 0
	.section	.AMDGPU.csdata,"",@progbits
; Kernel info:
; codeLenInByte = 0
; TotalNumSgprs: 0
; NumVgprs: 0
; ScratchSize: 0
; MemoryBound: 0
; FloatMode: 240
; IeeeMode: 1
; LDSByteSize: 0 bytes/workgroup (compile time only)
; SGPRBlocks: 0
; VGPRBlocks: 0
; NumSGPRsForWavesPerEU: 1
; NumVGPRsForWavesPerEU: 1
; Occupancy: 16
; WaveLimiterHint : 0
; COMPUTE_PGM_RSRC2:SCRATCH_EN: 0
; COMPUTE_PGM_RSRC2:USER_SGPR: 6
; COMPUTE_PGM_RSRC2:TRAP_HANDLER: 0
; COMPUTE_PGM_RSRC2:TGID_X_EN: 1
; COMPUTE_PGM_RSRC2:TGID_Y_EN: 0
; COMPUTE_PGM_RSRC2:TGID_Z_EN: 0
; COMPUTE_PGM_RSRC2:TIDIG_COMP_CNT: 0
	.section	.text._ZN7rocprim17ROCPRIM_400000_NS6detail17trampoline_kernelINS0_14default_configENS1_32segmented_reduce_config_selectorIN3c104HalfEEEZNS1_21segmented_reduce_implIS3_PKS6_PS6_PKiS6_N6hipcub16HIPCUB_304000_NS6detail27convert_result_type_wrapperISA_SB_N2at6native12_GLOBAL__N_110CustomProdEEEEE10hipError_tPvRmT0_T1_jT2_SS_T4_T3_P12ihipStream_tbEUlT_E_NS1_11comp_targetILNS1_3genE5ELNS1_11target_archE942ELNS1_3gpuE9ELNS1_3repE0EEENS1_30default_config_static_selectorELNS0_4arch9wavefront6targetE0EEEvSR_,"axG",@progbits,_ZN7rocprim17ROCPRIM_400000_NS6detail17trampoline_kernelINS0_14default_configENS1_32segmented_reduce_config_selectorIN3c104HalfEEEZNS1_21segmented_reduce_implIS3_PKS6_PS6_PKiS6_N6hipcub16HIPCUB_304000_NS6detail27convert_result_type_wrapperISA_SB_N2at6native12_GLOBAL__N_110CustomProdEEEEE10hipError_tPvRmT0_T1_jT2_SS_T4_T3_P12ihipStream_tbEUlT_E_NS1_11comp_targetILNS1_3genE5ELNS1_11target_archE942ELNS1_3gpuE9ELNS1_3repE0EEENS1_30default_config_static_selectorELNS0_4arch9wavefront6targetE0EEEvSR_,comdat
	.globl	_ZN7rocprim17ROCPRIM_400000_NS6detail17trampoline_kernelINS0_14default_configENS1_32segmented_reduce_config_selectorIN3c104HalfEEEZNS1_21segmented_reduce_implIS3_PKS6_PS6_PKiS6_N6hipcub16HIPCUB_304000_NS6detail27convert_result_type_wrapperISA_SB_N2at6native12_GLOBAL__N_110CustomProdEEEEE10hipError_tPvRmT0_T1_jT2_SS_T4_T3_P12ihipStream_tbEUlT_E_NS1_11comp_targetILNS1_3genE5ELNS1_11target_archE942ELNS1_3gpuE9ELNS1_3repE0EEENS1_30default_config_static_selectorELNS0_4arch9wavefront6targetE0EEEvSR_ ; -- Begin function _ZN7rocprim17ROCPRIM_400000_NS6detail17trampoline_kernelINS0_14default_configENS1_32segmented_reduce_config_selectorIN3c104HalfEEEZNS1_21segmented_reduce_implIS3_PKS6_PS6_PKiS6_N6hipcub16HIPCUB_304000_NS6detail27convert_result_type_wrapperISA_SB_N2at6native12_GLOBAL__N_110CustomProdEEEEE10hipError_tPvRmT0_T1_jT2_SS_T4_T3_P12ihipStream_tbEUlT_E_NS1_11comp_targetILNS1_3genE5ELNS1_11target_archE942ELNS1_3gpuE9ELNS1_3repE0EEENS1_30default_config_static_selectorELNS0_4arch9wavefront6targetE0EEEvSR_
	.p2align	8
	.type	_ZN7rocprim17ROCPRIM_400000_NS6detail17trampoline_kernelINS0_14default_configENS1_32segmented_reduce_config_selectorIN3c104HalfEEEZNS1_21segmented_reduce_implIS3_PKS6_PS6_PKiS6_N6hipcub16HIPCUB_304000_NS6detail27convert_result_type_wrapperISA_SB_N2at6native12_GLOBAL__N_110CustomProdEEEEE10hipError_tPvRmT0_T1_jT2_SS_T4_T3_P12ihipStream_tbEUlT_E_NS1_11comp_targetILNS1_3genE5ELNS1_11target_archE942ELNS1_3gpuE9ELNS1_3repE0EEENS1_30default_config_static_selectorELNS0_4arch9wavefront6targetE0EEEvSR_,@function
_ZN7rocprim17ROCPRIM_400000_NS6detail17trampoline_kernelINS0_14default_configENS1_32segmented_reduce_config_selectorIN3c104HalfEEEZNS1_21segmented_reduce_implIS3_PKS6_PS6_PKiS6_N6hipcub16HIPCUB_304000_NS6detail27convert_result_type_wrapperISA_SB_N2at6native12_GLOBAL__N_110CustomProdEEEEE10hipError_tPvRmT0_T1_jT2_SS_T4_T3_P12ihipStream_tbEUlT_E_NS1_11comp_targetILNS1_3genE5ELNS1_11target_archE942ELNS1_3gpuE9ELNS1_3repE0EEENS1_30default_config_static_selectorELNS0_4arch9wavefront6targetE0EEEvSR_: ; @_ZN7rocprim17ROCPRIM_400000_NS6detail17trampoline_kernelINS0_14default_configENS1_32segmented_reduce_config_selectorIN3c104HalfEEEZNS1_21segmented_reduce_implIS3_PKS6_PS6_PKiS6_N6hipcub16HIPCUB_304000_NS6detail27convert_result_type_wrapperISA_SB_N2at6native12_GLOBAL__N_110CustomProdEEEEE10hipError_tPvRmT0_T1_jT2_SS_T4_T3_P12ihipStream_tbEUlT_E_NS1_11comp_targetILNS1_3genE5ELNS1_11target_archE942ELNS1_3gpuE9ELNS1_3repE0EEENS1_30default_config_static_selectorELNS0_4arch9wavefront6targetE0EEEvSR_
; %bb.0:
	.section	.rodata,"a",@progbits
	.p2align	6, 0x0
	.amdhsa_kernel _ZN7rocprim17ROCPRIM_400000_NS6detail17trampoline_kernelINS0_14default_configENS1_32segmented_reduce_config_selectorIN3c104HalfEEEZNS1_21segmented_reduce_implIS3_PKS6_PS6_PKiS6_N6hipcub16HIPCUB_304000_NS6detail27convert_result_type_wrapperISA_SB_N2at6native12_GLOBAL__N_110CustomProdEEEEE10hipError_tPvRmT0_T1_jT2_SS_T4_T3_P12ihipStream_tbEUlT_E_NS1_11comp_targetILNS1_3genE5ELNS1_11target_archE942ELNS1_3gpuE9ELNS1_3repE0EEENS1_30default_config_static_selectorELNS0_4arch9wavefront6targetE0EEEvSR_
		.amdhsa_group_segment_fixed_size 0
		.amdhsa_private_segment_fixed_size 0
		.amdhsa_kernarg_size 48
		.amdhsa_user_sgpr_count 6
		.amdhsa_user_sgpr_private_segment_buffer 1
		.amdhsa_user_sgpr_dispatch_ptr 0
		.amdhsa_user_sgpr_queue_ptr 0
		.amdhsa_user_sgpr_kernarg_segment_ptr 1
		.amdhsa_user_sgpr_dispatch_id 0
		.amdhsa_user_sgpr_flat_scratch_init 0
		.amdhsa_user_sgpr_private_segment_size 0
		.amdhsa_wavefront_size32 1
		.amdhsa_uses_dynamic_stack 0
		.amdhsa_system_sgpr_private_segment_wavefront_offset 0
		.amdhsa_system_sgpr_workgroup_id_x 1
		.amdhsa_system_sgpr_workgroup_id_y 0
		.amdhsa_system_sgpr_workgroup_id_z 0
		.amdhsa_system_sgpr_workgroup_info 0
		.amdhsa_system_vgpr_workitem_id 0
		.amdhsa_next_free_vgpr 1
		.amdhsa_next_free_sgpr 1
		.amdhsa_reserve_vcc 0
		.amdhsa_reserve_flat_scratch 0
		.amdhsa_float_round_mode_32 0
		.amdhsa_float_round_mode_16_64 0
		.amdhsa_float_denorm_mode_32 3
		.amdhsa_float_denorm_mode_16_64 3
		.amdhsa_dx10_clamp 1
		.amdhsa_ieee_mode 1
		.amdhsa_fp16_overflow 0
		.amdhsa_workgroup_processor_mode 1
		.amdhsa_memory_ordered 1
		.amdhsa_forward_progress 1
		.amdhsa_shared_vgpr_count 0
		.amdhsa_exception_fp_ieee_invalid_op 0
		.amdhsa_exception_fp_denorm_src 0
		.amdhsa_exception_fp_ieee_div_zero 0
		.amdhsa_exception_fp_ieee_overflow 0
		.amdhsa_exception_fp_ieee_underflow 0
		.amdhsa_exception_fp_ieee_inexact 0
		.amdhsa_exception_int_div_zero 0
	.end_amdhsa_kernel
	.section	.text._ZN7rocprim17ROCPRIM_400000_NS6detail17trampoline_kernelINS0_14default_configENS1_32segmented_reduce_config_selectorIN3c104HalfEEEZNS1_21segmented_reduce_implIS3_PKS6_PS6_PKiS6_N6hipcub16HIPCUB_304000_NS6detail27convert_result_type_wrapperISA_SB_N2at6native12_GLOBAL__N_110CustomProdEEEEE10hipError_tPvRmT0_T1_jT2_SS_T4_T3_P12ihipStream_tbEUlT_E_NS1_11comp_targetILNS1_3genE5ELNS1_11target_archE942ELNS1_3gpuE9ELNS1_3repE0EEENS1_30default_config_static_selectorELNS0_4arch9wavefront6targetE0EEEvSR_,"axG",@progbits,_ZN7rocprim17ROCPRIM_400000_NS6detail17trampoline_kernelINS0_14default_configENS1_32segmented_reduce_config_selectorIN3c104HalfEEEZNS1_21segmented_reduce_implIS3_PKS6_PS6_PKiS6_N6hipcub16HIPCUB_304000_NS6detail27convert_result_type_wrapperISA_SB_N2at6native12_GLOBAL__N_110CustomProdEEEEE10hipError_tPvRmT0_T1_jT2_SS_T4_T3_P12ihipStream_tbEUlT_E_NS1_11comp_targetILNS1_3genE5ELNS1_11target_archE942ELNS1_3gpuE9ELNS1_3repE0EEENS1_30default_config_static_selectorELNS0_4arch9wavefront6targetE0EEEvSR_,comdat
.Lfunc_end103:
	.size	_ZN7rocprim17ROCPRIM_400000_NS6detail17trampoline_kernelINS0_14default_configENS1_32segmented_reduce_config_selectorIN3c104HalfEEEZNS1_21segmented_reduce_implIS3_PKS6_PS6_PKiS6_N6hipcub16HIPCUB_304000_NS6detail27convert_result_type_wrapperISA_SB_N2at6native12_GLOBAL__N_110CustomProdEEEEE10hipError_tPvRmT0_T1_jT2_SS_T4_T3_P12ihipStream_tbEUlT_E_NS1_11comp_targetILNS1_3genE5ELNS1_11target_archE942ELNS1_3gpuE9ELNS1_3repE0EEENS1_30default_config_static_selectorELNS0_4arch9wavefront6targetE0EEEvSR_, .Lfunc_end103-_ZN7rocprim17ROCPRIM_400000_NS6detail17trampoline_kernelINS0_14default_configENS1_32segmented_reduce_config_selectorIN3c104HalfEEEZNS1_21segmented_reduce_implIS3_PKS6_PS6_PKiS6_N6hipcub16HIPCUB_304000_NS6detail27convert_result_type_wrapperISA_SB_N2at6native12_GLOBAL__N_110CustomProdEEEEE10hipError_tPvRmT0_T1_jT2_SS_T4_T3_P12ihipStream_tbEUlT_E_NS1_11comp_targetILNS1_3genE5ELNS1_11target_archE942ELNS1_3gpuE9ELNS1_3repE0EEENS1_30default_config_static_selectorELNS0_4arch9wavefront6targetE0EEEvSR_
                                        ; -- End function
	.set _ZN7rocprim17ROCPRIM_400000_NS6detail17trampoline_kernelINS0_14default_configENS1_32segmented_reduce_config_selectorIN3c104HalfEEEZNS1_21segmented_reduce_implIS3_PKS6_PS6_PKiS6_N6hipcub16HIPCUB_304000_NS6detail27convert_result_type_wrapperISA_SB_N2at6native12_GLOBAL__N_110CustomProdEEEEE10hipError_tPvRmT0_T1_jT2_SS_T4_T3_P12ihipStream_tbEUlT_E_NS1_11comp_targetILNS1_3genE5ELNS1_11target_archE942ELNS1_3gpuE9ELNS1_3repE0EEENS1_30default_config_static_selectorELNS0_4arch9wavefront6targetE0EEEvSR_.num_vgpr, 0
	.set _ZN7rocprim17ROCPRIM_400000_NS6detail17trampoline_kernelINS0_14default_configENS1_32segmented_reduce_config_selectorIN3c104HalfEEEZNS1_21segmented_reduce_implIS3_PKS6_PS6_PKiS6_N6hipcub16HIPCUB_304000_NS6detail27convert_result_type_wrapperISA_SB_N2at6native12_GLOBAL__N_110CustomProdEEEEE10hipError_tPvRmT0_T1_jT2_SS_T4_T3_P12ihipStream_tbEUlT_E_NS1_11comp_targetILNS1_3genE5ELNS1_11target_archE942ELNS1_3gpuE9ELNS1_3repE0EEENS1_30default_config_static_selectorELNS0_4arch9wavefront6targetE0EEEvSR_.num_agpr, 0
	.set _ZN7rocprim17ROCPRIM_400000_NS6detail17trampoline_kernelINS0_14default_configENS1_32segmented_reduce_config_selectorIN3c104HalfEEEZNS1_21segmented_reduce_implIS3_PKS6_PS6_PKiS6_N6hipcub16HIPCUB_304000_NS6detail27convert_result_type_wrapperISA_SB_N2at6native12_GLOBAL__N_110CustomProdEEEEE10hipError_tPvRmT0_T1_jT2_SS_T4_T3_P12ihipStream_tbEUlT_E_NS1_11comp_targetILNS1_3genE5ELNS1_11target_archE942ELNS1_3gpuE9ELNS1_3repE0EEENS1_30default_config_static_selectorELNS0_4arch9wavefront6targetE0EEEvSR_.numbered_sgpr, 0
	.set _ZN7rocprim17ROCPRIM_400000_NS6detail17trampoline_kernelINS0_14default_configENS1_32segmented_reduce_config_selectorIN3c104HalfEEEZNS1_21segmented_reduce_implIS3_PKS6_PS6_PKiS6_N6hipcub16HIPCUB_304000_NS6detail27convert_result_type_wrapperISA_SB_N2at6native12_GLOBAL__N_110CustomProdEEEEE10hipError_tPvRmT0_T1_jT2_SS_T4_T3_P12ihipStream_tbEUlT_E_NS1_11comp_targetILNS1_3genE5ELNS1_11target_archE942ELNS1_3gpuE9ELNS1_3repE0EEENS1_30default_config_static_selectorELNS0_4arch9wavefront6targetE0EEEvSR_.num_named_barrier, 0
	.set _ZN7rocprim17ROCPRIM_400000_NS6detail17trampoline_kernelINS0_14default_configENS1_32segmented_reduce_config_selectorIN3c104HalfEEEZNS1_21segmented_reduce_implIS3_PKS6_PS6_PKiS6_N6hipcub16HIPCUB_304000_NS6detail27convert_result_type_wrapperISA_SB_N2at6native12_GLOBAL__N_110CustomProdEEEEE10hipError_tPvRmT0_T1_jT2_SS_T4_T3_P12ihipStream_tbEUlT_E_NS1_11comp_targetILNS1_3genE5ELNS1_11target_archE942ELNS1_3gpuE9ELNS1_3repE0EEENS1_30default_config_static_selectorELNS0_4arch9wavefront6targetE0EEEvSR_.private_seg_size, 0
	.set _ZN7rocprim17ROCPRIM_400000_NS6detail17trampoline_kernelINS0_14default_configENS1_32segmented_reduce_config_selectorIN3c104HalfEEEZNS1_21segmented_reduce_implIS3_PKS6_PS6_PKiS6_N6hipcub16HIPCUB_304000_NS6detail27convert_result_type_wrapperISA_SB_N2at6native12_GLOBAL__N_110CustomProdEEEEE10hipError_tPvRmT0_T1_jT2_SS_T4_T3_P12ihipStream_tbEUlT_E_NS1_11comp_targetILNS1_3genE5ELNS1_11target_archE942ELNS1_3gpuE9ELNS1_3repE0EEENS1_30default_config_static_selectorELNS0_4arch9wavefront6targetE0EEEvSR_.uses_vcc, 0
	.set _ZN7rocprim17ROCPRIM_400000_NS6detail17trampoline_kernelINS0_14default_configENS1_32segmented_reduce_config_selectorIN3c104HalfEEEZNS1_21segmented_reduce_implIS3_PKS6_PS6_PKiS6_N6hipcub16HIPCUB_304000_NS6detail27convert_result_type_wrapperISA_SB_N2at6native12_GLOBAL__N_110CustomProdEEEEE10hipError_tPvRmT0_T1_jT2_SS_T4_T3_P12ihipStream_tbEUlT_E_NS1_11comp_targetILNS1_3genE5ELNS1_11target_archE942ELNS1_3gpuE9ELNS1_3repE0EEENS1_30default_config_static_selectorELNS0_4arch9wavefront6targetE0EEEvSR_.uses_flat_scratch, 0
	.set _ZN7rocprim17ROCPRIM_400000_NS6detail17trampoline_kernelINS0_14default_configENS1_32segmented_reduce_config_selectorIN3c104HalfEEEZNS1_21segmented_reduce_implIS3_PKS6_PS6_PKiS6_N6hipcub16HIPCUB_304000_NS6detail27convert_result_type_wrapperISA_SB_N2at6native12_GLOBAL__N_110CustomProdEEEEE10hipError_tPvRmT0_T1_jT2_SS_T4_T3_P12ihipStream_tbEUlT_E_NS1_11comp_targetILNS1_3genE5ELNS1_11target_archE942ELNS1_3gpuE9ELNS1_3repE0EEENS1_30default_config_static_selectorELNS0_4arch9wavefront6targetE0EEEvSR_.has_dyn_sized_stack, 0
	.set _ZN7rocprim17ROCPRIM_400000_NS6detail17trampoline_kernelINS0_14default_configENS1_32segmented_reduce_config_selectorIN3c104HalfEEEZNS1_21segmented_reduce_implIS3_PKS6_PS6_PKiS6_N6hipcub16HIPCUB_304000_NS6detail27convert_result_type_wrapperISA_SB_N2at6native12_GLOBAL__N_110CustomProdEEEEE10hipError_tPvRmT0_T1_jT2_SS_T4_T3_P12ihipStream_tbEUlT_E_NS1_11comp_targetILNS1_3genE5ELNS1_11target_archE942ELNS1_3gpuE9ELNS1_3repE0EEENS1_30default_config_static_selectorELNS0_4arch9wavefront6targetE0EEEvSR_.has_recursion, 0
	.set _ZN7rocprim17ROCPRIM_400000_NS6detail17trampoline_kernelINS0_14default_configENS1_32segmented_reduce_config_selectorIN3c104HalfEEEZNS1_21segmented_reduce_implIS3_PKS6_PS6_PKiS6_N6hipcub16HIPCUB_304000_NS6detail27convert_result_type_wrapperISA_SB_N2at6native12_GLOBAL__N_110CustomProdEEEEE10hipError_tPvRmT0_T1_jT2_SS_T4_T3_P12ihipStream_tbEUlT_E_NS1_11comp_targetILNS1_3genE5ELNS1_11target_archE942ELNS1_3gpuE9ELNS1_3repE0EEENS1_30default_config_static_selectorELNS0_4arch9wavefront6targetE0EEEvSR_.has_indirect_call, 0
	.section	.AMDGPU.csdata,"",@progbits
; Kernel info:
; codeLenInByte = 0
; TotalNumSgprs: 0
; NumVgprs: 0
; ScratchSize: 0
; MemoryBound: 0
; FloatMode: 240
; IeeeMode: 1
; LDSByteSize: 0 bytes/workgroup (compile time only)
; SGPRBlocks: 0
; VGPRBlocks: 0
; NumSGPRsForWavesPerEU: 1
; NumVGPRsForWavesPerEU: 1
; Occupancy: 16
; WaveLimiterHint : 0
; COMPUTE_PGM_RSRC2:SCRATCH_EN: 0
; COMPUTE_PGM_RSRC2:USER_SGPR: 6
; COMPUTE_PGM_RSRC2:TRAP_HANDLER: 0
; COMPUTE_PGM_RSRC2:TGID_X_EN: 1
; COMPUTE_PGM_RSRC2:TGID_Y_EN: 0
; COMPUTE_PGM_RSRC2:TGID_Z_EN: 0
; COMPUTE_PGM_RSRC2:TIDIG_COMP_CNT: 0
	.section	.text._ZN7rocprim17ROCPRIM_400000_NS6detail17trampoline_kernelINS0_14default_configENS1_32segmented_reduce_config_selectorIN3c104HalfEEEZNS1_21segmented_reduce_implIS3_PKS6_PS6_PKiS6_N6hipcub16HIPCUB_304000_NS6detail27convert_result_type_wrapperISA_SB_N2at6native12_GLOBAL__N_110CustomProdEEEEE10hipError_tPvRmT0_T1_jT2_SS_T4_T3_P12ihipStream_tbEUlT_E_NS1_11comp_targetILNS1_3genE10ELNS1_11target_archE1201ELNS1_3gpuE5ELNS1_3repE0EEENS1_30default_config_static_selectorELNS0_4arch9wavefront6targetE0EEEvSR_,"axG",@progbits,_ZN7rocprim17ROCPRIM_400000_NS6detail17trampoline_kernelINS0_14default_configENS1_32segmented_reduce_config_selectorIN3c104HalfEEEZNS1_21segmented_reduce_implIS3_PKS6_PS6_PKiS6_N6hipcub16HIPCUB_304000_NS6detail27convert_result_type_wrapperISA_SB_N2at6native12_GLOBAL__N_110CustomProdEEEEE10hipError_tPvRmT0_T1_jT2_SS_T4_T3_P12ihipStream_tbEUlT_E_NS1_11comp_targetILNS1_3genE10ELNS1_11target_archE1201ELNS1_3gpuE5ELNS1_3repE0EEENS1_30default_config_static_selectorELNS0_4arch9wavefront6targetE0EEEvSR_,comdat
	.globl	_ZN7rocprim17ROCPRIM_400000_NS6detail17trampoline_kernelINS0_14default_configENS1_32segmented_reduce_config_selectorIN3c104HalfEEEZNS1_21segmented_reduce_implIS3_PKS6_PS6_PKiS6_N6hipcub16HIPCUB_304000_NS6detail27convert_result_type_wrapperISA_SB_N2at6native12_GLOBAL__N_110CustomProdEEEEE10hipError_tPvRmT0_T1_jT2_SS_T4_T3_P12ihipStream_tbEUlT_E_NS1_11comp_targetILNS1_3genE10ELNS1_11target_archE1201ELNS1_3gpuE5ELNS1_3repE0EEENS1_30default_config_static_selectorELNS0_4arch9wavefront6targetE0EEEvSR_ ; -- Begin function _ZN7rocprim17ROCPRIM_400000_NS6detail17trampoline_kernelINS0_14default_configENS1_32segmented_reduce_config_selectorIN3c104HalfEEEZNS1_21segmented_reduce_implIS3_PKS6_PS6_PKiS6_N6hipcub16HIPCUB_304000_NS6detail27convert_result_type_wrapperISA_SB_N2at6native12_GLOBAL__N_110CustomProdEEEEE10hipError_tPvRmT0_T1_jT2_SS_T4_T3_P12ihipStream_tbEUlT_E_NS1_11comp_targetILNS1_3genE10ELNS1_11target_archE1201ELNS1_3gpuE5ELNS1_3repE0EEENS1_30default_config_static_selectorELNS0_4arch9wavefront6targetE0EEEvSR_
	.p2align	8
	.type	_ZN7rocprim17ROCPRIM_400000_NS6detail17trampoline_kernelINS0_14default_configENS1_32segmented_reduce_config_selectorIN3c104HalfEEEZNS1_21segmented_reduce_implIS3_PKS6_PS6_PKiS6_N6hipcub16HIPCUB_304000_NS6detail27convert_result_type_wrapperISA_SB_N2at6native12_GLOBAL__N_110CustomProdEEEEE10hipError_tPvRmT0_T1_jT2_SS_T4_T3_P12ihipStream_tbEUlT_E_NS1_11comp_targetILNS1_3genE10ELNS1_11target_archE1201ELNS1_3gpuE5ELNS1_3repE0EEENS1_30default_config_static_selectorELNS0_4arch9wavefront6targetE0EEEvSR_,@function
_ZN7rocprim17ROCPRIM_400000_NS6detail17trampoline_kernelINS0_14default_configENS1_32segmented_reduce_config_selectorIN3c104HalfEEEZNS1_21segmented_reduce_implIS3_PKS6_PS6_PKiS6_N6hipcub16HIPCUB_304000_NS6detail27convert_result_type_wrapperISA_SB_N2at6native12_GLOBAL__N_110CustomProdEEEEE10hipError_tPvRmT0_T1_jT2_SS_T4_T3_P12ihipStream_tbEUlT_E_NS1_11comp_targetILNS1_3genE10ELNS1_11target_archE1201ELNS1_3gpuE5ELNS1_3repE0EEENS1_30default_config_static_selectorELNS0_4arch9wavefront6targetE0EEEvSR_: ; @_ZN7rocprim17ROCPRIM_400000_NS6detail17trampoline_kernelINS0_14default_configENS1_32segmented_reduce_config_selectorIN3c104HalfEEEZNS1_21segmented_reduce_implIS3_PKS6_PS6_PKiS6_N6hipcub16HIPCUB_304000_NS6detail27convert_result_type_wrapperISA_SB_N2at6native12_GLOBAL__N_110CustomProdEEEEE10hipError_tPvRmT0_T1_jT2_SS_T4_T3_P12ihipStream_tbEUlT_E_NS1_11comp_targetILNS1_3genE10ELNS1_11target_archE1201ELNS1_3gpuE5ELNS1_3repE0EEENS1_30default_config_static_selectorELNS0_4arch9wavefront6targetE0EEEvSR_
; %bb.0:
	.section	.rodata,"a",@progbits
	.p2align	6, 0x0
	.amdhsa_kernel _ZN7rocprim17ROCPRIM_400000_NS6detail17trampoline_kernelINS0_14default_configENS1_32segmented_reduce_config_selectorIN3c104HalfEEEZNS1_21segmented_reduce_implIS3_PKS6_PS6_PKiS6_N6hipcub16HIPCUB_304000_NS6detail27convert_result_type_wrapperISA_SB_N2at6native12_GLOBAL__N_110CustomProdEEEEE10hipError_tPvRmT0_T1_jT2_SS_T4_T3_P12ihipStream_tbEUlT_E_NS1_11comp_targetILNS1_3genE10ELNS1_11target_archE1201ELNS1_3gpuE5ELNS1_3repE0EEENS1_30default_config_static_selectorELNS0_4arch9wavefront6targetE0EEEvSR_
		.amdhsa_group_segment_fixed_size 0
		.amdhsa_private_segment_fixed_size 0
		.amdhsa_kernarg_size 48
		.amdhsa_user_sgpr_count 6
		.amdhsa_user_sgpr_private_segment_buffer 1
		.amdhsa_user_sgpr_dispatch_ptr 0
		.amdhsa_user_sgpr_queue_ptr 0
		.amdhsa_user_sgpr_kernarg_segment_ptr 1
		.amdhsa_user_sgpr_dispatch_id 0
		.amdhsa_user_sgpr_flat_scratch_init 0
		.amdhsa_user_sgpr_private_segment_size 0
		.amdhsa_wavefront_size32 1
		.amdhsa_uses_dynamic_stack 0
		.amdhsa_system_sgpr_private_segment_wavefront_offset 0
		.amdhsa_system_sgpr_workgroup_id_x 1
		.amdhsa_system_sgpr_workgroup_id_y 0
		.amdhsa_system_sgpr_workgroup_id_z 0
		.amdhsa_system_sgpr_workgroup_info 0
		.amdhsa_system_vgpr_workitem_id 0
		.amdhsa_next_free_vgpr 1
		.amdhsa_next_free_sgpr 1
		.amdhsa_reserve_vcc 0
		.amdhsa_reserve_flat_scratch 0
		.amdhsa_float_round_mode_32 0
		.amdhsa_float_round_mode_16_64 0
		.amdhsa_float_denorm_mode_32 3
		.amdhsa_float_denorm_mode_16_64 3
		.amdhsa_dx10_clamp 1
		.amdhsa_ieee_mode 1
		.amdhsa_fp16_overflow 0
		.amdhsa_workgroup_processor_mode 1
		.amdhsa_memory_ordered 1
		.amdhsa_forward_progress 1
		.amdhsa_shared_vgpr_count 0
		.amdhsa_exception_fp_ieee_invalid_op 0
		.amdhsa_exception_fp_denorm_src 0
		.amdhsa_exception_fp_ieee_div_zero 0
		.amdhsa_exception_fp_ieee_overflow 0
		.amdhsa_exception_fp_ieee_underflow 0
		.amdhsa_exception_fp_ieee_inexact 0
		.amdhsa_exception_int_div_zero 0
	.end_amdhsa_kernel
	.section	.text._ZN7rocprim17ROCPRIM_400000_NS6detail17trampoline_kernelINS0_14default_configENS1_32segmented_reduce_config_selectorIN3c104HalfEEEZNS1_21segmented_reduce_implIS3_PKS6_PS6_PKiS6_N6hipcub16HIPCUB_304000_NS6detail27convert_result_type_wrapperISA_SB_N2at6native12_GLOBAL__N_110CustomProdEEEEE10hipError_tPvRmT0_T1_jT2_SS_T4_T3_P12ihipStream_tbEUlT_E_NS1_11comp_targetILNS1_3genE10ELNS1_11target_archE1201ELNS1_3gpuE5ELNS1_3repE0EEENS1_30default_config_static_selectorELNS0_4arch9wavefront6targetE0EEEvSR_,"axG",@progbits,_ZN7rocprim17ROCPRIM_400000_NS6detail17trampoline_kernelINS0_14default_configENS1_32segmented_reduce_config_selectorIN3c104HalfEEEZNS1_21segmented_reduce_implIS3_PKS6_PS6_PKiS6_N6hipcub16HIPCUB_304000_NS6detail27convert_result_type_wrapperISA_SB_N2at6native12_GLOBAL__N_110CustomProdEEEEE10hipError_tPvRmT0_T1_jT2_SS_T4_T3_P12ihipStream_tbEUlT_E_NS1_11comp_targetILNS1_3genE10ELNS1_11target_archE1201ELNS1_3gpuE5ELNS1_3repE0EEENS1_30default_config_static_selectorELNS0_4arch9wavefront6targetE0EEEvSR_,comdat
.Lfunc_end104:
	.size	_ZN7rocprim17ROCPRIM_400000_NS6detail17trampoline_kernelINS0_14default_configENS1_32segmented_reduce_config_selectorIN3c104HalfEEEZNS1_21segmented_reduce_implIS3_PKS6_PS6_PKiS6_N6hipcub16HIPCUB_304000_NS6detail27convert_result_type_wrapperISA_SB_N2at6native12_GLOBAL__N_110CustomProdEEEEE10hipError_tPvRmT0_T1_jT2_SS_T4_T3_P12ihipStream_tbEUlT_E_NS1_11comp_targetILNS1_3genE10ELNS1_11target_archE1201ELNS1_3gpuE5ELNS1_3repE0EEENS1_30default_config_static_selectorELNS0_4arch9wavefront6targetE0EEEvSR_, .Lfunc_end104-_ZN7rocprim17ROCPRIM_400000_NS6detail17trampoline_kernelINS0_14default_configENS1_32segmented_reduce_config_selectorIN3c104HalfEEEZNS1_21segmented_reduce_implIS3_PKS6_PS6_PKiS6_N6hipcub16HIPCUB_304000_NS6detail27convert_result_type_wrapperISA_SB_N2at6native12_GLOBAL__N_110CustomProdEEEEE10hipError_tPvRmT0_T1_jT2_SS_T4_T3_P12ihipStream_tbEUlT_E_NS1_11comp_targetILNS1_3genE10ELNS1_11target_archE1201ELNS1_3gpuE5ELNS1_3repE0EEENS1_30default_config_static_selectorELNS0_4arch9wavefront6targetE0EEEvSR_
                                        ; -- End function
	.set _ZN7rocprim17ROCPRIM_400000_NS6detail17trampoline_kernelINS0_14default_configENS1_32segmented_reduce_config_selectorIN3c104HalfEEEZNS1_21segmented_reduce_implIS3_PKS6_PS6_PKiS6_N6hipcub16HIPCUB_304000_NS6detail27convert_result_type_wrapperISA_SB_N2at6native12_GLOBAL__N_110CustomProdEEEEE10hipError_tPvRmT0_T1_jT2_SS_T4_T3_P12ihipStream_tbEUlT_E_NS1_11comp_targetILNS1_3genE10ELNS1_11target_archE1201ELNS1_3gpuE5ELNS1_3repE0EEENS1_30default_config_static_selectorELNS0_4arch9wavefront6targetE0EEEvSR_.num_vgpr, 0
	.set _ZN7rocprim17ROCPRIM_400000_NS6detail17trampoline_kernelINS0_14default_configENS1_32segmented_reduce_config_selectorIN3c104HalfEEEZNS1_21segmented_reduce_implIS3_PKS6_PS6_PKiS6_N6hipcub16HIPCUB_304000_NS6detail27convert_result_type_wrapperISA_SB_N2at6native12_GLOBAL__N_110CustomProdEEEEE10hipError_tPvRmT0_T1_jT2_SS_T4_T3_P12ihipStream_tbEUlT_E_NS1_11comp_targetILNS1_3genE10ELNS1_11target_archE1201ELNS1_3gpuE5ELNS1_3repE0EEENS1_30default_config_static_selectorELNS0_4arch9wavefront6targetE0EEEvSR_.num_agpr, 0
	.set _ZN7rocprim17ROCPRIM_400000_NS6detail17trampoline_kernelINS0_14default_configENS1_32segmented_reduce_config_selectorIN3c104HalfEEEZNS1_21segmented_reduce_implIS3_PKS6_PS6_PKiS6_N6hipcub16HIPCUB_304000_NS6detail27convert_result_type_wrapperISA_SB_N2at6native12_GLOBAL__N_110CustomProdEEEEE10hipError_tPvRmT0_T1_jT2_SS_T4_T3_P12ihipStream_tbEUlT_E_NS1_11comp_targetILNS1_3genE10ELNS1_11target_archE1201ELNS1_3gpuE5ELNS1_3repE0EEENS1_30default_config_static_selectorELNS0_4arch9wavefront6targetE0EEEvSR_.numbered_sgpr, 0
	.set _ZN7rocprim17ROCPRIM_400000_NS6detail17trampoline_kernelINS0_14default_configENS1_32segmented_reduce_config_selectorIN3c104HalfEEEZNS1_21segmented_reduce_implIS3_PKS6_PS6_PKiS6_N6hipcub16HIPCUB_304000_NS6detail27convert_result_type_wrapperISA_SB_N2at6native12_GLOBAL__N_110CustomProdEEEEE10hipError_tPvRmT0_T1_jT2_SS_T4_T3_P12ihipStream_tbEUlT_E_NS1_11comp_targetILNS1_3genE10ELNS1_11target_archE1201ELNS1_3gpuE5ELNS1_3repE0EEENS1_30default_config_static_selectorELNS0_4arch9wavefront6targetE0EEEvSR_.num_named_barrier, 0
	.set _ZN7rocprim17ROCPRIM_400000_NS6detail17trampoline_kernelINS0_14default_configENS1_32segmented_reduce_config_selectorIN3c104HalfEEEZNS1_21segmented_reduce_implIS3_PKS6_PS6_PKiS6_N6hipcub16HIPCUB_304000_NS6detail27convert_result_type_wrapperISA_SB_N2at6native12_GLOBAL__N_110CustomProdEEEEE10hipError_tPvRmT0_T1_jT2_SS_T4_T3_P12ihipStream_tbEUlT_E_NS1_11comp_targetILNS1_3genE10ELNS1_11target_archE1201ELNS1_3gpuE5ELNS1_3repE0EEENS1_30default_config_static_selectorELNS0_4arch9wavefront6targetE0EEEvSR_.private_seg_size, 0
	.set _ZN7rocprim17ROCPRIM_400000_NS6detail17trampoline_kernelINS0_14default_configENS1_32segmented_reduce_config_selectorIN3c104HalfEEEZNS1_21segmented_reduce_implIS3_PKS6_PS6_PKiS6_N6hipcub16HIPCUB_304000_NS6detail27convert_result_type_wrapperISA_SB_N2at6native12_GLOBAL__N_110CustomProdEEEEE10hipError_tPvRmT0_T1_jT2_SS_T4_T3_P12ihipStream_tbEUlT_E_NS1_11comp_targetILNS1_3genE10ELNS1_11target_archE1201ELNS1_3gpuE5ELNS1_3repE0EEENS1_30default_config_static_selectorELNS0_4arch9wavefront6targetE0EEEvSR_.uses_vcc, 0
	.set _ZN7rocprim17ROCPRIM_400000_NS6detail17trampoline_kernelINS0_14default_configENS1_32segmented_reduce_config_selectorIN3c104HalfEEEZNS1_21segmented_reduce_implIS3_PKS6_PS6_PKiS6_N6hipcub16HIPCUB_304000_NS6detail27convert_result_type_wrapperISA_SB_N2at6native12_GLOBAL__N_110CustomProdEEEEE10hipError_tPvRmT0_T1_jT2_SS_T4_T3_P12ihipStream_tbEUlT_E_NS1_11comp_targetILNS1_3genE10ELNS1_11target_archE1201ELNS1_3gpuE5ELNS1_3repE0EEENS1_30default_config_static_selectorELNS0_4arch9wavefront6targetE0EEEvSR_.uses_flat_scratch, 0
	.set _ZN7rocprim17ROCPRIM_400000_NS6detail17trampoline_kernelINS0_14default_configENS1_32segmented_reduce_config_selectorIN3c104HalfEEEZNS1_21segmented_reduce_implIS3_PKS6_PS6_PKiS6_N6hipcub16HIPCUB_304000_NS6detail27convert_result_type_wrapperISA_SB_N2at6native12_GLOBAL__N_110CustomProdEEEEE10hipError_tPvRmT0_T1_jT2_SS_T4_T3_P12ihipStream_tbEUlT_E_NS1_11comp_targetILNS1_3genE10ELNS1_11target_archE1201ELNS1_3gpuE5ELNS1_3repE0EEENS1_30default_config_static_selectorELNS0_4arch9wavefront6targetE0EEEvSR_.has_dyn_sized_stack, 0
	.set _ZN7rocprim17ROCPRIM_400000_NS6detail17trampoline_kernelINS0_14default_configENS1_32segmented_reduce_config_selectorIN3c104HalfEEEZNS1_21segmented_reduce_implIS3_PKS6_PS6_PKiS6_N6hipcub16HIPCUB_304000_NS6detail27convert_result_type_wrapperISA_SB_N2at6native12_GLOBAL__N_110CustomProdEEEEE10hipError_tPvRmT0_T1_jT2_SS_T4_T3_P12ihipStream_tbEUlT_E_NS1_11comp_targetILNS1_3genE10ELNS1_11target_archE1201ELNS1_3gpuE5ELNS1_3repE0EEENS1_30default_config_static_selectorELNS0_4arch9wavefront6targetE0EEEvSR_.has_recursion, 0
	.set _ZN7rocprim17ROCPRIM_400000_NS6detail17trampoline_kernelINS0_14default_configENS1_32segmented_reduce_config_selectorIN3c104HalfEEEZNS1_21segmented_reduce_implIS3_PKS6_PS6_PKiS6_N6hipcub16HIPCUB_304000_NS6detail27convert_result_type_wrapperISA_SB_N2at6native12_GLOBAL__N_110CustomProdEEEEE10hipError_tPvRmT0_T1_jT2_SS_T4_T3_P12ihipStream_tbEUlT_E_NS1_11comp_targetILNS1_3genE10ELNS1_11target_archE1201ELNS1_3gpuE5ELNS1_3repE0EEENS1_30default_config_static_selectorELNS0_4arch9wavefront6targetE0EEEvSR_.has_indirect_call, 0
	.section	.AMDGPU.csdata,"",@progbits
; Kernel info:
; codeLenInByte = 0
; TotalNumSgprs: 0
; NumVgprs: 0
; ScratchSize: 0
; MemoryBound: 0
; FloatMode: 240
; IeeeMode: 1
; LDSByteSize: 0 bytes/workgroup (compile time only)
; SGPRBlocks: 0
; VGPRBlocks: 0
; NumSGPRsForWavesPerEU: 1
; NumVGPRsForWavesPerEU: 1
; Occupancy: 16
; WaveLimiterHint : 0
; COMPUTE_PGM_RSRC2:SCRATCH_EN: 0
; COMPUTE_PGM_RSRC2:USER_SGPR: 6
; COMPUTE_PGM_RSRC2:TRAP_HANDLER: 0
; COMPUTE_PGM_RSRC2:TGID_X_EN: 1
; COMPUTE_PGM_RSRC2:TGID_Y_EN: 0
; COMPUTE_PGM_RSRC2:TGID_Z_EN: 0
; COMPUTE_PGM_RSRC2:TIDIG_COMP_CNT: 0
	.section	.text._ZN7rocprim17ROCPRIM_400000_NS6detail17trampoline_kernelINS0_14default_configENS1_32segmented_reduce_config_selectorIN3c104HalfEEEZNS1_21segmented_reduce_implIS3_PKS6_PS6_PKiS6_N6hipcub16HIPCUB_304000_NS6detail27convert_result_type_wrapperISA_SB_N2at6native12_GLOBAL__N_110CustomProdEEEEE10hipError_tPvRmT0_T1_jT2_SS_T4_T3_P12ihipStream_tbEUlT_E_NS1_11comp_targetILNS1_3genE4ELNS1_11target_archE910ELNS1_3gpuE8ELNS1_3repE0EEENS1_30default_config_static_selectorELNS0_4arch9wavefront6targetE0EEEvSR_,"axG",@progbits,_ZN7rocprim17ROCPRIM_400000_NS6detail17trampoline_kernelINS0_14default_configENS1_32segmented_reduce_config_selectorIN3c104HalfEEEZNS1_21segmented_reduce_implIS3_PKS6_PS6_PKiS6_N6hipcub16HIPCUB_304000_NS6detail27convert_result_type_wrapperISA_SB_N2at6native12_GLOBAL__N_110CustomProdEEEEE10hipError_tPvRmT0_T1_jT2_SS_T4_T3_P12ihipStream_tbEUlT_E_NS1_11comp_targetILNS1_3genE4ELNS1_11target_archE910ELNS1_3gpuE8ELNS1_3repE0EEENS1_30default_config_static_selectorELNS0_4arch9wavefront6targetE0EEEvSR_,comdat
	.globl	_ZN7rocprim17ROCPRIM_400000_NS6detail17trampoline_kernelINS0_14default_configENS1_32segmented_reduce_config_selectorIN3c104HalfEEEZNS1_21segmented_reduce_implIS3_PKS6_PS6_PKiS6_N6hipcub16HIPCUB_304000_NS6detail27convert_result_type_wrapperISA_SB_N2at6native12_GLOBAL__N_110CustomProdEEEEE10hipError_tPvRmT0_T1_jT2_SS_T4_T3_P12ihipStream_tbEUlT_E_NS1_11comp_targetILNS1_3genE4ELNS1_11target_archE910ELNS1_3gpuE8ELNS1_3repE0EEENS1_30default_config_static_selectorELNS0_4arch9wavefront6targetE0EEEvSR_ ; -- Begin function _ZN7rocprim17ROCPRIM_400000_NS6detail17trampoline_kernelINS0_14default_configENS1_32segmented_reduce_config_selectorIN3c104HalfEEEZNS1_21segmented_reduce_implIS3_PKS6_PS6_PKiS6_N6hipcub16HIPCUB_304000_NS6detail27convert_result_type_wrapperISA_SB_N2at6native12_GLOBAL__N_110CustomProdEEEEE10hipError_tPvRmT0_T1_jT2_SS_T4_T3_P12ihipStream_tbEUlT_E_NS1_11comp_targetILNS1_3genE4ELNS1_11target_archE910ELNS1_3gpuE8ELNS1_3repE0EEENS1_30default_config_static_selectorELNS0_4arch9wavefront6targetE0EEEvSR_
	.p2align	8
	.type	_ZN7rocprim17ROCPRIM_400000_NS6detail17trampoline_kernelINS0_14default_configENS1_32segmented_reduce_config_selectorIN3c104HalfEEEZNS1_21segmented_reduce_implIS3_PKS6_PS6_PKiS6_N6hipcub16HIPCUB_304000_NS6detail27convert_result_type_wrapperISA_SB_N2at6native12_GLOBAL__N_110CustomProdEEEEE10hipError_tPvRmT0_T1_jT2_SS_T4_T3_P12ihipStream_tbEUlT_E_NS1_11comp_targetILNS1_3genE4ELNS1_11target_archE910ELNS1_3gpuE8ELNS1_3repE0EEENS1_30default_config_static_selectorELNS0_4arch9wavefront6targetE0EEEvSR_,@function
_ZN7rocprim17ROCPRIM_400000_NS6detail17trampoline_kernelINS0_14default_configENS1_32segmented_reduce_config_selectorIN3c104HalfEEEZNS1_21segmented_reduce_implIS3_PKS6_PS6_PKiS6_N6hipcub16HIPCUB_304000_NS6detail27convert_result_type_wrapperISA_SB_N2at6native12_GLOBAL__N_110CustomProdEEEEE10hipError_tPvRmT0_T1_jT2_SS_T4_T3_P12ihipStream_tbEUlT_E_NS1_11comp_targetILNS1_3genE4ELNS1_11target_archE910ELNS1_3gpuE8ELNS1_3repE0EEENS1_30default_config_static_selectorELNS0_4arch9wavefront6targetE0EEEvSR_: ; @_ZN7rocprim17ROCPRIM_400000_NS6detail17trampoline_kernelINS0_14default_configENS1_32segmented_reduce_config_selectorIN3c104HalfEEEZNS1_21segmented_reduce_implIS3_PKS6_PS6_PKiS6_N6hipcub16HIPCUB_304000_NS6detail27convert_result_type_wrapperISA_SB_N2at6native12_GLOBAL__N_110CustomProdEEEEE10hipError_tPvRmT0_T1_jT2_SS_T4_T3_P12ihipStream_tbEUlT_E_NS1_11comp_targetILNS1_3genE4ELNS1_11target_archE910ELNS1_3gpuE8ELNS1_3repE0EEENS1_30default_config_static_selectorELNS0_4arch9wavefront6targetE0EEEvSR_
; %bb.0:
	.section	.rodata,"a",@progbits
	.p2align	6, 0x0
	.amdhsa_kernel _ZN7rocprim17ROCPRIM_400000_NS6detail17trampoline_kernelINS0_14default_configENS1_32segmented_reduce_config_selectorIN3c104HalfEEEZNS1_21segmented_reduce_implIS3_PKS6_PS6_PKiS6_N6hipcub16HIPCUB_304000_NS6detail27convert_result_type_wrapperISA_SB_N2at6native12_GLOBAL__N_110CustomProdEEEEE10hipError_tPvRmT0_T1_jT2_SS_T4_T3_P12ihipStream_tbEUlT_E_NS1_11comp_targetILNS1_3genE4ELNS1_11target_archE910ELNS1_3gpuE8ELNS1_3repE0EEENS1_30default_config_static_selectorELNS0_4arch9wavefront6targetE0EEEvSR_
		.amdhsa_group_segment_fixed_size 0
		.amdhsa_private_segment_fixed_size 0
		.amdhsa_kernarg_size 48
		.amdhsa_user_sgpr_count 6
		.amdhsa_user_sgpr_private_segment_buffer 1
		.amdhsa_user_sgpr_dispatch_ptr 0
		.amdhsa_user_sgpr_queue_ptr 0
		.amdhsa_user_sgpr_kernarg_segment_ptr 1
		.amdhsa_user_sgpr_dispatch_id 0
		.amdhsa_user_sgpr_flat_scratch_init 0
		.amdhsa_user_sgpr_private_segment_size 0
		.amdhsa_wavefront_size32 1
		.amdhsa_uses_dynamic_stack 0
		.amdhsa_system_sgpr_private_segment_wavefront_offset 0
		.amdhsa_system_sgpr_workgroup_id_x 1
		.amdhsa_system_sgpr_workgroup_id_y 0
		.amdhsa_system_sgpr_workgroup_id_z 0
		.amdhsa_system_sgpr_workgroup_info 0
		.amdhsa_system_vgpr_workitem_id 0
		.amdhsa_next_free_vgpr 1
		.amdhsa_next_free_sgpr 1
		.amdhsa_reserve_vcc 0
		.amdhsa_reserve_flat_scratch 0
		.amdhsa_float_round_mode_32 0
		.amdhsa_float_round_mode_16_64 0
		.amdhsa_float_denorm_mode_32 3
		.amdhsa_float_denorm_mode_16_64 3
		.amdhsa_dx10_clamp 1
		.amdhsa_ieee_mode 1
		.amdhsa_fp16_overflow 0
		.amdhsa_workgroup_processor_mode 1
		.amdhsa_memory_ordered 1
		.amdhsa_forward_progress 1
		.amdhsa_shared_vgpr_count 0
		.amdhsa_exception_fp_ieee_invalid_op 0
		.amdhsa_exception_fp_denorm_src 0
		.amdhsa_exception_fp_ieee_div_zero 0
		.amdhsa_exception_fp_ieee_overflow 0
		.amdhsa_exception_fp_ieee_underflow 0
		.amdhsa_exception_fp_ieee_inexact 0
		.amdhsa_exception_int_div_zero 0
	.end_amdhsa_kernel
	.section	.text._ZN7rocprim17ROCPRIM_400000_NS6detail17trampoline_kernelINS0_14default_configENS1_32segmented_reduce_config_selectorIN3c104HalfEEEZNS1_21segmented_reduce_implIS3_PKS6_PS6_PKiS6_N6hipcub16HIPCUB_304000_NS6detail27convert_result_type_wrapperISA_SB_N2at6native12_GLOBAL__N_110CustomProdEEEEE10hipError_tPvRmT0_T1_jT2_SS_T4_T3_P12ihipStream_tbEUlT_E_NS1_11comp_targetILNS1_3genE4ELNS1_11target_archE910ELNS1_3gpuE8ELNS1_3repE0EEENS1_30default_config_static_selectorELNS0_4arch9wavefront6targetE0EEEvSR_,"axG",@progbits,_ZN7rocprim17ROCPRIM_400000_NS6detail17trampoline_kernelINS0_14default_configENS1_32segmented_reduce_config_selectorIN3c104HalfEEEZNS1_21segmented_reduce_implIS3_PKS6_PS6_PKiS6_N6hipcub16HIPCUB_304000_NS6detail27convert_result_type_wrapperISA_SB_N2at6native12_GLOBAL__N_110CustomProdEEEEE10hipError_tPvRmT0_T1_jT2_SS_T4_T3_P12ihipStream_tbEUlT_E_NS1_11comp_targetILNS1_3genE4ELNS1_11target_archE910ELNS1_3gpuE8ELNS1_3repE0EEENS1_30default_config_static_selectorELNS0_4arch9wavefront6targetE0EEEvSR_,comdat
.Lfunc_end105:
	.size	_ZN7rocprim17ROCPRIM_400000_NS6detail17trampoline_kernelINS0_14default_configENS1_32segmented_reduce_config_selectorIN3c104HalfEEEZNS1_21segmented_reduce_implIS3_PKS6_PS6_PKiS6_N6hipcub16HIPCUB_304000_NS6detail27convert_result_type_wrapperISA_SB_N2at6native12_GLOBAL__N_110CustomProdEEEEE10hipError_tPvRmT0_T1_jT2_SS_T4_T3_P12ihipStream_tbEUlT_E_NS1_11comp_targetILNS1_3genE4ELNS1_11target_archE910ELNS1_3gpuE8ELNS1_3repE0EEENS1_30default_config_static_selectorELNS0_4arch9wavefront6targetE0EEEvSR_, .Lfunc_end105-_ZN7rocprim17ROCPRIM_400000_NS6detail17trampoline_kernelINS0_14default_configENS1_32segmented_reduce_config_selectorIN3c104HalfEEEZNS1_21segmented_reduce_implIS3_PKS6_PS6_PKiS6_N6hipcub16HIPCUB_304000_NS6detail27convert_result_type_wrapperISA_SB_N2at6native12_GLOBAL__N_110CustomProdEEEEE10hipError_tPvRmT0_T1_jT2_SS_T4_T3_P12ihipStream_tbEUlT_E_NS1_11comp_targetILNS1_3genE4ELNS1_11target_archE910ELNS1_3gpuE8ELNS1_3repE0EEENS1_30default_config_static_selectorELNS0_4arch9wavefront6targetE0EEEvSR_
                                        ; -- End function
	.set _ZN7rocprim17ROCPRIM_400000_NS6detail17trampoline_kernelINS0_14default_configENS1_32segmented_reduce_config_selectorIN3c104HalfEEEZNS1_21segmented_reduce_implIS3_PKS6_PS6_PKiS6_N6hipcub16HIPCUB_304000_NS6detail27convert_result_type_wrapperISA_SB_N2at6native12_GLOBAL__N_110CustomProdEEEEE10hipError_tPvRmT0_T1_jT2_SS_T4_T3_P12ihipStream_tbEUlT_E_NS1_11comp_targetILNS1_3genE4ELNS1_11target_archE910ELNS1_3gpuE8ELNS1_3repE0EEENS1_30default_config_static_selectorELNS0_4arch9wavefront6targetE0EEEvSR_.num_vgpr, 0
	.set _ZN7rocprim17ROCPRIM_400000_NS6detail17trampoline_kernelINS0_14default_configENS1_32segmented_reduce_config_selectorIN3c104HalfEEEZNS1_21segmented_reduce_implIS3_PKS6_PS6_PKiS6_N6hipcub16HIPCUB_304000_NS6detail27convert_result_type_wrapperISA_SB_N2at6native12_GLOBAL__N_110CustomProdEEEEE10hipError_tPvRmT0_T1_jT2_SS_T4_T3_P12ihipStream_tbEUlT_E_NS1_11comp_targetILNS1_3genE4ELNS1_11target_archE910ELNS1_3gpuE8ELNS1_3repE0EEENS1_30default_config_static_selectorELNS0_4arch9wavefront6targetE0EEEvSR_.num_agpr, 0
	.set _ZN7rocprim17ROCPRIM_400000_NS6detail17trampoline_kernelINS0_14default_configENS1_32segmented_reduce_config_selectorIN3c104HalfEEEZNS1_21segmented_reduce_implIS3_PKS6_PS6_PKiS6_N6hipcub16HIPCUB_304000_NS6detail27convert_result_type_wrapperISA_SB_N2at6native12_GLOBAL__N_110CustomProdEEEEE10hipError_tPvRmT0_T1_jT2_SS_T4_T3_P12ihipStream_tbEUlT_E_NS1_11comp_targetILNS1_3genE4ELNS1_11target_archE910ELNS1_3gpuE8ELNS1_3repE0EEENS1_30default_config_static_selectorELNS0_4arch9wavefront6targetE0EEEvSR_.numbered_sgpr, 0
	.set _ZN7rocprim17ROCPRIM_400000_NS6detail17trampoline_kernelINS0_14default_configENS1_32segmented_reduce_config_selectorIN3c104HalfEEEZNS1_21segmented_reduce_implIS3_PKS6_PS6_PKiS6_N6hipcub16HIPCUB_304000_NS6detail27convert_result_type_wrapperISA_SB_N2at6native12_GLOBAL__N_110CustomProdEEEEE10hipError_tPvRmT0_T1_jT2_SS_T4_T3_P12ihipStream_tbEUlT_E_NS1_11comp_targetILNS1_3genE4ELNS1_11target_archE910ELNS1_3gpuE8ELNS1_3repE0EEENS1_30default_config_static_selectorELNS0_4arch9wavefront6targetE0EEEvSR_.num_named_barrier, 0
	.set _ZN7rocprim17ROCPRIM_400000_NS6detail17trampoline_kernelINS0_14default_configENS1_32segmented_reduce_config_selectorIN3c104HalfEEEZNS1_21segmented_reduce_implIS3_PKS6_PS6_PKiS6_N6hipcub16HIPCUB_304000_NS6detail27convert_result_type_wrapperISA_SB_N2at6native12_GLOBAL__N_110CustomProdEEEEE10hipError_tPvRmT0_T1_jT2_SS_T4_T3_P12ihipStream_tbEUlT_E_NS1_11comp_targetILNS1_3genE4ELNS1_11target_archE910ELNS1_3gpuE8ELNS1_3repE0EEENS1_30default_config_static_selectorELNS0_4arch9wavefront6targetE0EEEvSR_.private_seg_size, 0
	.set _ZN7rocprim17ROCPRIM_400000_NS6detail17trampoline_kernelINS0_14default_configENS1_32segmented_reduce_config_selectorIN3c104HalfEEEZNS1_21segmented_reduce_implIS3_PKS6_PS6_PKiS6_N6hipcub16HIPCUB_304000_NS6detail27convert_result_type_wrapperISA_SB_N2at6native12_GLOBAL__N_110CustomProdEEEEE10hipError_tPvRmT0_T1_jT2_SS_T4_T3_P12ihipStream_tbEUlT_E_NS1_11comp_targetILNS1_3genE4ELNS1_11target_archE910ELNS1_3gpuE8ELNS1_3repE0EEENS1_30default_config_static_selectorELNS0_4arch9wavefront6targetE0EEEvSR_.uses_vcc, 0
	.set _ZN7rocprim17ROCPRIM_400000_NS6detail17trampoline_kernelINS0_14default_configENS1_32segmented_reduce_config_selectorIN3c104HalfEEEZNS1_21segmented_reduce_implIS3_PKS6_PS6_PKiS6_N6hipcub16HIPCUB_304000_NS6detail27convert_result_type_wrapperISA_SB_N2at6native12_GLOBAL__N_110CustomProdEEEEE10hipError_tPvRmT0_T1_jT2_SS_T4_T3_P12ihipStream_tbEUlT_E_NS1_11comp_targetILNS1_3genE4ELNS1_11target_archE910ELNS1_3gpuE8ELNS1_3repE0EEENS1_30default_config_static_selectorELNS0_4arch9wavefront6targetE0EEEvSR_.uses_flat_scratch, 0
	.set _ZN7rocprim17ROCPRIM_400000_NS6detail17trampoline_kernelINS0_14default_configENS1_32segmented_reduce_config_selectorIN3c104HalfEEEZNS1_21segmented_reduce_implIS3_PKS6_PS6_PKiS6_N6hipcub16HIPCUB_304000_NS6detail27convert_result_type_wrapperISA_SB_N2at6native12_GLOBAL__N_110CustomProdEEEEE10hipError_tPvRmT0_T1_jT2_SS_T4_T3_P12ihipStream_tbEUlT_E_NS1_11comp_targetILNS1_3genE4ELNS1_11target_archE910ELNS1_3gpuE8ELNS1_3repE0EEENS1_30default_config_static_selectorELNS0_4arch9wavefront6targetE0EEEvSR_.has_dyn_sized_stack, 0
	.set _ZN7rocprim17ROCPRIM_400000_NS6detail17trampoline_kernelINS0_14default_configENS1_32segmented_reduce_config_selectorIN3c104HalfEEEZNS1_21segmented_reduce_implIS3_PKS6_PS6_PKiS6_N6hipcub16HIPCUB_304000_NS6detail27convert_result_type_wrapperISA_SB_N2at6native12_GLOBAL__N_110CustomProdEEEEE10hipError_tPvRmT0_T1_jT2_SS_T4_T3_P12ihipStream_tbEUlT_E_NS1_11comp_targetILNS1_3genE4ELNS1_11target_archE910ELNS1_3gpuE8ELNS1_3repE0EEENS1_30default_config_static_selectorELNS0_4arch9wavefront6targetE0EEEvSR_.has_recursion, 0
	.set _ZN7rocprim17ROCPRIM_400000_NS6detail17trampoline_kernelINS0_14default_configENS1_32segmented_reduce_config_selectorIN3c104HalfEEEZNS1_21segmented_reduce_implIS3_PKS6_PS6_PKiS6_N6hipcub16HIPCUB_304000_NS6detail27convert_result_type_wrapperISA_SB_N2at6native12_GLOBAL__N_110CustomProdEEEEE10hipError_tPvRmT0_T1_jT2_SS_T4_T3_P12ihipStream_tbEUlT_E_NS1_11comp_targetILNS1_3genE4ELNS1_11target_archE910ELNS1_3gpuE8ELNS1_3repE0EEENS1_30default_config_static_selectorELNS0_4arch9wavefront6targetE0EEEvSR_.has_indirect_call, 0
	.section	.AMDGPU.csdata,"",@progbits
; Kernel info:
; codeLenInByte = 0
; TotalNumSgprs: 0
; NumVgprs: 0
; ScratchSize: 0
; MemoryBound: 0
; FloatMode: 240
; IeeeMode: 1
; LDSByteSize: 0 bytes/workgroup (compile time only)
; SGPRBlocks: 0
; VGPRBlocks: 0
; NumSGPRsForWavesPerEU: 1
; NumVGPRsForWavesPerEU: 1
; Occupancy: 16
; WaveLimiterHint : 0
; COMPUTE_PGM_RSRC2:SCRATCH_EN: 0
; COMPUTE_PGM_RSRC2:USER_SGPR: 6
; COMPUTE_PGM_RSRC2:TRAP_HANDLER: 0
; COMPUTE_PGM_RSRC2:TGID_X_EN: 1
; COMPUTE_PGM_RSRC2:TGID_Y_EN: 0
; COMPUTE_PGM_RSRC2:TGID_Z_EN: 0
; COMPUTE_PGM_RSRC2:TIDIG_COMP_CNT: 0
	.section	.text._ZN7rocprim17ROCPRIM_400000_NS6detail17trampoline_kernelINS0_14default_configENS1_32segmented_reduce_config_selectorIN3c104HalfEEEZNS1_21segmented_reduce_implIS3_PKS6_PS6_PKiS6_N6hipcub16HIPCUB_304000_NS6detail27convert_result_type_wrapperISA_SB_N2at6native12_GLOBAL__N_110CustomProdEEEEE10hipError_tPvRmT0_T1_jT2_SS_T4_T3_P12ihipStream_tbEUlT_E_NS1_11comp_targetILNS1_3genE3ELNS1_11target_archE908ELNS1_3gpuE7ELNS1_3repE0EEENS1_30default_config_static_selectorELNS0_4arch9wavefront6targetE0EEEvSR_,"axG",@progbits,_ZN7rocprim17ROCPRIM_400000_NS6detail17trampoline_kernelINS0_14default_configENS1_32segmented_reduce_config_selectorIN3c104HalfEEEZNS1_21segmented_reduce_implIS3_PKS6_PS6_PKiS6_N6hipcub16HIPCUB_304000_NS6detail27convert_result_type_wrapperISA_SB_N2at6native12_GLOBAL__N_110CustomProdEEEEE10hipError_tPvRmT0_T1_jT2_SS_T4_T3_P12ihipStream_tbEUlT_E_NS1_11comp_targetILNS1_3genE3ELNS1_11target_archE908ELNS1_3gpuE7ELNS1_3repE0EEENS1_30default_config_static_selectorELNS0_4arch9wavefront6targetE0EEEvSR_,comdat
	.globl	_ZN7rocprim17ROCPRIM_400000_NS6detail17trampoline_kernelINS0_14default_configENS1_32segmented_reduce_config_selectorIN3c104HalfEEEZNS1_21segmented_reduce_implIS3_PKS6_PS6_PKiS6_N6hipcub16HIPCUB_304000_NS6detail27convert_result_type_wrapperISA_SB_N2at6native12_GLOBAL__N_110CustomProdEEEEE10hipError_tPvRmT0_T1_jT2_SS_T4_T3_P12ihipStream_tbEUlT_E_NS1_11comp_targetILNS1_3genE3ELNS1_11target_archE908ELNS1_3gpuE7ELNS1_3repE0EEENS1_30default_config_static_selectorELNS0_4arch9wavefront6targetE0EEEvSR_ ; -- Begin function _ZN7rocprim17ROCPRIM_400000_NS6detail17trampoline_kernelINS0_14default_configENS1_32segmented_reduce_config_selectorIN3c104HalfEEEZNS1_21segmented_reduce_implIS3_PKS6_PS6_PKiS6_N6hipcub16HIPCUB_304000_NS6detail27convert_result_type_wrapperISA_SB_N2at6native12_GLOBAL__N_110CustomProdEEEEE10hipError_tPvRmT0_T1_jT2_SS_T4_T3_P12ihipStream_tbEUlT_E_NS1_11comp_targetILNS1_3genE3ELNS1_11target_archE908ELNS1_3gpuE7ELNS1_3repE0EEENS1_30default_config_static_selectorELNS0_4arch9wavefront6targetE0EEEvSR_
	.p2align	8
	.type	_ZN7rocprim17ROCPRIM_400000_NS6detail17trampoline_kernelINS0_14default_configENS1_32segmented_reduce_config_selectorIN3c104HalfEEEZNS1_21segmented_reduce_implIS3_PKS6_PS6_PKiS6_N6hipcub16HIPCUB_304000_NS6detail27convert_result_type_wrapperISA_SB_N2at6native12_GLOBAL__N_110CustomProdEEEEE10hipError_tPvRmT0_T1_jT2_SS_T4_T3_P12ihipStream_tbEUlT_E_NS1_11comp_targetILNS1_3genE3ELNS1_11target_archE908ELNS1_3gpuE7ELNS1_3repE0EEENS1_30default_config_static_selectorELNS0_4arch9wavefront6targetE0EEEvSR_,@function
_ZN7rocprim17ROCPRIM_400000_NS6detail17trampoline_kernelINS0_14default_configENS1_32segmented_reduce_config_selectorIN3c104HalfEEEZNS1_21segmented_reduce_implIS3_PKS6_PS6_PKiS6_N6hipcub16HIPCUB_304000_NS6detail27convert_result_type_wrapperISA_SB_N2at6native12_GLOBAL__N_110CustomProdEEEEE10hipError_tPvRmT0_T1_jT2_SS_T4_T3_P12ihipStream_tbEUlT_E_NS1_11comp_targetILNS1_3genE3ELNS1_11target_archE908ELNS1_3gpuE7ELNS1_3repE0EEENS1_30default_config_static_selectorELNS0_4arch9wavefront6targetE0EEEvSR_: ; @_ZN7rocprim17ROCPRIM_400000_NS6detail17trampoline_kernelINS0_14default_configENS1_32segmented_reduce_config_selectorIN3c104HalfEEEZNS1_21segmented_reduce_implIS3_PKS6_PS6_PKiS6_N6hipcub16HIPCUB_304000_NS6detail27convert_result_type_wrapperISA_SB_N2at6native12_GLOBAL__N_110CustomProdEEEEE10hipError_tPvRmT0_T1_jT2_SS_T4_T3_P12ihipStream_tbEUlT_E_NS1_11comp_targetILNS1_3genE3ELNS1_11target_archE908ELNS1_3gpuE7ELNS1_3repE0EEENS1_30default_config_static_selectorELNS0_4arch9wavefront6targetE0EEEvSR_
; %bb.0:
	.section	.rodata,"a",@progbits
	.p2align	6, 0x0
	.amdhsa_kernel _ZN7rocprim17ROCPRIM_400000_NS6detail17trampoline_kernelINS0_14default_configENS1_32segmented_reduce_config_selectorIN3c104HalfEEEZNS1_21segmented_reduce_implIS3_PKS6_PS6_PKiS6_N6hipcub16HIPCUB_304000_NS6detail27convert_result_type_wrapperISA_SB_N2at6native12_GLOBAL__N_110CustomProdEEEEE10hipError_tPvRmT0_T1_jT2_SS_T4_T3_P12ihipStream_tbEUlT_E_NS1_11comp_targetILNS1_3genE3ELNS1_11target_archE908ELNS1_3gpuE7ELNS1_3repE0EEENS1_30default_config_static_selectorELNS0_4arch9wavefront6targetE0EEEvSR_
		.amdhsa_group_segment_fixed_size 0
		.amdhsa_private_segment_fixed_size 0
		.amdhsa_kernarg_size 48
		.amdhsa_user_sgpr_count 6
		.amdhsa_user_sgpr_private_segment_buffer 1
		.amdhsa_user_sgpr_dispatch_ptr 0
		.amdhsa_user_sgpr_queue_ptr 0
		.amdhsa_user_sgpr_kernarg_segment_ptr 1
		.amdhsa_user_sgpr_dispatch_id 0
		.amdhsa_user_sgpr_flat_scratch_init 0
		.amdhsa_user_sgpr_private_segment_size 0
		.amdhsa_wavefront_size32 1
		.amdhsa_uses_dynamic_stack 0
		.amdhsa_system_sgpr_private_segment_wavefront_offset 0
		.amdhsa_system_sgpr_workgroup_id_x 1
		.amdhsa_system_sgpr_workgroup_id_y 0
		.amdhsa_system_sgpr_workgroup_id_z 0
		.amdhsa_system_sgpr_workgroup_info 0
		.amdhsa_system_vgpr_workitem_id 0
		.amdhsa_next_free_vgpr 1
		.amdhsa_next_free_sgpr 1
		.amdhsa_reserve_vcc 0
		.amdhsa_reserve_flat_scratch 0
		.amdhsa_float_round_mode_32 0
		.amdhsa_float_round_mode_16_64 0
		.amdhsa_float_denorm_mode_32 3
		.amdhsa_float_denorm_mode_16_64 3
		.amdhsa_dx10_clamp 1
		.amdhsa_ieee_mode 1
		.amdhsa_fp16_overflow 0
		.amdhsa_workgroup_processor_mode 1
		.amdhsa_memory_ordered 1
		.amdhsa_forward_progress 1
		.amdhsa_shared_vgpr_count 0
		.amdhsa_exception_fp_ieee_invalid_op 0
		.amdhsa_exception_fp_denorm_src 0
		.amdhsa_exception_fp_ieee_div_zero 0
		.amdhsa_exception_fp_ieee_overflow 0
		.amdhsa_exception_fp_ieee_underflow 0
		.amdhsa_exception_fp_ieee_inexact 0
		.amdhsa_exception_int_div_zero 0
	.end_amdhsa_kernel
	.section	.text._ZN7rocprim17ROCPRIM_400000_NS6detail17trampoline_kernelINS0_14default_configENS1_32segmented_reduce_config_selectorIN3c104HalfEEEZNS1_21segmented_reduce_implIS3_PKS6_PS6_PKiS6_N6hipcub16HIPCUB_304000_NS6detail27convert_result_type_wrapperISA_SB_N2at6native12_GLOBAL__N_110CustomProdEEEEE10hipError_tPvRmT0_T1_jT2_SS_T4_T3_P12ihipStream_tbEUlT_E_NS1_11comp_targetILNS1_3genE3ELNS1_11target_archE908ELNS1_3gpuE7ELNS1_3repE0EEENS1_30default_config_static_selectorELNS0_4arch9wavefront6targetE0EEEvSR_,"axG",@progbits,_ZN7rocprim17ROCPRIM_400000_NS6detail17trampoline_kernelINS0_14default_configENS1_32segmented_reduce_config_selectorIN3c104HalfEEEZNS1_21segmented_reduce_implIS3_PKS6_PS6_PKiS6_N6hipcub16HIPCUB_304000_NS6detail27convert_result_type_wrapperISA_SB_N2at6native12_GLOBAL__N_110CustomProdEEEEE10hipError_tPvRmT0_T1_jT2_SS_T4_T3_P12ihipStream_tbEUlT_E_NS1_11comp_targetILNS1_3genE3ELNS1_11target_archE908ELNS1_3gpuE7ELNS1_3repE0EEENS1_30default_config_static_selectorELNS0_4arch9wavefront6targetE0EEEvSR_,comdat
.Lfunc_end106:
	.size	_ZN7rocprim17ROCPRIM_400000_NS6detail17trampoline_kernelINS0_14default_configENS1_32segmented_reduce_config_selectorIN3c104HalfEEEZNS1_21segmented_reduce_implIS3_PKS6_PS6_PKiS6_N6hipcub16HIPCUB_304000_NS6detail27convert_result_type_wrapperISA_SB_N2at6native12_GLOBAL__N_110CustomProdEEEEE10hipError_tPvRmT0_T1_jT2_SS_T4_T3_P12ihipStream_tbEUlT_E_NS1_11comp_targetILNS1_3genE3ELNS1_11target_archE908ELNS1_3gpuE7ELNS1_3repE0EEENS1_30default_config_static_selectorELNS0_4arch9wavefront6targetE0EEEvSR_, .Lfunc_end106-_ZN7rocprim17ROCPRIM_400000_NS6detail17trampoline_kernelINS0_14default_configENS1_32segmented_reduce_config_selectorIN3c104HalfEEEZNS1_21segmented_reduce_implIS3_PKS6_PS6_PKiS6_N6hipcub16HIPCUB_304000_NS6detail27convert_result_type_wrapperISA_SB_N2at6native12_GLOBAL__N_110CustomProdEEEEE10hipError_tPvRmT0_T1_jT2_SS_T4_T3_P12ihipStream_tbEUlT_E_NS1_11comp_targetILNS1_3genE3ELNS1_11target_archE908ELNS1_3gpuE7ELNS1_3repE0EEENS1_30default_config_static_selectorELNS0_4arch9wavefront6targetE0EEEvSR_
                                        ; -- End function
	.set _ZN7rocprim17ROCPRIM_400000_NS6detail17trampoline_kernelINS0_14default_configENS1_32segmented_reduce_config_selectorIN3c104HalfEEEZNS1_21segmented_reduce_implIS3_PKS6_PS6_PKiS6_N6hipcub16HIPCUB_304000_NS6detail27convert_result_type_wrapperISA_SB_N2at6native12_GLOBAL__N_110CustomProdEEEEE10hipError_tPvRmT0_T1_jT2_SS_T4_T3_P12ihipStream_tbEUlT_E_NS1_11comp_targetILNS1_3genE3ELNS1_11target_archE908ELNS1_3gpuE7ELNS1_3repE0EEENS1_30default_config_static_selectorELNS0_4arch9wavefront6targetE0EEEvSR_.num_vgpr, 0
	.set _ZN7rocprim17ROCPRIM_400000_NS6detail17trampoline_kernelINS0_14default_configENS1_32segmented_reduce_config_selectorIN3c104HalfEEEZNS1_21segmented_reduce_implIS3_PKS6_PS6_PKiS6_N6hipcub16HIPCUB_304000_NS6detail27convert_result_type_wrapperISA_SB_N2at6native12_GLOBAL__N_110CustomProdEEEEE10hipError_tPvRmT0_T1_jT2_SS_T4_T3_P12ihipStream_tbEUlT_E_NS1_11comp_targetILNS1_3genE3ELNS1_11target_archE908ELNS1_3gpuE7ELNS1_3repE0EEENS1_30default_config_static_selectorELNS0_4arch9wavefront6targetE0EEEvSR_.num_agpr, 0
	.set _ZN7rocprim17ROCPRIM_400000_NS6detail17trampoline_kernelINS0_14default_configENS1_32segmented_reduce_config_selectorIN3c104HalfEEEZNS1_21segmented_reduce_implIS3_PKS6_PS6_PKiS6_N6hipcub16HIPCUB_304000_NS6detail27convert_result_type_wrapperISA_SB_N2at6native12_GLOBAL__N_110CustomProdEEEEE10hipError_tPvRmT0_T1_jT2_SS_T4_T3_P12ihipStream_tbEUlT_E_NS1_11comp_targetILNS1_3genE3ELNS1_11target_archE908ELNS1_3gpuE7ELNS1_3repE0EEENS1_30default_config_static_selectorELNS0_4arch9wavefront6targetE0EEEvSR_.numbered_sgpr, 0
	.set _ZN7rocprim17ROCPRIM_400000_NS6detail17trampoline_kernelINS0_14default_configENS1_32segmented_reduce_config_selectorIN3c104HalfEEEZNS1_21segmented_reduce_implIS3_PKS6_PS6_PKiS6_N6hipcub16HIPCUB_304000_NS6detail27convert_result_type_wrapperISA_SB_N2at6native12_GLOBAL__N_110CustomProdEEEEE10hipError_tPvRmT0_T1_jT2_SS_T4_T3_P12ihipStream_tbEUlT_E_NS1_11comp_targetILNS1_3genE3ELNS1_11target_archE908ELNS1_3gpuE7ELNS1_3repE0EEENS1_30default_config_static_selectorELNS0_4arch9wavefront6targetE0EEEvSR_.num_named_barrier, 0
	.set _ZN7rocprim17ROCPRIM_400000_NS6detail17trampoline_kernelINS0_14default_configENS1_32segmented_reduce_config_selectorIN3c104HalfEEEZNS1_21segmented_reduce_implIS3_PKS6_PS6_PKiS6_N6hipcub16HIPCUB_304000_NS6detail27convert_result_type_wrapperISA_SB_N2at6native12_GLOBAL__N_110CustomProdEEEEE10hipError_tPvRmT0_T1_jT2_SS_T4_T3_P12ihipStream_tbEUlT_E_NS1_11comp_targetILNS1_3genE3ELNS1_11target_archE908ELNS1_3gpuE7ELNS1_3repE0EEENS1_30default_config_static_selectorELNS0_4arch9wavefront6targetE0EEEvSR_.private_seg_size, 0
	.set _ZN7rocprim17ROCPRIM_400000_NS6detail17trampoline_kernelINS0_14default_configENS1_32segmented_reduce_config_selectorIN3c104HalfEEEZNS1_21segmented_reduce_implIS3_PKS6_PS6_PKiS6_N6hipcub16HIPCUB_304000_NS6detail27convert_result_type_wrapperISA_SB_N2at6native12_GLOBAL__N_110CustomProdEEEEE10hipError_tPvRmT0_T1_jT2_SS_T4_T3_P12ihipStream_tbEUlT_E_NS1_11comp_targetILNS1_3genE3ELNS1_11target_archE908ELNS1_3gpuE7ELNS1_3repE0EEENS1_30default_config_static_selectorELNS0_4arch9wavefront6targetE0EEEvSR_.uses_vcc, 0
	.set _ZN7rocprim17ROCPRIM_400000_NS6detail17trampoline_kernelINS0_14default_configENS1_32segmented_reduce_config_selectorIN3c104HalfEEEZNS1_21segmented_reduce_implIS3_PKS6_PS6_PKiS6_N6hipcub16HIPCUB_304000_NS6detail27convert_result_type_wrapperISA_SB_N2at6native12_GLOBAL__N_110CustomProdEEEEE10hipError_tPvRmT0_T1_jT2_SS_T4_T3_P12ihipStream_tbEUlT_E_NS1_11comp_targetILNS1_3genE3ELNS1_11target_archE908ELNS1_3gpuE7ELNS1_3repE0EEENS1_30default_config_static_selectorELNS0_4arch9wavefront6targetE0EEEvSR_.uses_flat_scratch, 0
	.set _ZN7rocprim17ROCPRIM_400000_NS6detail17trampoline_kernelINS0_14default_configENS1_32segmented_reduce_config_selectorIN3c104HalfEEEZNS1_21segmented_reduce_implIS3_PKS6_PS6_PKiS6_N6hipcub16HIPCUB_304000_NS6detail27convert_result_type_wrapperISA_SB_N2at6native12_GLOBAL__N_110CustomProdEEEEE10hipError_tPvRmT0_T1_jT2_SS_T4_T3_P12ihipStream_tbEUlT_E_NS1_11comp_targetILNS1_3genE3ELNS1_11target_archE908ELNS1_3gpuE7ELNS1_3repE0EEENS1_30default_config_static_selectorELNS0_4arch9wavefront6targetE0EEEvSR_.has_dyn_sized_stack, 0
	.set _ZN7rocprim17ROCPRIM_400000_NS6detail17trampoline_kernelINS0_14default_configENS1_32segmented_reduce_config_selectorIN3c104HalfEEEZNS1_21segmented_reduce_implIS3_PKS6_PS6_PKiS6_N6hipcub16HIPCUB_304000_NS6detail27convert_result_type_wrapperISA_SB_N2at6native12_GLOBAL__N_110CustomProdEEEEE10hipError_tPvRmT0_T1_jT2_SS_T4_T3_P12ihipStream_tbEUlT_E_NS1_11comp_targetILNS1_3genE3ELNS1_11target_archE908ELNS1_3gpuE7ELNS1_3repE0EEENS1_30default_config_static_selectorELNS0_4arch9wavefront6targetE0EEEvSR_.has_recursion, 0
	.set _ZN7rocprim17ROCPRIM_400000_NS6detail17trampoline_kernelINS0_14default_configENS1_32segmented_reduce_config_selectorIN3c104HalfEEEZNS1_21segmented_reduce_implIS3_PKS6_PS6_PKiS6_N6hipcub16HIPCUB_304000_NS6detail27convert_result_type_wrapperISA_SB_N2at6native12_GLOBAL__N_110CustomProdEEEEE10hipError_tPvRmT0_T1_jT2_SS_T4_T3_P12ihipStream_tbEUlT_E_NS1_11comp_targetILNS1_3genE3ELNS1_11target_archE908ELNS1_3gpuE7ELNS1_3repE0EEENS1_30default_config_static_selectorELNS0_4arch9wavefront6targetE0EEEvSR_.has_indirect_call, 0
	.section	.AMDGPU.csdata,"",@progbits
; Kernel info:
; codeLenInByte = 0
; TotalNumSgprs: 0
; NumVgprs: 0
; ScratchSize: 0
; MemoryBound: 0
; FloatMode: 240
; IeeeMode: 1
; LDSByteSize: 0 bytes/workgroup (compile time only)
; SGPRBlocks: 0
; VGPRBlocks: 0
; NumSGPRsForWavesPerEU: 1
; NumVGPRsForWavesPerEU: 1
; Occupancy: 16
; WaveLimiterHint : 0
; COMPUTE_PGM_RSRC2:SCRATCH_EN: 0
; COMPUTE_PGM_RSRC2:USER_SGPR: 6
; COMPUTE_PGM_RSRC2:TRAP_HANDLER: 0
; COMPUTE_PGM_RSRC2:TGID_X_EN: 1
; COMPUTE_PGM_RSRC2:TGID_Y_EN: 0
; COMPUTE_PGM_RSRC2:TGID_Z_EN: 0
; COMPUTE_PGM_RSRC2:TIDIG_COMP_CNT: 0
	.section	.text._ZN7rocprim17ROCPRIM_400000_NS6detail17trampoline_kernelINS0_14default_configENS1_32segmented_reduce_config_selectorIN3c104HalfEEEZNS1_21segmented_reduce_implIS3_PKS6_PS6_PKiS6_N6hipcub16HIPCUB_304000_NS6detail27convert_result_type_wrapperISA_SB_N2at6native12_GLOBAL__N_110CustomProdEEEEE10hipError_tPvRmT0_T1_jT2_SS_T4_T3_P12ihipStream_tbEUlT_E_NS1_11comp_targetILNS1_3genE2ELNS1_11target_archE906ELNS1_3gpuE6ELNS1_3repE0EEENS1_30default_config_static_selectorELNS0_4arch9wavefront6targetE0EEEvSR_,"axG",@progbits,_ZN7rocprim17ROCPRIM_400000_NS6detail17trampoline_kernelINS0_14default_configENS1_32segmented_reduce_config_selectorIN3c104HalfEEEZNS1_21segmented_reduce_implIS3_PKS6_PS6_PKiS6_N6hipcub16HIPCUB_304000_NS6detail27convert_result_type_wrapperISA_SB_N2at6native12_GLOBAL__N_110CustomProdEEEEE10hipError_tPvRmT0_T1_jT2_SS_T4_T3_P12ihipStream_tbEUlT_E_NS1_11comp_targetILNS1_3genE2ELNS1_11target_archE906ELNS1_3gpuE6ELNS1_3repE0EEENS1_30default_config_static_selectorELNS0_4arch9wavefront6targetE0EEEvSR_,comdat
	.globl	_ZN7rocprim17ROCPRIM_400000_NS6detail17trampoline_kernelINS0_14default_configENS1_32segmented_reduce_config_selectorIN3c104HalfEEEZNS1_21segmented_reduce_implIS3_PKS6_PS6_PKiS6_N6hipcub16HIPCUB_304000_NS6detail27convert_result_type_wrapperISA_SB_N2at6native12_GLOBAL__N_110CustomProdEEEEE10hipError_tPvRmT0_T1_jT2_SS_T4_T3_P12ihipStream_tbEUlT_E_NS1_11comp_targetILNS1_3genE2ELNS1_11target_archE906ELNS1_3gpuE6ELNS1_3repE0EEENS1_30default_config_static_selectorELNS0_4arch9wavefront6targetE0EEEvSR_ ; -- Begin function _ZN7rocprim17ROCPRIM_400000_NS6detail17trampoline_kernelINS0_14default_configENS1_32segmented_reduce_config_selectorIN3c104HalfEEEZNS1_21segmented_reduce_implIS3_PKS6_PS6_PKiS6_N6hipcub16HIPCUB_304000_NS6detail27convert_result_type_wrapperISA_SB_N2at6native12_GLOBAL__N_110CustomProdEEEEE10hipError_tPvRmT0_T1_jT2_SS_T4_T3_P12ihipStream_tbEUlT_E_NS1_11comp_targetILNS1_3genE2ELNS1_11target_archE906ELNS1_3gpuE6ELNS1_3repE0EEENS1_30default_config_static_selectorELNS0_4arch9wavefront6targetE0EEEvSR_
	.p2align	8
	.type	_ZN7rocprim17ROCPRIM_400000_NS6detail17trampoline_kernelINS0_14default_configENS1_32segmented_reduce_config_selectorIN3c104HalfEEEZNS1_21segmented_reduce_implIS3_PKS6_PS6_PKiS6_N6hipcub16HIPCUB_304000_NS6detail27convert_result_type_wrapperISA_SB_N2at6native12_GLOBAL__N_110CustomProdEEEEE10hipError_tPvRmT0_T1_jT2_SS_T4_T3_P12ihipStream_tbEUlT_E_NS1_11comp_targetILNS1_3genE2ELNS1_11target_archE906ELNS1_3gpuE6ELNS1_3repE0EEENS1_30default_config_static_selectorELNS0_4arch9wavefront6targetE0EEEvSR_,@function
_ZN7rocprim17ROCPRIM_400000_NS6detail17trampoline_kernelINS0_14default_configENS1_32segmented_reduce_config_selectorIN3c104HalfEEEZNS1_21segmented_reduce_implIS3_PKS6_PS6_PKiS6_N6hipcub16HIPCUB_304000_NS6detail27convert_result_type_wrapperISA_SB_N2at6native12_GLOBAL__N_110CustomProdEEEEE10hipError_tPvRmT0_T1_jT2_SS_T4_T3_P12ihipStream_tbEUlT_E_NS1_11comp_targetILNS1_3genE2ELNS1_11target_archE906ELNS1_3gpuE6ELNS1_3repE0EEENS1_30default_config_static_selectorELNS0_4arch9wavefront6targetE0EEEvSR_: ; @_ZN7rocprim17ROCPRIM_400000_NS6detail17trampoline_kernelINS0_14default_configENS1_32segmented_reduce_config_selectorIN3c104HalfEEEZNS1_21segmented_reduce_implIS3_PKS6_PS6_PKiS6_N6hipcub16HIPCUB_304000_NS6detail27convert_result_type_wrapperISA_SB_N2at6native12_GLOBAL__N_110CustomProdEEEEE10hipError_tPvRmT0_T1_jT2_SS_T4_T3_P12ihipStream_tbEUlT_E_NS1_11comp_targetILNS1_3genE2ELNS1_11target_archE906ELNS1_3gpuE6ELNS1_3repE0EEENS1_30default_config_static_selectorELNS0_4arch9wavefront6targetE0EEEvSR_
; %bb.0:
	.section	.rodata,"a",@progbits
	.p2align	6, 0x0
	.amdhsa_kernel _ZN7rocprim17ROCPRIM_400000_NS6detail17trampoline_kernelINS0_14default_configENS1_32segmented_reduce_config_selectorIN3c104HalfEEEZNS1_21segmented_reduce_implIS3_PKS6_PS6_PKiS6_N6hipcub16HIPCUB_304000_NS6detail27convert_result_type_wrapperISA_SB_N2at6native12_GLOBAL__N_110CustomProdEEEEE10hipError_tPvRmT0_T1_jT2_SS_T4_T3_P12ihipStream_tbEUlT_E_NS1_11comp_targetILNS1_3genE2ELNS1_11target_archE906ELNS1_3gpuE6ELNS1_3repE0EEENS1_30default_config_static_selectorELNS0_4arch9wavefront6targetE0EEEvSR_
		.amdhsa_group_segment_fixed_size 0
		.amdhsa_private_segment_fixed_size 0
		.amdhsa_kernarg_size 48
		.amdhsa_user_sgpr_count 6
		.amdhsa_user_sgpr_private_segment_buffer 1
		.amdhsa_user_sgpr_dispatch_ptr 0
		.amdhsa_user_sgpr_queue_ptr 0
		.amdhsa_user_sgpr_kernarg_segment_ptr 1
		.amdhsa_user_sgpr_dispatch_id 0
		.amdhsa_user_sgpr_flat_scratch_init 0
		.amdhsa_user_sgpr_private_segment_size 0
		.amdhsa_wavefront_size32 1
		.amdhsa_uses_dynamic_stack 0
		.amdhsa_system_sgpr_private_segment_wavefront_offset 0
		.amdhsa_system_sgpr_workgroup_id_x 1
		.amdhsa_system_sgpr_workgroup_id_y 0
		.amdhsa_system_sgpr_workgroup_id_z 0
		.amdhsa_system_sgpr_workgroup_info 0
		.amdhsa_system_vgpr_workitem_id 0
		.amdhsa_next_free_vgpr 1
		.amdhsa_next_free_sgpr 1
		.amdhsa_reserve_vcc 0
		.amdhsa_reserve_flat_scratch 0
		.amdhsa_float_round_mode_32 0
		.amdhsa_float_round_mode_16_64 0
		.amdhsa_float_denorm_mode_32 3
		.amdhsa_float_denorm_mode_16_64 3
		.amdhsa_dx10_clamp 1
		.amdhsa_ieee_mode 1
		.amdhsa_fp16_overflow 0
		.amdhsa_workgroup_processor_mode 1
		.amdhsa_memory_ordered 1
		.amdhsa_forward_progress 1
		.amdhsa_shared_vgpr_count 0
		.amdhsa_exception_fp_ieee_invalid_op 0
		.amdhsa_exception_fp_denorm_src 0
		.amdhsa_exception_fp_ieee_div_zero 0
		.amdhsa_exception_fp_ieee_overflow 0
		.amdhsa_exception_fp_ieee_underflow 0
		.amdhsa_exception_fp_ieee_inexact 0
		.amdhsa_exception_int_div_zero 0
	.end_amdhsa_kernel
	.section	.text._ZN7rocprim17ROCPRIM_400000_NS6detail17trampoline_kernelINS0_14default_configENS1_32segmented_reduce_config_selectorIN3c104HalfEEEZNS1_21segmented_reduce_implIS3_PKS6_PS6_PKiS6_N6hipcub16HIPCUB_304000_NS6detail27convert_result_type_wrapperISA_SB_N2at6native12_GLOBAL__N_110CustomProdEEEEE10hipError_tPvRmT0_T1_jT2_SS_T4_T3_P12ihipStream_tbEUlT_E_NS1_11comp_targetILNS1_3genE2ELNS1_11target_archE906ELNS1_3gpuE6ELNS1_3repE0EEENS1_30default_config_static_selectorELNS0_4arch9wavefront6targetE0EEEvSR_,"axG",@progbits,_ZN7rocprim17ROCPRIM_400000_NS6detail17trampoline_kernelINS0_14default_configENS1_32segmented_reduce_config_selectorIN3c104HalfEEEZNS1_21segmented_reduce_implIS3_PKS6_PS6_PKiS6_N6hipcub16HIPCUB_304000_NS6detail27convert_result_type_wrapperISA_SB_N2at6native12_GLOBAL__N_110CustomProdEEEEE10hipError_tPvRmT0_T1_jT2_SS_T4_T3_P12ihipStream_tbEUlT_E_NS1_11comp_targetILNS1_3genE2ELNS1_11target_archE906ELNS1_3gpuE6ELNS1_3repE0EEENS1_30default_config_static_selectorELNS0_4arch9wavefront6targetE0EEEvSR_,comdat
.Lfunc_end107:
	.size	_ZN7rocprim17ROCPRIM_400000_NS6detail17trampoline_kernelINS0_14default_configENS1_32segmented_reduce_config_selectorIN3c104HalfEEEZNS1_21segmented_reduce_implIS3_PKS6_PS6_PKiS6_N6hipcub16HIPCUB_304000_NS6detail27convert_result_type_wrapperISA_SB_N2at6native12_GLOBAL__N_110CustomProdEEEEE10hipError_tPvRmT0_T1_jT2_SS_T4_T3_P12ihipStream_tbEUlT_E_NS1_11comp_targetILNS1_3genE2ELNS1_11target_archE906ELNS1_3gpuE6ELNS1_3repE0EEENS1_30default_config_static_selectorELNS0_4arch9wavefront6targetE0EEEvSR_, .Lfunc_end107-_ZN7rocprim17ROCPRIM_400000_NS6detail17trampoline_kernelINS0_14default_configENS1_32segmented_reduce_config_selectorIN3c104HalfEEEZNS1_21segmented_reduce_implIS3_PKS6_PS6_PKiS6_N6hipcub16HIPCUB_304000_NS6detail27convert_result_type_wrapperISA_SB_N2at6native12_GLOBAL__N_110CustomProdEEEEE10hipError_tPvRmT0_T1_jT2_SS_T4_T3_P12ihipStream_tbEUlT_E_NS1_11comp_targetILNS1_3genE2ELNS1_11target_archE906ELNS1_3gpuE6ELNS1_3repE0EEENS1_30default_config_static_selectorELNS0_4arch9wavefront6targetE0EEEvSR_
                                        ; -- End function
	.set _ZN7rocprim17ROCPRIM_400000_NS6detail17trampoline_kernelINS0_14default_configENS1_32segmented_reduce_config_selectorIN3c104HalfEEEZNS1_21segmented_reduce_implIS3_PKS6_PS6_PKiS6_N6hipcub16HIPCUB_304000_NS6detail27convert_result_type_wrapperISA_SB_N2at6native12_GLOBAL__N_110CustomProdEEEEE10hipError_tPvRmT0_T1_jT2_SS_T4_T3_P12ihipStream_tbEUlT_E_NS1_11comp_targetILNS1_3genE2ELNS1_11target_archE906ELNS1_3gpuE6ELNS1_3repE0EEENS1_30default_config_static_selectorELNS0_4arch9wavefront6targetE0EEEvSR_.num_vgpr, 0
	.set _ZN7rocprim17ROCPRIM_400000_NS6detail17trampoline_kernelINS0_14default_configENS1_32segmented_reduce_config_selectorIN3c104HalfEEEZNS1_21segmented_reduce_implIS3_PKS6_PS6_PKiS6_N6hipcub16HIPCUB_304000_NS6detail27convert_result_type_wrapperISA_SB_N2at6native12_GLOBAL__N_110CustomProdEEEEE10hipError_tPvRmT0_T1_jT2_SS_T4_T3_P12ihipStream_tbEUlT_E_NS1_11comp_targetILNS1_3genE2ELNS1_11target_archE906ELNS1_3gpuE6ELNS1_3repE0EEENS1_30default_config_static_selectorELNS0_4arch9wavefront6targetE0EEEvSR_.num_agpr, 0
	.set _ZN7rocprim17ROCPRIM_400000_NS6detail17trampoline_kernelINS0_14default_configENS1_32segmented_reduce_config_selectorIN3c104HalfEEEZNS1_21segmented_reduce_implIS3_PKS6_PS6_PKiS6_N6hipcub16HIPCUB_304000_NS6detail27convert_result_type_wrapperISA_SB_N2at6native12_GLOBAL__N_110CustomProdEEEEE10hipError_tPvRmT0_T1_jT2_SS_T4_T3_P12ihipStream_tbEUlT_E_NS1_11comp_targetILNS1_3genE2ELNS1_11target_archE906ELNS1_3gpuE6ELNS1_3repE0EEENS1_30default_config_static_selectorELNS0_4arch9wavefront6targetE0EEEvSR_.numbered_sgpr, 0
	.set _ZN7rocprim17ROCPRIM_400000_NS6detail17trampoline_kernelINS0_14default_configENS1_32segmented_reduce_config_selectorIN3c104HalfEEEZNS1_21segmented_reduce_implIS3_PKS6_PS6_PKiS6_N6hipcub16HIPCUB_304000_NS6detail27convert_result_type_wrapperISA_SB_N2at6native12_GLOBAL__N_110CustomProdEEEEE10hipError_tPvRmT0_T1_jT2_SS_T4_T3_P12ihipStream_tbEUlT_E_NS1_11comp_targetILNS1_3genE2ELNS1_11target_archE906ELNS1_3gpuE6ELNS1_3repE0EEENS1_30default_config_static_selectorELNS0_4arch9wavefront6targetE0EEEvSR_.num_named_barrier, 0
	.set _ZN7rocprim17ROCPRIM_400000_NS6detail17trampoline_kernelINS0_14default_configENS1_32segmented_reduce_config_selectorIN3c104HalfEEEZNS1_21segmented_reduce_implIS3_PKS6_PS6_PKiS6_N6hipcub16HIPCUB_304000_NS6detail27convert_result_type_wrapperISA_SB_N2at6native12_GLOBAL__N_110CustomProdEEEEE10hipError_tPvRmT0_T1_jT2_SS_T4_T3_P12ihipStream_tbEUlT_E_NS1_11comp_targetILNS1_3genE2ELNS1_11target_archE906ELNS1_3gpuE6ELNS1_3repE0EEENS1_30default_config_static_selectorELNS0_4arch9wavefront6targetE0EEEvSR_.private_seg_size, 0
	.set _ZN7rocprim17ROCPRIM_400000_NS6detail17trampoline_kernelINS0_14default_configENS1_32segmented_reduce_config_selectorIN3c104HalfEEEZNS1_21segmented_reduce_implIS3_PKS6_PS6_PKiS6_N6hipcub16HIPCUB_304000_NS6detail27convert_result_type_wrapperISA_SB_N2at6native12_GLOBAL__N_110CustomProdEEEEE10hipError_tPvRmT0_T1_jT2_SS_T4_T3_P12ihipStream_tbEUlT_E_NS1_11comp_targetILNS1_3genE2ELNS1_11target_archE906ELNS1_3gpuE6ELNS1_3repE0EEENS1_30default_config_static_selectorELNS0_4arch9wavefront6targetE0EEEvSR_.uses_vcc, 0
	.set _ZN7rocprim17ROCPRIM_400000_NS6detail17trampoline_kernelINS0_14default_configENS1_32segmented_reduce_config_selectorIN3c104HalfEEEZNS1_21segmented_reduce_implIS3_PKS6_PS6_PKiS6_N6hipcub16HIPCUB_304000_NS6detail27convert_result_type_wrapperISA_SB_N2at6native12_GLOBAL__N_110CustomProdEEEEE10hipError_tPvRmT0_T1_jT2_SS_T4_T3_P12ihipStream_tbEUlT_E_NS1_11comp_targetILNS1_3genE2ELNS1_11target_archE906ELNS1_3gpuE6ELNS1_3repE0EEENS1_30default_config_static_selectorELNS0_4arch9wavefront6targetE0EEEvSR_.uses_flat_scratch, 0
	.set _ZN7rocprim17ROCPRIM_400000_NS6detail17trampoline_kernelINS0_14default_configENS1_32segmented_reduce_config_selectorIN3c104HalfEEEZNS1_21segmented_reduce_implIS3_PKS6_PS6_PKiS6_N6hipcub16HIPCUB_304000_NS6detail27convert_result_type_wrapperISA_SB_N2at6native12_GLOBAL__N_110CustomProdEEEEE10hipError_tPvRmT0_T1_jT2_SS_T4_T3_P12ihipStream_tbEUlT_E_NS1_11comp_targetILNS1_3genE2ELNS1_11target_archE906ELNS1_3gpuE6ELNS1_3repE0EEENS1_30default_config_static_selectorELNS0_4arch9wavefront6targetE0EEEvSR_.has_dyn_sized_stack, 0
	.set _ZN7rocprim17ROCPRIM_400000_NS6detail17trampoline_kernelINS0_14default_configENS1_32segmented_reduce_config_selectorIN3c104HalfEEEZNS1_21segmented_reduce_implIS3_PKS6_PS6_PKiS6_N6hipcub16HIPCUB_304000_NS6detail27convert_result_type_wrapperISA_SB_N2at6native12_GLOBAL__N_110CustomProdEEEEE10hipError_tPvRmT0_T1_jT2_SS_T4_T3_P12ihipStream_tbEUlT_E_NS1_11comp_targetILNS1_3genE2ELNS1_11target_archE906ELNS1_3gpuE6ELNS1_3repE0EEENS1_30default_config_static_selectorELNS0_4arch9wavefront6targetE0EEEvSR_.has_recursion, 0
	.set _ZN7rocprim17ROCPRIM_400000_NS6detail17trampoline_kernelINS0_14default_configENS1_32segmented_reduce_config_selectorIN3c104HalfEEEZNS1_21segmented_reduce_implIS3_PKS6_PS6_PKiS6_N6hipcub16HIPCUB_304000_NS6detail27convert_result_type_wrapperISA_SB_N2at6native12_GLOBAL__N_110CustomProdEEEEE10hipError_tPvRmT0_T1_jT2_SS_T4_T3_P12ihipStream_tbEUlT_E_NS1_11comp_targetILNS1_3genE2ELNS1_11target_archE906ELNS1_3gpuE6ELNS1_3repE0EEENS1_30default_config_static_selectorELNS0_4arch9wavefront6targetE0EEEvSR_.has_indirect_call, 0
	.section	.AMDGPU.csdata,"",@progbits
; Kernel info:
; codeLenInByte = 0
; TotalNumSgprs: 0
; NumVgprs: 0
; ScratchSize: 0
; MemoryBound: 0
; FloatMode: 240
; IeeeMode: 1
; LDSByteSize: 0 bytes/workgroup (compile time only)
; SGPRBlocks: 0
; VGPRBlocks: 0
; NumSGPRsForWavesPerEU: 1
; NumVGPRsForWavesPerEU: 1
; Occupancy: 16
; WaveLimiterHint : 0
; COMPUTE_PGM_RSRC2:SCRATCH_EN: 0
; COMPUTE_PGM_RSRC2:USER_SGPR: 6
; COMPUTE_PGM_RSRC2:TRAP_HANDLER: 0
; COMPUTE_PGM_RSRC2:TGID_X_EN: 1
; COMPUTE_PGM_RSRC2:TGID_Y_EN: 0
; COMPUTE_PGM_RSRC2:TGID_Z_EN: 0
; COMPUTE_PGM_RSRC2:TIDIG_COMP_CNT: 0
	.section	.text._ZN7rocprim17ROCPRIM_400000_NS6detail17trampoline_kernelINS0_14default_configENS1_32segmented_reduce_config_selectorIN3c104HalfEEEZNS1_21segmented_reduce_implIS3_PKS6_PS6_PKiS6_N6hipcub16HIPCUB_304000_NS6detail27convert_result_type_wrapperISA_SB_N2at6native12_GLOBAL__N_110CustomProdEEEEE10hipError_tPvRmT0_T1_jT2_SS_T4_T3_P12ihipStream_tbEUlT_E_NS1_11comp_targetILNS1_3genE9ELNS1_11target_archE1100ELNS1_3gpuE3ELNS1_3repE0EEENS1_30default_config_static_selectorELNS0_4arch9wavefront6targetE0EEEvSR_,"axG",@progbits,_ZN7rocprim17ROCPRIM_400000_NS6detail17trampoline_kernelINS0_14default_configENS1_32segmented_reduce_config_selectorIN3c104HalfEEEZNS1_21segmented_reduce_implIS3_PKS6_PS6_PKiS6_N6hipcub16HIPCUB_304000_NS6detail27convert_result_type_wrapperISA_SB_N2at6native12_GLOBAL__N_110CustomProdEEEEE10hipError_tPvRmT0_T1_jT2_SS_T4_T3_P12ihipStream_tbEUlT_E_NS1_11comp_targetILNS1_3genE9ELNS1_11target_archE1100ELNS1_3gpuE3ELNS1_3repE0EEENS1_30default_config_static_selectorELNS0_4arch9wavefront6targetE0EEEvSR_,comdat
	.globl	_ZN7rocprim17ROCPRIM_400000_NS6detail17trampoline_kernelINS0_14default_configENS1_32segmented_reduce_config_selectorIN3c104HalfEEEZNS1_21segmented_reduce_implIS3_PKS6_PS6_PKiS6_N6hipcub16HIPCUB_304000_NS6detail27convert_result_type_wrapperISA_SB_N2at6native12_GLOBAL__N_110CustomProdEEEEE10hipError_tPvRmT0_T1_jT2_SS_T4_T3_P12ihipStream_tbEUlT_E_NS1_11comp_targetILNS1_3genE9ELNS1_11target_archE1100ELNS1_3gpuE3ELNS1_3repE0EEENS1_30default_config_static_selectorELNS0_4arch9wavefront6targetE0EEEvSR_ ; -- Begin function _ZN7rocprim17ROCPRIM_400000_NS6detail17trampoline_kernelINS0_14default_configENS1_32segmented_reduce_config_selectorIN3c104HalfEEEZNS1_21segmented_reduce_implIS3_PKS6_PS6_PKiS6_N6hipcub16HIPCUB_304000_NS6detail27convert_result_type_wrapperISA_SB_N2at6native12_GLOBAL__N_110CustomProdEEEEE10hipError_tPvRmT0_T1_jT2_SS_T4_T3_P12ihipStream_tbEUlT_E_NS1_11comp_targetILNS1_3genE9ELNS1_11target_archE1100ELNS1_3gpuE3ELNS1_3repE0EEENS1_30default_config_static_selectorELNS0_4arch9wavefront6targetE0EEEvSR_
	.p2align	8
	.type	_ZN7rocprim17ROCPRIM_400000_NS6detail17trampoline_kernelINS0_14default_configENS1_32segmented_reduce_config_selectorIN3c104HalfEEEZNS1_21segmented_reduce_implIS3_PKS6_PS6_PKiS6_N6hipcub16HIPCUB_304000_NS6detail27convert_result_type_wrapperISA_SB_N2at6native12_GLOBAL__N_110CustomProdEEEEE10hipError_tPvRmT0_T1_jT2_SS_T4_T3_P12ihipStream_tbEUlT_E_NS1_11comp_targetILNS1_3genE9ELNS1_11target_archE1100ELNS1_3gpuE3ELNS1_3repE0EEENS1_30default_config_static_selectorELNS0_4arch9wavefront6targetE0EEEvSR_,@function
_ZN7rocprim17ROCPRIM_400000_NS6detail17trampoline_kernelINS0_14default_configENS1_32segmented_reduce_config_selectorIN3c104HalfEEEZNS1_21segmented_reduce_implIS3_PKS6_PS6_PKiS6_N6hipcub16HIPCUB_304000_NS6detail27convert_result_type_wrapperISA_SB_N2at6native12_GLOBAL__N_110CustomProdEEEEE10hipError_tPvRmT0_T1_jT2_SS_T4_T3_P12ihipStream_tbEUlT_E_NS1_11comp_targetILNS1_3genE9ELNS1_11target_archE1100ELNS1_3gpuE3ELNS1_3repE0EEENS1_30default_config_static_selectorELNS0_4arch9wavefront6targetE0EEEvSR_: ; @_ZN7rocprim17ROCPRIM_400000_NS6detail17trampoline_kernelINS0_14default_configENS1_32segmented_reduce_config_selectorIN3c104HalfEEEZNS1_21segmented_reduce_implIS3_PKS6_PS6_PKiS6_N6hipcub16HIPCUB_304000_NS6detail27convert_result_type_wrapperISA_SB_N2at6native12_GLOBAL__N_110CustomProdEEEEE10hipError_tPvRmT0_T1_jT2_SS_T4_T3_P12ihipStream_tbEUlT_E_NS1_11comp_targetILNS1_3genE9ELNS1_11target_archE1100ELNS1_3gpuE3ELNS1_3repE0EEENS1_30default_config_static_selectorELNS0_4arch9wavefront6targetE0EEEvSR_
; %bb.0:
	.section	.rodata,"a",@progbits
	.p2align	6, 0x0
	.amdhsa_kernel _ZN7rocprim17ROCPRIM_400000_NS6detail17trampoline_kernelINS0_14default_configENS1_32segmented_reduce_config_selectorIN3c104HalfEEEZNS1_21segmented_reduce_implIS3_PKS6_PS6_PKiS6_N6hipcub16HIPCUB_304000_NS6detail27convert_result_type_wrapperISA_SB_N2at6native12_GLOBAL__N_110CustomProdEEEEE10hipError_tPvRmT0_T1_jT2_SS_T4_T3_P12ihipStream_tbEUlT_E_NS1_11comp_targetILNS1_3genE9ELNS1_11target_archE1100ELNS1_3gpuE3ELNS1_3repE0EEENS1_30default_config_static_selectorELNS0_4arch9wavefront6targetE0EEEvSR_
		.amdhsa_group_segment_fixed_size 0
		.amdhsa_private_segment_fixed_size 0
		.amdhsa_kernarg_size 48
		.amdhsa_user_sgpr_count 6
		.amdhsa_user_sgpr_private_segment_buffer 1
		.amdhsa_user_sgpr_dispatch_ptr 0
		.amdhsa_user_sgpr_queue_ptr 0
		.amdhsa_user_sgpr_kernarg_segment_ptr 1
		.amdhsa_user_sgpr_dispatch_id 0
		.amdhsa_user_sgpr_flat_scratch_init 0
		.amdhsa_user_sgpr_private_segment_size 0
		.amdhsa_wavefront_size32 1
		.amdhsa_uses_dynamic_stack 0
		.amdhsa_system_sgpr_private_segment_wavefront_offset 0
		.amdhsa_system_sgpr_workgroup_id_x 1
		.amdhsa_system_sgpr_workgroup_id_y 0
		.amdhsa_system_sgpr_workgroup_id_z 0
		.amdhsa_system_sgpr_workgroup_info 0
		.amdhsa_system_vgpr_workitem_id 0
		.amdhsa_next_free_vgpr 1
		.amdhsa_next_free_sgpr 1
		.amdhsa_reserve_vcc 0
		.amdhsa_reserve_flat_scratch 0
		.amdhsa_float_round_mode_32 0
		.amdhsa_float_round_mode_16_64 0
		.amdhsa_float_denorm_mode_32 3
		.amdhsa_float_denorm_mode_16_64 3
		.amdhsa_dx10_clamp 1
		.amdhsa_ieee_mode 1
		.amdhsa_fp16_overflow 0
		.amdhsa_workgroup_processor_mode 1
		.amdhsa_memory_ordered 1
		.amdhsa_forward_progress 1
		.amdhsa_shared_vgpr_count 0
		.amdhsa_exception_fp_ieee_invalid_op 0
		.amdhsa_exception_fp_denorm_src 0
		.amdhsa_exception_fp_ieee_div_zero 0
		.amdhsa_exception_fp_ieee_overflow 0
		.amdhsa_exception_fp_ieee_underflow 0
		.amdhsa_exception_fp_ieee_inexact 0
		.amdhsa_exception_int_div_zero 0
	.end_amdhsa_kernel
	.section	.text._ZN7rocprim17ROCPRIM_400000_NS6detail17trampoline_kernelINS0_14default_configENS1_32segmented_reduce_config_selectorIN3c104HalfEEEZNS1_21segmented_reduce_implIS3_PKS6_PS6_PKiS6_N6hipcub16HIPCUB_304000_NS6detail27convert_result_type_wrapperISA_SB_N2at6native12_GLOBAL__N_110CustomProdEEEEE10hipError_tPvRmT0_T1_jT2_SS_T4_T3_P12ihipStream_tbEUlT_E_NS1_11comp_targetILNS1_3genE9ELNS1_11target_archE1100ELNS1_3gpuE3ELNS1_3repE0EEENS1_30default_config_static_selectorELNS0_4arch9wavefront6targetE0EEEvSR_,"axG",@progbits,_ZN7rocprim17ROCPRIM_400000_NS6detail17trampoline_kernelINS0_14default_configENS1_32segmented_reduce_config_selectorIN3c104HalfEEEZNS1_21segmented_reduce_implIS3_PKS6_PS6_PKiS6_N6hipcub16HIPCUB_304000_NS6detail27convert_result_type_wrapperISA_SB_N2at6native12_GLOBAL__N_110CustomProdEEEEE10hipError_tPvRmT0_T1_jT2_SS_T4_T3_P12ihipStream_tbEUlT_E_NS1_11comp_targetILNS1_3genE9ELNS1_11target_archE1100ELNS1_3gpuE3ELNS1_3repE0EEENS1_30default_config_static_selectorELNS0_4arch9wavefront6targetE0EEEvSR_,comdat
.Lfunc_end108:
	.size	_ZN7rocprim17ROCPRIM_400000_NS6detail17trampoline_kernelINS0_14default_configENS1_32segmented_reduce_config_selectorIN3c104HalfEEEZNS1_21segmented_reduce_implIS3_PKS6_PS6_PKiS6_N6hipcub16HIPCUB_304000_NS6detail27convert_result_type_wrapperISA_SB_N2at6native12_GLOBAL__N_110CustomProdEEEEE10hipError_tPvRmT0_T1_jT2_SS_T4_T3_P12ihipStream_tbEUlT_E_NS1_11comp_targetILNS1_3genE9ELNS1_11target_archE1100ELNS1_3gpuE3ELNS1_3repE0EEENS1_30default_config_static_selectorELNS0_4arch9wavefront6targetE0EEEvSR_, .Lfunc_end108-_ZN7rocprim17ROCPRIM_400000_NS6detail17trampoline_kernelINS0_14default_configENS1_32segmented_reduce_config_selectorIN3c104HalfEEEZNS1_21segmented_reduce_implIS3_PKS6_PS6_PKiS6_N6hipcub16HIPCUB_304000_NS6detail27convert_result_type_wrapperISA_SB_N2at6native12_GLOBAL__N_110CustomProdEEEEE10hipError_tPvRmT0_T1_jT2_SS_T4_T3_P12ihipStream_tbEUlT_E_NS1_11comp_targetILNS1_3genE9ELNS1_11target_archE1100ELNS1_3gpuE3ELNS1_3repE0EEENS1_30default_config_static_selectorELNS0_4arch9wavefront6targetE0EEEvSR_
                                        ; -- End function
	.set _ZN7rocprim17ROCPRIM_400000_NS6detail17trampoline_kernelINS0_14default_configENS1_32segmented_reduce_config_selectorIN3c104HalfEEEZNS1_21segmented_reduce_implIS3_PKS6_PS6_PKiS6_N6hipcub16HIPCUB_304000_NS6detail27convert_result_type_wrapperISA_SB_N2at6native12_GLOBAL__N_110CustomProdEEEEE10hipError_tPvRmT0_T1_jT2_SS_T4_T3_P12ihipStream_tbEUlT_E_NS1_11comp_targetILNS1_3genE9ELNS1_11target_archE1100ELNS1_3gpuE3ELNS1_3repE0EEENS1_30default_config_static_selectorELNS0_4arch9wavefront6targetE0EEEvSR_.num_vgpr, 0
	.set _ZN7rocprim17ROCPRIM_400000_NS6detail17trampoline_kernelINS0_14default_configENS1_32segmented_reduce_config_selectorIN3c104HalfEEEZNS1_21segmented_reduce_implIS3_PKS6_PS6_PKiS6_N6hipcub16HIPCUB_304000_NS6detail27convert_result_type_wrapperISA_SB_N2at6native12_GLOBAL__N_110CustomProdEEEEE10hipError_tPvRmT0_T1_jT2_SS_T4_T3_P12ihipStream_tbEUlT_E_NS1_11comp_targetILNS1_3genE9ELNS1_11target_archE1100ELNS1_3gpuE3ELNS1_3repE0EEENS1_30default_config_static_selectorELNS0_4arch9wavefront6targetE0EEEvSR_.num_agpr, 0
	.set _ZN7rocprim17ROCPRIM_400000_NS6detail17trampoline_kernelINS0_14default_configENS1_32segmented_reduce_config_selectorIN3c104HalfEEEZNS1_21segmented_reduce_implIS3_PKS6_PS6_PKiS6_N6hipcub16HIPCUB_304000_NS6detail27convert_result_type_wrapperISA_SB_N2at6native12_GLOBAL__N_110CustomProdEEEEE10hipError_tPvRmT0_T1_jT2_SS_T4_T3_P12ihipStream_tbEUlT_E_NS1_11comp_targetILNS1_3genE9ELNS1_11target_archE1100ELNS1_3gpuE3ELNS1_3repE0EEENS1_30default_config_static_selectorELNS0_4arch9wavefront6targetE0EEEvSR_.numbered_sgpr, 0
	.set _ZN7rocprim17ROCPRIM_400000_NS6detail17trampoline_kernelINS0_14default_configENS1_32segmented_reduce_config_selectorIN3c104HalfEEEZNS1_21segmented_reduce_implIS3_PKS6_PS6_PKiS6_N6hipcub16HIPCUB_304000_NS6detail27convert_result_type_wrapperISA_SB_N2at6native12_GLOBAL__N_110CustomProdEEEEE10hipError_tPvRmT0_T1_jT2_SS_T4_T3_P12ihipStream_tbEUlT_E_NS1_11comp_targetILNS1_3genE9ELNS1_11target_archE1100ELNS1_3gpuE3ELNS1_3repE0EEENS1_30default_config_static_selectorELNS0_4arch9wavefront6targetE0EEEvSR_.num_named_barrier, 0
	.set _ZN7rocprim17ROCPRIM_400000_NS6detail17trampoline_kernelINS0_14default_configENS1_32segmented_reduce_config_selectorIN3c104HalfEEEZNS1_21segmented_reduce_implIS3_PKS6_PS6_PKiS6_N6hipcub16HIPCUB_304000_NS6detail27convert_result_type_wrapperISA_SB_N2at6native12_GLOBAL__N_110CustomProdEEEEE10hipError_tPvRmT0_T1_jT2_SS_T4_T3_P12ihipStream_tbEUlT_E_NS1_11comp_targetILNS1_3genE9ELNS1_11target_archE1100ELNS1_3gpuE3ELNS1_3repE0EEENS1_30default_config_static_selectorELNS0_4arch9wavefront6targetE0EEEvSR_.private_seg_size, 0
	.set _ZN7rocprim17ROCPRIM_400000_NS6detail17trampoline_kernelINS0_14default_configENS1_32segmented_reduce_config_selectorIN3c104HalfEEEZNS1_21segmented_reduce_implIS3_PKS6_PS6_PKiS6_N6hipcub16HIPCUB_304000_NS6detail27convert_result_type_wrapperISA_SB_N2at6native12_GLOBAL__N_110CustomProdEEEEE10hipError_tPvRmT0_T1_jT2_SS_T4_T3_P12ihipStream_tbEUlT_E_NS1_11comp_targetILNS1_3genE9ELNS1_11target_archE1100ELNS1_3gpuE3ELNS1_3repE0EEENS1_30default_config_static_selectorELNS0_4arch9wavefront6targetE0EEEvSR_.uses_vcc, 0
	.set _ZN7rocprim17ROCPRIM_400000_NS6detail17trampoline_kernelINS0_14default_configENS1_32segmented_reduce_config_selectorIN3c104HalfEEEZNS1_21segmented_reduce_implIS3_PKS6_PS6_PKiS6_N6hipcub16HIPCUB_304000_NS6detail27convert_result_type_wrapperISA_SB_N2at6native12_GLOBAL__N_110CustomProdEEEEE10hipError_tPvRmT0_T1_jT2_SS_T4_T3_P12ihipStream_tbEUlT_E_NS1_11comp_targetILNS1_3genE9ELNS1_11target_archE1100ELNS1_3gpuE3ELNS1_3repE0EEENS1_30default_config_static_selectorELNS0_4arch9wavefront6targetE0EEEvSR_.uses_flat_scratch, 0
	.set _ZN7rocprim17ROCPRIM_400000_NS6detail17trampoline_kernelINS0_14default_configENS1_32segmented_reduce_config_selectorIN3c104HalfEEEZNS1_21segmented_reduce_implIS3_PKS6_PS6_PKiS6_N6hipcub16HIPCUB_304000_NS6detail27convert_result_type_wrapperISA_SB_N2at6native12_GLOBAL__N_110CustomProdEEEEE10hipError_tPvRmT0_T1_jT2_SS_T4_T3_P12ihipStream_tbEUlT_E_NS1_11comp_targetILNS1_3genE9ELNS1_11target_archE1100ELNS1_3gpuE3ELNS1_3repE0EEENS1_30default_config_static_selectorELNS0_4arch9wavefront6targetE0EEEvSR_.has_dyn_sized_stack, 0
	.set _ZN7rocprim17ROCPRIM_400000_NS6detail17trampoline_kernelINS0_14default_configENS1_32segmented_reduce_config_selectorIN3c104HalfEEEZNS1_21segmented_reduce_implIS3_PKS6_PS6_PKiS6_N6hipcub16HIPCUB_304000_NS6detail27convert_result_type_wrapperISA_SB_N2at6native12_GLOBAL__N_110CustomProdEEEEE10hipError_tPvRmT0_T1_jT2_SS_T4_T3_P12ihipStream_tbEUlT_E_NS1_11comp_targetILNS1_3genE9ELNS1_11target_archE1100ELNS1_3gpuE3ELNS1_3repE0EEENS1_30default_config_static_selectorELNS0_4arch9wavefront6targetE0EEEvSR_.has_recursion, 0
	.set _ZN7rocprim17ROCPRIM_400000_NS6detail17trampoline_kernelINS0_14default_configENS1_32segmented_reduce_config_selectorIN3c104HalfEEEZNS1_21segmented_reduce_implIS3_PKS6_PS6_PKiS6_N6hipcub16HIPCUB_304000_NS6detail27convert_result_type_wrapperISA_SB_N2at6native12_GLOBAL__N_110CustomProdEEEEE10hipError_tPvRmT0_T1_jT2_SS_T4_T3_P12ihipStream_tbEUlT_E_NS1_11comp_targetILNS1_3genE9ELNS1_11target_archE1100ELNS1_3gpuE3ELNS1_3repE0EEENS1_30default_config_static_selectorELNS0_4arch9wavefront6targetE0EEEvSR_.has_indirect_call, 0
	.section	.AMDGPU.csdata,"",@progbits
; Kernel info:
; codeLenInByte = 0
; TotalNumSgprs: 0
; NumVgprs: 0
; ScratchSize: 0
; MemoryBound: 0
; FloatMode: 240
; IeeeMode: 1
; LDSByteSize: 0 bytes/workgroup (compile time only)
; SGPRBlocks: 0
; VGPRBlocks: 0
; NumSGPRsForWavesPerEU: 1
; NumVGPRsForWavesPerEU: 1
; Occupancy: 16
; WaveLimiterHint : 0
; COMPUTE_PGM_RSRC2:SCRATCH_EN: 0
; COMPUTE_PGM_RSRC2:USER_SGPR: 6
; COMPUTE_PGM_RSRC2:TRAP_HANDLER: 0
; COMPUTE_PGM_RSRC2:TGID_X_EN: 1
; COMPUTE_PGM_RSRC2:TGID_Y_EN: 0
; COMPUTE_PGM_RSRC2:TGID_Z_EN: 0
; COMPUTE_PGM_RSRC2:TIDIG_COMP_CNT: 0
	.section	.text._ZN7rocprim17ROCPRIM_400000_NS6detail17trampoline_kernelINS0_14default_configENS1_32segmented_reduce_config_selectorIN3c104HalfEEEZNS1_21segmented_reduce_implIS3_PKS6_PS6_PKiS6_N6hipcub16HIPCUB_304000_NS6detail27convert_result_type_wrapperISA_SB_N2at6native12_GLOBAL__N_110CustomProdEEEEE10hipError_tPvRmT0_T1_jT2_SS_T4_T3_P12ihipStream_tbEUlT_E_NS1_11comp_targetILNS1_3genE8ELNS1_11target_archE1030ELNS1_3gpuE2ELNS1_3repE0EEENS1_30default_config_static_selectorELNS0_4arch9wavefront6targetE0EEEvSR_,"axG",@progbits,_ZN7rocprim17ROCPRIM_400000_NS6detail17trampoline_kernelINS0_14default_configENS1_32segmented_reduce_config_selectorIN3c104HalfEEEZNS1_21segmented_reduce_implIS3_PKS6_PS6_PKiS6_N6hipcub16HIPCUB_304000_NS6detail27convert_result_type_wrapperISA_SB_N2at6native12_GLOBAL__N_110CustomProdEEEEE10hipError_tPvRmT0_T1_jT2_SS_T4_T3_P12ihipStream_tbEUlT_E_NS1_11comp_targetILNS1_3genE8ELNS1_11target_archE1030ELNS1_3gpuE2ELNS1_3repE0EEENS1_30default_config_static_selectorELNS0_4arch9wavefront6targetE0EEEvSR_,comdat
	.globl	_ZN7rocprim17ROCPRIM_400000_NS6detail17trampoline_kernelINS0_14default_configENS1_32segmented_reduce_config_selectorIN3c104HalfEEEZNS1_21segmented_reduce_implIS3_PKS6_PS6_PKiS6_N6hipcub16HIPCUB_304000_NS6detail27convert_result_type_wrapperISA_SB_N2at6native12_GLOBAL__N_110CustomProdEEEEE10hipError_tPvRmT0_T1_jT2_SS_T4_T3_P12ihipStream_tbEUlT_E_NS1_11comp_targetILNS1_3genE8ELNS1_11target_archE1030ELNS1_3gpuE2ELNS1_3repE0EEENS1_30default_config_static_selectorELNS0_4arch9wavefront6targetE0EEEvSR_ ; -- Begin function _ZN7rocprim17ROCPRIM_400000_NS6detail17trampoline_kernelINS0_14default_configENS1_32segmented_reduce_config_selectorIN3c104HalfEEEZNS1_21segmented_reduce_implIS3_PKS6_PS6_PKiS6_N6hipcub16HIPCUB_304000_NS6detail27convert_result_type_wrapperISA_SB_N2at6native12_GLOBAL__N_110CustomProdEEEEE10hipError_tPvRmT0_T1_jT2_SS_T4_T3_P12ihipStream_tbEUlT_E_NS1_11comp_targetILNS1_3genE8ELNS1_11target_archE1030ELNS1_3gpuE2ELNS1_3repE0EEENS1_30default_config_static_selectorELNS0_4arch9wavefront6targetE0EEEvSR_
	.p2align	8
	.type	_ZN7rocprim17ROCPRIM_400000_NS6detail17trampoline_kernelINS0_14default_configENS1_32segmented_reduce_config_selectorIN3c104HalfEEEZNS1_21segmented_reduce_implIS3_PKS6_PS6_PKiS6_N6hipcub16HIPCUB_304000_NS6detail27convert_result_type_wrapperISA_SB_N2at6native12_GLOBAL__N_110CustomProdEEEEE10hipError_tPvRmT0_T1_jT2_SS_T4_T3_P12ihipStream_tbEUlT_E_NS1_11comp_targetILNS1_3genE8ELNS1_11target_archE1030ELNS1_3gpuE2ELNS1_3repE0EEENS1_30default_config_static_selectorELNS0_4arch9wavefront6targetE0EEEvSR_,@function
_ZN7rocprim17ROCPRIM_400000_NS6detail17trampoline_kernelINS0_14default_configENS1_32segmented_reduce_config_selectorIN3c104HalfEEEZNS1_21segmented_reduce_implIS3_PKS6_PS6_PKiS6_N6hipcub16HIPCUB_304000_NS6detail27convert_result_type_wrapperISA_SB_N2at6native12_GLOBAL__N_110CustomProdEEEEE10hipError_tPvRmT0_T1_jT2_SS_T4_T3_P12ihipStream_tbEUlT_E_NS1_11comp_targetILNS1_3genE8ELNS1_11target_archE1030ELNS1_3gpuE2ELNS1_3repE0EEENS1_30default_config_static_selectorELNS0_4arch9wavefront6targetE0EEEvSR_: ; @_ZN7rocprim17ROCPRIM_400000_NS6detail17trampoline_kernelINS0_14default_configENS1_32segmented_reduce_config_selectorIN3c104HalfEEEZNS1_21segmented_reduce_implIS3_PKS6_PS6_PKiS6_N6hipcub16HIPCUB_304000_NS6detail27convert_result_type_wrapperISA_SB_N2at6native12_GLOBAL__N_110CustomProdEEEEE10hipError_tPvRmT0_T1_jT2_SS_T4_T3_P12ihipStream_tbEUlT_E_NS1_11comp_targetILNS1_3genE8ELNS1_11target_archE1030ELNS1_3gpuE2ELNS1_3repE0EEENS1_30default_config_static_selectorELNS0_4arch9wavefront6targetE0EEEvSR_
; %bb.0:
	s_clause 0x2
	s_load_dwordx8 s[12:19], s[4:5], 0x0
	s_load_dword s7, s[4:5], 0x28
	s_load_dwordx2 s[0:1], s[4:5], 0x20
	v_cmp_eq_u32_e32 vcc_lo, 0, v0
	s_waitcnt lgkmcnt(0)
	s_lshl_b64 s[2:3], s[16:17], 1
	s_lshr_b32 s9, s7, 16
	s_add_u32 s20, s14, s2
	s_addc_u32 s21, s15, s3
	s_lshl_b64 s[2:3], s[16:17], 2
	s_mov_b32 s7, 0
	s_add_u32 s4, s18, s2
	s_addc_u32 s5, s19, s3
	s_add_u32 s8, s0, s2
	s_addc_u32 s10, s1, s3
	s_lshl_b64 s[0:1], s[6:7], 2
	s_add_u32 s2, s4, s0
	s_addc_u32 s3, s5, s1
	s_add_u32 s0, s8, s0
	s_addc_u32 s1, s10, s1
	s_load_dword s10, s[2:3], 0x0
	s_load_dword s16, s[0:1], 0x0
	s_mov_b32 s0, -1
	s_waitcnt lgkmcnt(0)
	s_cmp_gt_i32 s16, s10
	s_cbranch_scc1 .LBB109_4
; %bb.1:
	s_and_saveexec_b32 s0, vcc_lo
	s_cbranch_execz .LBB109_3
; %bb.2:
	s_lshl_b64 s[2:3], s[6:7], 1
	v_mov_b32_e32 v1, 0
	v_mov_b32_e32 v2, s9
	s_add_u32 s2, s20, s2
	s_addc_u32 s3, s21, s3
	global_store_short v1, v2, s[2:3]
.LBB109_3:
	s_or_b32 exec_lo, exec_lo, s0
	s_mov_b32 s0, 0
.LBB109_4:
	s_andn2_b32 vcc_lo, exec_lo, s0
	s_cbranch_vccnz .LBB109_53
; %bb.5:
	s_add_i32 s0, s10, 0x800
	s_cmp_le_i32 s0, s16
	s_cbranch_scc0 .LBB109_30
; %bb.6:
	s_ashr_i32 s11, s10, 31
	v_lshlrev_b32_e32 v10, 1, v0
	s_lshl_b64 s[2:3], s[10:11], 1
	s_add_u32 s2, s12, s2
	s_addc_u32 s3, s13, s3
	v_add_co_u32 v4, s1, s2, v10
	s_clause 0x1
	global_load_ushort v1, v10, s[2:3]
	global_load_ushort v2, v10, s[2:3] offset:512
	v_add_co_ci_u32_e64 v5, null, s3, 0, s1
	global_load_ushort v3, v10, s[2:3] offset:1024
	v_add_co_u32 v11, vcc_lo, 0x800, v4
	v_add_co_ci_u32_e64 v12, null, 0, v5, vcc_lo
	s_add_i32 s1, s10, 0x1000
	s_clause 0x4
	global_load_ushort v4, v10, s[2:3] offset:1536
	global_load_ushort v6, v[11:12], off
	global_load_ushort v7, v[11:12], off offset:512
	global_load_ushort v8, v[11:12], off offset:1024
	;; [unrolled: 1-line block ×3, first 2 shown]
	s_cmp_ge_i32 s1, s16
	s_waitcnt vmcnt(6)
	v_mul_f16_e32 v5, v1, v2
	s_waitcnt vmcnt(5)
	v_mul_f16_e32 v5, v5, v3
	;; [unrolled: 2-line block ×7, first 2 shown]
	s_cbranch_scc1 .LBB109_9
; %bb.7:
	v_add_co_u32 v11, s1, s12, v10
	v_add_co_ci_u32_e64 v12, null, s13, 0, s1
	s_inst_prefetch 0x1
	.p2align	6
.LBB109_8:                              ; =>This Inner Loop Header: Depth=1
	s_ashr_i32 s1, s0, 31
	s_lshl_b64 s[2:3], s[0:1], 1
	s_add_i32 s1, s0, 0x1000
	v_add_co_u32 v6, vcc_lo, v11, s2
	v_add_co_ci_u32_e64 v7, null, s3, v12, vcc_lo
	s_addk_i32 s0, 0x800
	v_add_co_u32 v13, vcc_lo, 0x800, v6
	s_clause 0x2
	global_load_ushort v1, v[6:7], off
	global_load_ushort v2, v[6:7], off offset:512
	global_load_ushort v3, v[6:7], off offset:1024
	v_add_co_ci_u32_e64 v14, null, 0, v7, vcc_lo
	s_cmp_lt_i32 s1, s16
	s_clause 0x4
	global_load_ushort v4, v[6:7], off offset:1536
	global_load_ushort v6, v[13:14], off
	global_load_ushort v7, v[13:14], off offset:512
	global_load_ushort v8, v[13:14], off offset:1024
	;; [unrolled: 1-line block ×3, first 2 shown]
	s_waitcnt vmcnt(7)
	v_mul_f16_e32 v5, v5, v1
	s_waitcnt vmcnt(6)
	v_mul_f16_e32 v5, v5, v2
	;; [unrolled: 2-line block ×8, first 2 shown]
	s_cbranch_scc1 .LBB109_8
.LBB109_9:
	s_inst_prefetch 0x2
	s_ashr_i32 s1, s0, 31
	s_sub_i32 s8, s16, s0
	s_lshl_b64 s[0:1], s[0:1], 1
	v_cmp_gt_u32_e32 vcc_lo, s8, v0
	s_add_u32 s14, s12, s0
	s_addc_u32 s15, s13, s1
	s_and_saveexec_b32 s0, vcc_lo
	s_cbranch_execz .LBB109_11
; %bb.10:
	global_load_ushort v1, v10, s[14:15]
.LBB109_11:
	s_or_b32 exec_lo, exec_lo, s0
	v_or_b32_e32 v11, 0x100, v0
	v_cmp_gt_u32_e64 s0, s8, v11
	s_and_saveexec_b32 s1, s0
	s_cbranch_execz .LBB109_13
; %bb.12:
	global_load_ushort v2, v10, s[14:15] offset:512
.LBB109_13:
	s_or_b32 exec_lo, exec_lo, s1
	v_or_b32_e32 v11, 0x200, v0
	v_cmp_gt_u32_e64 s1, s8, v11
	s_and_saveexec_b32 s2, s1
	s_cbranch_execz .LBB109_15
; %bb.14:
	global_load_ushort v3, v10, s[14:15] offset:1024
.LBB109_15:
	;; [unrolled: 8-line block ×3, first 2 shown]
	s_or_b32 exec_lo, exec_lo, s3
	v_or_b32_e32 v10, 0x400, v0
	v_cmp_gt_u32_e64 s3, s8, v10
	s_and_saveexec_b32 s4, s3
	s_cbranch_execz .LBB109_19
; %bb.18:
	v_lshlrev_b32_e32 v6, 1, v10
	global_load_ushort v6, v6, s[14:15]
.LBB109_19:
	s_or_b32 exec_lo, exec_lo, s4
	v_or_b32_e32 v10, 0x500, v0
	v_cmp_gt_u32_e64 s4, s8, v10
	s_and_saveexec_b32 s5, s4
	s_cbranch_execz .LBB109_21
; %bb.20:
	v_lshlrev_b32_e32 v7, 1, v10
	global_load_ushort v7, v7, s[14:15]
.LBB109_21:
	;; [unrolled: 9-line block ×4, first 2 shown]
	s_or_b32 exec_lo, exec_lo, s11
	s_waitcnt vmcnt(0)
	v_mul_f16_e32 v1, v5, v1
	v_cndmask_b32_e32 v1, v5, v1, vcc_lo
	v_mul_f16_e32 v2, v1, v2
	v_cndmask_b32_e64 v1, v1, v2, s0
	s_mov_b32 s0, exec_lo
	v_mul_f16_e32 v2, v1, v3
	v_cndmask_b32_e64 v1, v1, v2, s1
	v_mul_f16_e32 v2, v1, v4
	v_cndmask_b32_e64 v1, v1, v2, s2
	;; [unrolled: 2-line block ×6, first 2 shown]
	v_and_b32_e32 v2, 0xffff, v1
	v_mov_b32_dpp v2, v2 quad_perm:[1,0,3,2] row_mask:0xf bank_mask:0xf
	v_mul_f16_e32 v1, v1, v2
	v_and_b32_e32 v2, 0xffff, v1
	v_mov_b32_dpp v2, v2 quad_perm:[2,3,0,1] row_mask:0xf bank_mask:0xf
	v_mul_f16_e32 v1, v1, v2
	v_and_b32_e32 v2, 0xffff, v1
	v_mov_b32_dpp v2, v2 row_ror:4 row_mask:0xf bank_mask:0xf
	v_mul_f16_e32 v1, v1, v2
	v_and_b32_e32 v2, 0xffff, v1
	v_mov_b32_dpp v2, v2 row_ror:8 row_mask:0xf bank_mask:0xf
	v_mul_f16_e32 v1, v1, v2
	v_and_b32_e32 v2, 0xffff, v1
	ds_swizzle_b32 v2, v2 offset:swizzle(BROADCAST,32,15)
	s_waitcnt lgkmcnt(0)
	v_mul_f16_e32 v1, v1, v2
	v_mov_b32_e32 v2, 0
	v_and_b32_e32 v1, 0xffff, v1
	ds_bpermute_b32 v4, v2, v1 offset:124
	v_mbcnt_lo_u32_b32 v1, -1, 0
	v_cmpx_eq_u32_e32 0, v1
	s_cbranch_execz .LBB109_27
; %bb.26:
	v_lshrrev_b32_e32 v2, 4, v0
	v_and_b32_e32 v2, 14, v2
	s_waitcnt lgkmcnt(0)
	ds_write_b16 v2, v4
.LBB109_27:
	s_or_b32 exec_lo, exec_lo, s0
	s_mov_b32 s0, exec_lo
	s_waitcnt lgkmcnt(0)
	s_waitcnt_vscnt null, 0x0
	s_barrier
	buffer_gl0_inv
	v_cmpx_gt_u32_e32 32, v0
	s_cbranch_execz .LBB109_29
; %bb.28:
	v_and_b32_e32 v2, 7, v1
	v_lshlrev_b32_e32 v3, 1, v2
	v_cmp_ne_u32_e32 vcc_lo, 7, v2
	ds_read_u16 v3, v3
	v_add_co_ci_u32_e64 v4, null, 0, v1, vcc_lo
	v_cmp_gt_u32_e32 vcc_lo, 6, v2
	v_lshlrev_b32_e32 v4, 2, v4
	v_cndmask_b32_e64 v2, 0, 2, vcc_lo
	v_add_lshl_u32 v2, v2, v1, 2
	v_lshlrev_b32_e32 v1, 2, v1
	v_or_b32_e32 v1, 16, v1
	s_waitcnt lgkmcnt(0)
	v_and_b32_e32 v5, 0xffff, v3
	ds_bpermute_b32 v4, v4, v5
	s_waitcnt lgkmcnt(0)
	v_mul_f16_e32 v3, v3, v4
	v_and_b32_e32 v4, 0xffff, v3
	ds_bpermute_b32 v2, v2, v4
	s_waitcnt lgkmcnt(0)
	v_mul_f16_e32 v2, v3, v2
	;; [unrolled: 4-line block ×3, first 2 shown]
.LBB109_29:
	s_or_b32 exec_lo, exec_lo, s0
	s_branch .LBB109_51
.LBB109_30:
                                        ; implicit-def: $vgpr4
	s_cbranch_execz .LBB109_51
; %bb.31:
	s_sub_i32 s3, s16, s10
	s_mov_b32 s0, exec_lo
                                        ; implicit-def: $vgpr3
	v_cmpx_gt_u32_e64 s3, v0
	s_cbranch_execz .LBB109_37
; %bb.32:
	v_add_nc_u32_e32 v1, s10, v0
	s_mov_b32 s1, exec_lo
	v_ashrrev_i32_e32 v2, 31, v1
	v_lshlrev_b64 v[2:3], 1, v[1:2]
	v_add_nc_u32_e32 v1, 0x100, v1
	v_add_co_u32 v2, vcc_lo, s12, v2
	v_add_co_ci_u32_e64 v3, null, s13, v3, vcc_lo
	global_load_ushort v3, v[2:3], off
	v_cmpx_gt_i32_e64 s16, v1
	s_cbranch_execz .LBB109_36
; %bb.33:
	s_mov_b32 s2, 0
.LBB109_34:                             ; =>This Inner Loop Header: Depth=1
	v_ashrrev_i32_e32 v2, 31, v1
	v_lshlrev_b64 v[4:5], 1, v[1:2]
	v_add_nc_u32_e32 v1, 0x100, v1
	v_add_co_u32 v4, vcc_lo, s12, v4
	v_add_co_ci_u32_e64 v5, null, s13, v5, vcc_lo
	v_cmp_le_i32_e32 vcc_lo, s16, v1
	global_load_ushort v2, v[4:5], off
	s_or_b32 s2, vcc_lo, s2
	s_waitcnt vmcnt(0)
	v_mul_f16_e32 v3, v3, v2
	s_andn2_b32 exec_lo, exec_lo, s2
	s_cbranch_execnz .LBB109_34
; %bb.35:
	s_or_b32 exec_lo, exec_lo, s2
.LBB109_36:
	s_or_b32 exec_lo, exec_lo, s1
.LBB109_37:
	s_or_b32 exec_lo, exec_lo, s0
	v_mbcnt_lo_u32_b32 v1, -1, 0
	s_waitcnt vmcnt(0)
	v_and_b32_e32 v2, 0xffff, v3
	s_cmpk_lt_u32 s3, 0x100
	s_cbranch_scc0 .LBB109_45
; %bb.38:
	v_cmp_ne_u32_e32 vcc_lo, 31, v1
	v_and_b32_e32 v5, 0xe0, v0
	v_add_nc_u32_e32 v10, 2, v1
	v_add_co_ci_u32_e64 v4, null, 0, v1, vcc_lo
	v_cmp_gt_u32_e32 vcc_lo, 30, v1
	v_sub_nc_u32_e64 v7, s3, v5 clamp
	v_lshlrev_b32_e32 v4, 2, v4
	v_cndmask_b32_e64 v8, 0, 2, vcc_lo
	v_cmp_gt_u32_e32 vcc_lo, 28, v1
	v_cmp_lt_u32_e64 s0, v10, v7
	ds_bpermute_b32 v4, v4, v2
	v_add_lshl_u32 v8, v8, v1, 2
	s_waitcnt lgkmcnt(0)
	v_mul_f16_e32 v6, v3, v4
	v_add_nc_u32_e32 v4, 1, v1
	v_and_b32_e32 v5, 0xffff, v6
	v_cmp_lt_u32_e64 s2, v4, v7
	v_cndmask_b32_e64 v4, v2, v5, s2
	v_cndmask_b32_e64 v9, v3, v6, s2
	ds_bpermute_b32 v5, v8, v4
	s_waitcnt lgkmcnt(0)
	v_mul_f16_e32 v8, v9, v5
	v_cndmask_b32_e64 v5, 0, 4, vcc_lo
	v_cmp_gt_u32_e32 vcc_lo, 24, v1
	v_and_b32_e32 v11, 0xffff, v8
	v_add_lshl_u32 v5, v5, v1, 2
	v_cndmask_b32_e64 v10, v9, v8, s0
	v_cndmask_b32_e64 v4, v4, v11, s0
	v_add_nc_u32_e32 v11, 4, v1
	ds_bpermute_b32 v5, v5, v4
	v_cmp_lt_u32_e64 s1, v11, v7
	s_waitcnt lgkmcnt(0)
	v_mul_f16_e32 v9, v10, v5
	v_cndmask_b32_e64 v5, 0, 8, vcc_lo
	v_and_b32_e32 v12, 0xffff, v9
	v_add_lshl_u32 v5, v5, v1, 2
	v_cndmask_b32_e64 v11, v10, v9, s1
	v_cndmask_b32_e64 v4, v4, v12, s1
	v_add_nc_u32_e32 v12, 8, v1
	ds_bpermute_b32 v5, v5, v4
	v_cmp_lt_u32_e32 vcc_lo, v12, v7
	s_waitcnt lgkmcnt(0)
	v_mul_f16_e32 v10, v11, v5
	v_lshlrev_b32_e32 v5, 2, v1
	v_cndmask_b32_sdwa v4, v4, v10, vcc_lo dst_sel:DWORD dst_unused:UNUSED_PAD src0_sel:DWORD src1_sel:WORD_0
	v_or_b32_e32 v12, 64, v5
	ds_bpermute_b32 v12, v12, v4
	v_mov_b32_e32 v4, v3
	s_and_saveexec_b32 s4, s2
	s_cbranch_execz .LBB109_40
; %bb.39:
	v_cndmask_b32_e64 v4, v6, v8, s0
	v_cndmask_b32_e32 v6, v11, v10, vcc_lo
	v_add_nc_u32_e32 v8, 16, v1
	v_cndmask_b32_e64 v4, v4, v9, s1
	s_waitcnt lgkmcnt(0)
	v_mul_f16_e32 v6, v6, v12
	v_cndmask_b32_e32 v4, v4, v10, vcc_lo
	v_cmp_lt_u32_e32 vcc_lo, v8, v7
	v_cndmask_b32_e32 v4, v4, v6, vcc_lo
.LBB109_40:
	s_or_b32 exec_lo, exec_lo, s4
	s_mov_b32 s0, exec_lo
	v_cmpx_eq_u32_e32 0, v1
; %bb.41:
	v_lshrrev_b32_e32 v6, 4, v0
	v_and_b32_e32 v6, 14, v6
	ds_write_b16 v6, v4
; %bb.42:
	s_or_b32 exec_lo, exec_lo, s0
	s_mov_b32 s1, exec_lo
	s_waitcnt lgkmcnt(0)
	s_waitcnt_vscnt null, 0x0
	s_barrier
	buffer_gl0_inv
	v_cmpx_gt_u32_e32 8, v0
	s_cbranch_execz .LBB109_44
; %bb.43:
	v_lshlrev_b32_e32 v4, 1, v1
	v_and_b32_e32 v6, 7, v1
	s_add_i32 s3, s3, 31
	v_or_b32_e32 v5, 16, v5
	s_lshr_b32 s2, s3, 5
	ds_read_u16 v4, v4
	v_cmp_ne_u32_e32 vcc_lo, 7, v6
	v_add_nc_u32_e32 v10, 1, v6
	v_add_co_ci_u32_e64 v7, null, 0, v1, vcc_lo
	v_cmp_gt_u32_e32 vcc_lo, 6, v6
	v_cmp_gt_u32_e64 s0, s2, v10
	v_lshlrev_b32_e32 v7, 2, v7
	v_cndmask_b32_e64 v9, 0, 2, vcc_lo
	v_add_lshl_u32 v9, v9, v1, 2
	s_waitcnt lgkmcnt(0)
	v_and_b32_e32 v8, 0xffff, v4
	ds_bpermute_b32 v7, v7, v8
	s_waitcnt lgkmcnt(0)
	v_mul_f16_e32 v7, v4, v7
	v_and_b32_e32 v11, 0xffff, v7
	v_cndmask_b32_e64 v10, v4, v7, s0
	v_cndmask_b32_e64 v8, v8, v11, s0
	v_add_nc_u32_e32 v11, 2, v6
	v_add_nc_u32_e32 v6, 4, v6
	ds_bpermute_b32 v9, v9, v8
	v_cmp_gt_u32_e32 vcc_lo, s2, v11
	s_waitcnt lgkmcnt(0)
	v_mul_f16_e32 v9, v10, v9
	v_cndmask_b32_sdwa v8, v8, v9, vcc_lo dst_sel:DWORD dst_unused:UNUSED_PAD src0_sel:DWORD src1_sel:WORD_0
	v_cndmask_b32_e32 v7, v7, v9, vcc_lo
	v_cmp_gt_u32_e32 vcc_lo, s2, v6
	ds_bpermute_b32 v5, v5, v8
	s_waitcnt lgkmcnt(0)
	v_mul_f16_e32 v5, v7, v5
	v_cndmask_b32_e32 v5, v7, v5, vcc_lo
	v_cndmask_b32_e64 v4, v4, v5, s0
.LBB109_44:
	s_or_b32 exec_lo, exec_lo, s1
	s_branch .LBB109_51
.LBB109_45:
                                        ; implicit-def: $vgpr4
	s_cbranch_execz .LBB109_51
; %bb.46:
	v_mov_b32_dpp v2, v2 quad_perm:[1,0,3,2] row_mask:0xf bank_mask:0xf
	s_mov_b32 s0, exec_lo
	v_mul_f16_e32 v2, v3, v2
	v_and_b32_e32 v3, 0xffff, v2
	v_mov_b32_dpp v3, v3 quad_perm:[2,3,0,1] row_mask:0xf bank_mask:0xf
	v_mul_f16_e32 v2, v2, v3
	v_and_b32_e32 v3, 0xffff, v2
	v_mov_b32_dpp v3, v3 row_ror:4 row_mask:0xf bank_mask:0xf
	v_mul_f16_e32 v2, v2, v3
	v_and_b32_e32 v3, 0xffff, v2
	v_mov_b32_dpp v3, v3 row_ror:8 row_mask:0xf bank_mask:0xf
	v_mul_f16_e32 v2, v2, v3
	v_and_b32_e32 v3, 0xffff, v2
	ds_swizzle_b32 v3, v3 offset:swizzle(BROADCAST,32,15)
	s_waitcnt lgkmcnt(0)
	v_mul_f16_e32 v2, v2, v3
	v_mov_b32_e32 v3, 0
	v_and_b32_e32 v2, 0xffff, v2
	ds_bpermute_b32 v4, v3, v2 offset:124
	v_cmpx_eq_u32_e32 0, v1
	s_cbranch_execz .LBB109_48
; %bb.47:
	v_lshrrev_b32_e32 v2, 4, v0
	v_and_b32_e32 v2, 14, v2
	s_waitcnt lgkmcnt(0)
	ds_write_b16 v2, v4
.LBB109_48:
	s_or_b32 exec_lo, exec_lo, s0
	s_mov_b32 s0, exec_lo
	s_waitcnt lgkmcnt(0)
	s_waitcnt_vscnt null, 0x0
	s_barrier
	buffer_gl0_inv
	v_cmpx_gt_u32_e32 32, v0
	s_cbranch_execz .LBB109_50
; %bb.49:
	v_and_b32_e32 v2, 7, v1
	v_lshlrev_b32_e32 v3, 1, v2
	v_cmp_ne_u32_e32 vcc_lo, 7, v2
	ds_read_u16 v3, v3
	v_add_co_ci_u32_e64 v4, null, 0, v1, vcc_lo
	v_cmp_gt_u32_e32 vcc_lo, 6, v2
	v_lshlrev_b32_e32 v4, 2, v4
	v_cndmask_b32_e64 v2, 0, 2, vcc_lo
	v_add_lshl_u32 v2, v2, v1, 2
	v_lshlrev_b32_e32 v1, 2, v1
	v_or_b32_e32 v1, 16, v1
	s_waitcnt lgkmcnt(0)
	v_and_b32_e32 v5, 0xffff, v3
	ds_bpermute_b32 v4, v4, v5
	s_waitcnt lgkmcnt(0)
	v_mul_f16_e32 v3, v3, v4
	v_and_b32_e32 v4, 0xffff, v3
	ds_bpermute_b32 v2, v2, v4
	s_waitcnt lgkmcnt(0)
	v_mul_f16_e32 v2, v3, v2
	;; [unrolled: 4-line block ×3, first 2 shown]
.LBB109_50:
	s_or_b32 exec_lo, exec_lo, s0
.LBB109_51:
	s_mov_b32 s0, exec_lo
	v_cmpx_eq_u32_e32 0, v0
	s_cbranch_execz .LBB109_53
; %bb.52:
	s_lshl_b64 s[0:1], s[6:7], 1
	v_mov_b32_e32 v0, 0
	v_mul_f16_e32 v1, s9, v4
	s_add_u32 s0, s20, s0
	s_addc_u32 s1, s21, s1
	global_store_short v0, v1, s[0:1]
.LBB109_53:
	s_endpgm
	.section	.rodata,"a",@progbits
	.p2align	6, 0x0
	.amdhsa_kernel _ZN7rocprim17ROCPRIM_400000_NS6detail17trampoline_kernelINS0_14default_configENS1_32segmented_reduce_config_selectorIN3c104HalfEEEZNS1_21segmented_reduce_implIS3_PKS6_PS6_PKiS6_N6hipcub16HIPCUB_304000_NS6detail27convert_result_type_wrapperISA_SB_N2at6native12_GLOBAL__N_110CustomProdEEEEE10hipError_tPvRmT0_T1_jT2_SS_T4_T3_P12ihipStream_tbEUlT_E_NS1_11comp_targetILNS1_3genE8ELNS1_11target_archE1030ELNS1_3gpuE2ELNS1_3repE0EEENS1_30default_config_static_selectorELNS0_4arch9wavefront6targetE0EEEvSR_
		.amdhsa_group_segment_fixed_size 16
		.amdhsa_private_segment_fixed_size 0
		.amdhsa_kernarg_size 48
		.amdhsa_user_sgpr_count 6
		.amdhsa_user_sgpr_private_segment_buffer 1
		.amdhsa_user_sgpr_dispatch_ptr 0
		.amdhsa_user_sgpr_queue_ptr 0
		.amdhsa_user_sgpr_kernarg_segment_ptr 1
		.amdhsa_user_sgpr_dispatch_id 0
		.amdhsa_user_sgpr_flat_scratch_init 0
		.amdhsa_user_sgpr_private_segment_size 0
		.amdhsa_wavefront_size32 1
		.amdhsa_uses_dynamic_stack 0
		.amdhsa_system_sgpr_private_segment_wavefront_offset 0
		.amdhsa_system_sgpr_workgroup_id_x 1
		.amdhsa_system_sgpr_workgroup_id_y 0
		.amdhsa_system_sgpr_workgroup_id_z 0
		.amdhsa_system_sgpr_workgroup_info 0
		.amdhsa_system_vgpr_workitem_id 0
		.amdhsa_next_free_vgpr 15
		.amdhsa_next_free_sgpr 22
		.amdhsa_reserve_vcc 1
		.amdhsa_reserve_flat_scratch 0
		.amdhsa_float_round_mode_32 0
		.amdhsa_float_round_mode_16_64 0
		.amdhsa_float_denorm_mode_32 3
		.amdhsa_float_denorm_mode_16_64 3
		.amdhsa_dx10_clamp 1
		.amdhsa_ieee_mode 1
		.amdhsa_fp16_overflow 0
		.amdhsa_workgroup_processor_mode 1
		.amdhsa_memory_ordered 1
		.amdhsa_forward_progress 1
		.amdhsa_shared_vgpr_count 0
		.amdhsa_exception_fp_ieee_invalid_op 0
		.amdhsa_exception_fp_denorm_src 0
		.amdhsa_exception_fp_ieee_div_zero 0
		.amdhsa_exception_fp_ieee_overflow 0
		.amdhsa_exception_fp_ieee_underflow 0
		.amdhsa_exception_fp_ieee_inexact 0
		.amdhsa_exception_int_div_zero 0
	.end_amdhsa_kernel
	.section	.text._ZN7rocprim17ROCPRIM_400000_NS6detail17trampoline_kernelINS0_14default_configENS1_32segmented_reduce_config_selectorIN3c104HalfEEEZNS1_21segmented_reduce_implIS3_PKS6_PS6_PKiS6_N6hipcub16HIPCUB_304000_NS6detail27convert_result_type_wrapperISA_SB_N2at6native12_GLOBAL__N_110CustomProdEEEEE10hipError_tPvRmT0_T1_jT2_SS_T4_T3_P12ihipStream_tbEUlT_E_NS1_11comp_targetILNS1_3genE8ELNS1_11target_archE1030ELNS1_3gpuE2ELNS1_3repE0EEENS1_30default_config_static_selectorELNS0_4arch9wavefront6targetE0EEEvSR_,"axG",@progbits,_ZN7rocprim17ROCPRIM_400000_NS6detail17trampoline_kernelINS0_14default_configENS1_32segmented_reduce_config_selectorIN3c104HalfEEEZNS1_21segmented_reduce_implIS3_PKS6_PS6_PKiS6_N6hipcub16HIPCUB_304000_NS6detail27convert_result_type_wrapperISA_SB_N2at6native12_GLOBAL__N_110CustomProdEEEEE10hipError_tPvRmT0_T1_jT2_SS_T4_T3_P12ihipStream_tbEUlT_E_NS1_11comp_targetILNS1_3genE8ELNS1_11target_archE1030ELNS1_3gpuE2ELNS1_3repE0EEENS1_30default_config_static_selectorELNS0_4arch9wavefront6targetE0EEEvSR_,comdat
.Lfunc_end109:
	.size	_ZN7rocprim17ROCPRIM_400000_NS6detail17trampoline_kernelINS0_14default_configENS1_32segmented_reduce_config_selectorIN3c104HalfEEEZNS1_21segmented_reduce_implIS3_PKS6_PS6_PKiS6_N6hipcub16HIPCUB_304000_NS6detail27convert_result_type_wrapperISA_SB_N2at6native12_GLOBAL__N_110CustomProdEEEEE10hipError_tPvRmT0_T1_jT2_SS_T4_T3_P12ihipStream_tbEUlT_E_NS1_11comp_targetILNS1_3genE8ELNS1_11target_archE1030ELNS1_3gpuE2ELNS1_3repE0EEENS1_30default_config_static_selectorELNS0_4arch9wavefront6targetE0EEEvSR_, .Lfunc_end109-_ZN7rocprim17ROCPRIM_400000_NS6detail17trampoline_kernelINS0_14default_configENS1_32segmented_reduce_config_selectorIN3c104HalfEEEZNS1_21segmented_reduce_implIS3_PKS6_PS6_PKiS6_N6hipcub16HIPCUB_304000_NS6detail27convert_result_type_wrapperISA_SB_N2at6native12_GLOBAL__N_110CustomProdEEEEE10hipError_tPvRmT0_T1_jT2_SS_T4_T3_P12ihipStream_tbEUlT_E_NS1_11comp_targetILNS1_3genE8ELNS1_11target_archE1030ELNS1_3gpuE2ELNS1_3repE0EEENS1_30default_config_static_selectorELNS0_4arch9wavefront6targetE0EEEvSR_
                                        ; -- End function
	.set _ZN7rocprim17ROCPRIM_400000_NS6detail17trampoline_kernelINS0_14default_configENS1_32segmented_reduce_config_selectorIN3c104HalfEEEZNS1_21segmented_reduce_implIS3_PKS6_PS6_PKiS6_N6hipcub16HIPCUB_304000_NS6detail27convert_result_type_wrapperISA_SB_N2at6native12_GLOBAL__N_110CustomProdEEEEE10hipError_tPvRmT0_T1_jT2_SS_T4_T3_P12ihipStream_tbEUlT_E_NS1_11comp_targetILNS1_3genE8ELNS1_11target_archE1030ELNS1_3gpuE2ELNS1_3repE0EEENS1_30default_config_static_selectorELNS0_4arch9wavefront6targetE0EEEvSR_.num_vgpr, 15
	.set _ZN7rocprim17ROCPRIM_400000_NS6detail17trampoline_kernelINS0_14default_configENS1_32segmented_reduce_config_selectorIN3c104HalfEEEZNS1_21segmented_reduce_implIS3_PKS6_PS6_PKiS6_N6hipcub16HIPCUB_304000_NS6detail27convert_result_type_wrapperISA_SB_N2at6native12_GLOBAL__N_110CustomProdEEEEE10hipError_tPvRmT0_T1_jT2_SS_T4_T3_P12ihipStream_tbEUlT_E_NS1_11comp_targetILNS1_3genE8ELNS1_11target_archE1030ELNS1_3gpuE2ELNS1_3repE0EEENS1_30default_config_static_selectorELNS0_4arch9wavefront6targetE0EEEvSR_.num_agpr, 0
	.set _ZN7rocprim17ROCPRIM_400000_NS6detail17trampoline_kernelINS0_14default_configENS1_32segmented_reduce_config_selectorIN3c104HalfEEEZNS1_21segmented_reduce_implIS3_PKS6_PS6_PKiS6_N6hipcub16HIPCUB_304000_NS6detail27convert_result_type_wrapperISA_SB_N2at6native12_GLOBAL__N_110CustomProdEEEEE10hipError_tPvRmT0_T1_jT2_SS_T4_T3_P12ihipStream_tbEUlT_E_NS1_11comp_targetILNS1_3genE8ELNS1_11target_archE1030ELNS1_3gpuE2ELNS1_3repE0EEENS1_30default_config_static_selectorELNS0_4arch9wavefront6targetE0EEEvSR_.numbered_sgpr, 22
	.set _ZN7rocprim17ROCPRIM_400000_NS6detail17trampoline_kernelINS0_14default_configENS1_32segmented_reduce_config_selectorIN3c104HalfEEEZNS1_21segmented_reduce_implIS3_PKS6_PS6_PKiS6_N6hipcub16HIPCUB_304000_NS6detail27convert_result_type_wrapperISA_SB_N2at6native12_GLOBAL__N_110CustomProdEEEEE10hipError_tPvRmT0_T1_jT2_SS_T4_T3_P12ihipStream_tbEUlT_E_NS1_11comp_targetILNS1_3genE8ELNS1_11target_archE1030ELNS1_3gpuE2ELNS1_3repE0EEENS1_30default_config_static_selectorELNS0_4arch9wavefront6targetE0EEEvSR_.num_named_barrier, 0
	.set _ZN7rocprim17ROCPRIM_400000_NS6detail17trampoline_kernelINS0_14default_configENS1_32segmented_reduce_config_selectorIN3c104HalfEEEZNS1_21segmented_reduce_implIS3_PKS6_PS6_PKiS6_N6hipcub16HIPCUB_304000_NS6detail27convert_result_type_wrapperISA_SB_N2at6native12_GLOBAL__N_110CustomProdEEEEE10hipError_tPvRmT0_T1_jT2_SS_T4_T3_P12ihipStream_tbEUlT_E_NS1_11comp_targetILNS1_3genE8ELNS1_11target_archE1030ELNS1_3gpuE2ELNS1_3repE0EEENS1_30default_config_static_selectorELNS0_4arch9wavefront6targetE0EEEvSR_.private_seg_size, 0
	.set _ZN7rocprim17ROCPRIM_400000_NS6detail17trampoline_kernelINS0_14default_configENS1_32segmented_reduce_config_selectorIN3c104HalfEEEZNS1_21segmented_reduce_implIS3_PKS6_PS6_PKiS6_N6hipcub16HIPCUB_304000_NS6detail27convert_result_type_wrapperISA_SB_N2at6native12_GLOBAL__N_110CustomProdEEEEE10hipError_tPvRmT0_T1_jT2_SS_T4_T3_P12ihipStream_tbEUlT_E_NS1_11comp_targetILNS1_3genE8ELNS1_11target_archE1030ELNS1_3gpuE2ELNS1_3repE0EEENS1_30default_config_static_selectorELNS0_4arch9wavefront6targetE0EEEvSR_.uses_vcc, 1
	.set _ZN7rocprim17ROCPRIM_400000_NS6detail17trampoline_kernelINS0_14default_configENS1_32segmented_reduce_config_selectorIN3c104HalfEEEZNS1_21segmented_reduce_implIS3_PKS6_PS6_PKiS6_N6hipcub16HIPCUB_304000_NS6detail27convert_result_type_wrapperISA_SB_N2at6native12_GLOBAL__N_110CustomProdEEEEE10hipError_tPvRmT0_T1_jT2_SS_T4_T3_P12ihipStream_tbEUlT_E_NS1_11comp_targetILNS1_3genE8ELNS1_11target_archE1030ELNS1_3gpuE2ELNS1_3repE0EEENS1_30default_config_static_selectorELNS0_4arch9wavefront6targetE0EEEvSR_.uses_flat_scratch, 0
	.set _ZN7rocprim17ROCPRIM_400000_NS6detail17trampoline_kernelINS0_14default_configENS1_32segmented_reduce_config_selectorIN3c104HalfEEEZNS1_21segmented_reduce_implIS3_PKS6_PS6_PKiS6_N6hipcub16HIPCUB_304000_NS6detail27convert_result_type_wrapperISA_SB_N2at6native12_GLOBAL__N_110CustomProdEEEEE10hipError_tPvRmT0_T1_jT2_SS_T4_T3_P12ihipStream_tbEUlT_E_NS1_11comp_targetILNS1_3genE8ELNS1_11target_archE1030ELNS1_3gpuE2ELNS1_3repE0EEENS1_30default_config_static_selectorELNS0_4arch9wavefront6targetE0EEEvSR_.has_dyn_sized_stack, 0
	.set _ZN7rocprim17ROCPRIM_400000_NS6detail17trampoline_kernelINS0_14default_configENS1_32segmented_reduce_config_selectorIN3c104HalfEEEZNS1_21segmented_reduce_implIS3_PKS6_PS6_PKiS6_N6hipcub16HIPCUB_304000_NS6detail27convert_result_type_wrapperISA_SB_N2at6native12_GLOBAL__N_110CustomProdEEEEE10hipError_tPvRmT0_T1_jT2_SS_T4_T3_P12ihipStream_tbEUlT_E_NS1_11comp_targetILNS1_3genE8ELNS1_11target_archE1030ELNS1_3gpuE2ELNS1_3repE0EEENS1_30default_config_static_selectorELNS0_4arch9wavefront6targetE0EEEvSR_.has_recursion, 0
	.set _ZN7rocprim17ROCPRIM_400000_NS6detail17trampoline_kernelINS0_14default_configENS1_32segmented_reduce_config_selectorIN3c104HalfEEEZNS1_21segmented_reduce_implIS3_PKS6_PS6_PKiS6_N6hipcub16HIPCUB_304000_NS6detail27convert_result_type_wrapperISA_SB_N2at6native12_GLOBAL__N_110CustomProdEEEEE10hipError_tPvRmT0_T1_jT2_SS_T4_T3_P12ihipStream_tbEUlT_E_NS1_11comp_targetILNS1_3genE8ELNS1_11target_archE1030ELNS1_3gpuE2ELNS1_3repE0EEENS1_30default_config_static_selectorELNS0_4arch9wavefront6targetE0EEEvSR_.has_indirect_call, 0
	.section	.AMDGPU.csdata,"",@progbits
; Kernel info:
; codeLenInByte = 2600
; TotalNumSgprs: 24
; NumVgprs: 15
; ScratchSize: 0
; MemoryBound: 0
; FloatMode: 240
; IeeeMode: 1
; LDSByteSize: 16 bytes/workgroup (compile time only)
; SGPRBlocks: 0
; VGPRBlocks: 1
; NumSGPRsForWavesPerEU: 24
; NumVGPRsForWavesPerEU: 15
; Occupancy: 16
; WaveLimiterHint : 1
; COMPUTE_PGM_RSRC2:SCRATCH_EN: 0
; COMPUTE_PGM_RSRC2:USER_SGPR: 6
; COMPUTE_PGM_RSRC2:TRAP_HANDLER: 0
; COMPUTE_PGM_RSRC2:TGID_X_EN: 1
; COMPUTE_PGM_RSRC2:TGID_Y_EN: 0
; COMPUTE_PGM_RSRC2:TGID_Z_EN: 0
; COMPUTE_PGM_RSRC2:TIDIG_COMP_CNT: 0
	.section	.text._ZN2at6native12_GLOBAL__N_129segment_reduce_forward_kernelIN3c108BFloat16EiEEvNS0_13ReductionTypeEPT_PKS6_PKT0_SC_llbS6_lllllll,"axG",@progbits,_ZN2at6native12_GLOBAL__N_129segment_reduce_forward_kernelIN3c108BFloat16EiEEvNS0_13ReductionTypeEPT_PKS6_PKT0_SC_llbS6_lllllll,comdat
	.globl	_ZN2at6native12_GLOBAL__N_129segment_reduce_forward_kernelIN3c108BFloat16EiEEvNS0_13ReductionTypeEPT_PKS6_PKT0_SC_llbS6_lllllll ; -- Begin function _ZN2at6native12_GLOBAL__N_129segment_reduce_forward_kernelIN3c108BFloat16EiEEvNS0_13ReductionTypeEPT_PKS6_PKT0_SC_llbS6_lllllll
	.p2align	8
	.type	_ZN2at6native12_GLOBAL__N_129segment_reduce_forward_kernelIN3c108BFloat16EiEEvNS0_13ReductionTypeEPT_PKS6_PKT0_SC_llbS6_lllllll,@function
_ZN2at6native12_GLOBAL__N_129segment_reduce_forward_kernelIN3c108BFloat16EiEEvNS0_13ReductionTypeEPT_PKS6_PKT0_SC_llbS6_lllllll: ; @_ZN2at6native12_GLOBAL__N_129segment_reduce_forward_kernelIN3c108BFloat16EiEEvNS0_13ReductionTypeEPT_PKS6_PKT0_SC_llbS6_lllllll
; %bb.0:
	s_clause 0x2
	s_load_dwordx4 s[36:39], s[4:5], 0x28
	s_load_dword s0, s[4:5], 0x84
	s_load_dwordx8 s[24:31], s[4:5], 0x40
	v_mov_b32_e32 v2, 0
	v_mov_b32_e32 v1, v2
	s_waitcnt lgkmcnt(0)
	s_and_b32 s0, s0, 0xffff
	s_mul_i32 s1, s24, s37
	s_mul_hi_u32 s2, s24, s36
	s_mul_i32 s3, s25, s36
	s_mul_i32 s7, s24, s36
	v_mad_u64_u32 v[0:1], null, s0, s6, v[0:1]
	s_add_i32 s0, s2, s1
	s_mul_i32 s1, s7, s27
	s_mul_hi_u32 s2, s7, s26
	s_add_i32 s0, s0, s3
	s_add_i32 s1, s2, s1
	s_mul_i32 s0, s0, s26
	s_add_i32 s1, s1, s0
	s_mul_i32 s0, s7, s26
	v_cmp_gt_i64_e32 vcc_lo, s[0:1], v[0:1]
	s_and_saveexec_b32 s0, vcc_lo
	s_cbranch_execz .LBB110_37
; %bb.1:
	v_or_b32_e32 v3, s27, v1
                                        ; implicit-def: $vgpr6_vgpr7
	s_mov_b32 s0, exec_lo
	v_cmpx_ne_u64_e32 0, v[2:3]
	s_xor_b32 s1, exec_lo, s0
	s_cbranch_execz .LBB110_3
; %bb.2:
	s_ashr_i32 s2, s27, 31
	v_ashrrev_i32_e32 v8, 31, v1
	s_add_u32 s6, s26, s2
	s_mov_b32 s3, s2
	s_addc_u32 s7, s27, s2
	s_xor_b64 s[6:7], s[6:7], s[2:3]
	v_add_co_u32 v4, vcc_lo, v0, v8
	v_cvt_f32_u32_e32 v2, s6
	v_cvt_f32_u32_e32 v3, s7
	s_sub_u32 s8, 0, s6
	s_subb_u32 s9, 0, s7
	v_add_co_ci_u32_e64 v5, null, v1, v8, vcc_lo
	v_fmamk_f32 v2, v3, 0x4f800000, v2
	v_xor_b32_e32 v9, v4, v8
	v_xor_b32_e32 v10, v5, v8
	v_rcp_f32_e32 v2, v2
	v_mul_f32_e32 v2, 0x5f7ffffc, v2
	v_mul_f32_e32 v3, 0x2f800000, v2
	v_trunc_f32_e32 v3, v3
	v_fmamk_f32 v2, v3, 0xcf800000, v2
	v_cvt_u32_f32_e32 v3, v3
	v_cvt_u32_f32_e32 v2, v2
	v_readfirstlane_b32 s0, v3
	v_readfirstlane_b32 s3, v2
	s_mul_i32 s10, s8, s0
	s_mul_hi_u32 s12, s8, s3
	s_mul_i32 s11, s9, s3
	s_add_i32 s10, s12, s10
	s_mul_i32 s13, s8, s3
	s_add_i32 s10, s10, s11
	s_mul_hi_u32 s12, s3, s13
	s_mul_i32 s15, s3, s10
	s_mul_hi_u32 s14, s0, s13
	s_mul_i32 s11, s0, s13
	s_mul_hi_u32 s13, s3, s10
	s_add_u32 s12, s12, s15
	s_addc_u32 s13, 0, s13
	s_mul_hi_u32 s16, s0, s10
	s_add_u32 s11, s12, s11
	s_mul_i32 s10, s0, s10
	s_addc_u32 s11, s13, s14
	s_addc_u32 s12, s16, 0
	s_add_u32 s10, s11, s10
	s_addc_u32 s11, 0, s12
	s_add_u32 s3, s3, s10
	s_cselect_b32 s10, -1, 0
	s_mul_hi_u32 s12, s8, s3
	s_cmp_lg_u32 s10, 0
	s_mul_i32 s10, s8, s3
	s_addc_u32 s0, s0, s11
	s_mul_i32 s9, s9, s3
	s_mul_i32 s8, s8, s0
	s_mul_hi_u32 s11, s3, s10
	s_add_i32 s8, s12, s8
	s_mul_hi_u32 s12, s0, s10
	s_add_i32 s8, s8, s9
	s_mul_i32 s9, s0, s10
	s_mul_i32 s14, s3, s8
	s_mul_hi_u32 s13, s3, s8
	s_add_u32 s11, s11, s14
	s_addc_u32 s13, 0, s13
	s_mul_hi_u32 s10, s0, s8
	s_add_u32 s9, s11, s9
	s_mul_i32 s8, s0, s8
	s_addc_u32 s9, s13, s12
	s_addc_u32 s10, s10, 0
	s_add_u32 s8, s9, s8
	s_addc_u32 s9, 0, s10
	s_add_u32 s3, s3, s8
	s_cselect_b32 s8, -1, 0
	v_mul_hi_u32 v11, v9, s3
	s_cmp_lg_u32 s8, 0
	v_mad_u64_u32 v[4:5], null, v10, s3, 0
	s_addc_u32 s0, s0, s9
	v_mad_u64_u32 v[2:3], null, v9, s0, 0
	v_mad_u64_u32 v[6:7], null, v10, s0, 0
	v_add_co_u32 v2, vcc_lo, v11, v2
	v_add_co_ci_u32_e64 v3, null, 0, v3, vcc_lo
	v_add_co_u32 v2, vcc_lo, v2, v4
	v_add_co_ci_u32_e32 v2, vcc_lo, v3, v5, vcc_lo
	v_add_co_ci_u32_e32 v3, vcc_lo, 0, v7, vcc_lo
	v_add_co_u32 v4, vcc_lo, v2, v6
	v_add_co_ci_u32_e64 v5, null, 0, v3, vcc_lo
	v_mul_lo_u32 v6, s7, v4
	v_mad_u64_u32 v[2:3], null, s6, v4, 0
	v_mul_lo_u32 v7, s6, v5
	v_sub_co_u32 v2, vcc_lo, v9, v2
	v_add3_u32 v3, v3, v7, v6
	v_add_co_u32 v7, s0, v4, 2
	v_add_co_ci_u32_e64 v9, null, 0, v5, s0
	v_sub_nc_u32_e32 v6, v10, v3
	v_sub_co_u32 v11, s0, v2, s6
	v_sub_co_ci_u32_e64 v3, null, v10, v3, vcc_lo
	v_subrev_co_ci_u32_e64 v6, null, s7, v6, vcc_lo
	v_cmp_le_u32_e32 vcc_lo, s6, v11
	v_subrev_co_ci_u32_e64 v6, null, 0, v6, s0
	v_cndmask_b32_e64 v10, 0, -1, vcc_lo
	v_cmp_le_u32_e32 vcc_lo, s7, v6
	v_cndmask_b32_e64 v11, 0, -1, vcc_lo
	v_cmp_le_u32_e32 vcc_lo, s6, v2
	;; [unrolled: 2-line block ×3, first 2 shown]
	v_cndmask_b32_e64 v12, 0, -1, vcc_lo
	v_cmp_eq_u32_e32 vcc_lo, s7, v6
	v_cndmask_b32_e32 v6, v11, v10, vcc_lo
	v_add_co_u32 v10, vcc_lo, v4, 1
	v_add_co_ci_u32_e64 v11, null, 0, v5, vcc_lo
	v_cmp_eq_u32_e32 vcc_lo, s7, v3
	v_cndmask_b32_e32 v2, v12, v2, vcc_lo
	v_cmp_ne_u32_e32 vcc_lo, 0, v6
	v_cmp_ne_u32_e64 s0, 0, v2
	v_cndmask_b32_e32 v2, v10, v7, vcc_lo
	v_cndmask_b32_e32 v3, v11, v9, vcc_lo
	v_xor_b32_e32 v7, s2, v8
	v_cndmask_b32_e64 v2, v4, v2, s0
	v_cndmask_b32_e64 v3, v5, v3, s0
	v_xor_b32_e32 v2, v2, v7
	v_xor_b32_e32 v3, v3, v7
	v_sub_co_u32 v6, vcc_lo, v2, v7
	v_sub_co_ci_u32_e64 v7, null, v3, v7, vcc_lo
.LBB110_3:
	s_or_saveexec_b32 s0, s1
	s_clause 0x1
	s_load_dwordx8 s[8:15], s[4:5], 0x8
	s_load_dwordx8 s[16:23], s[4:5], 0x60
	s_xor_b32 exec_lo, exec_lo, s0
	s_cbranch_execz .LBB110_5
; %bb.4:
	v_cvt_f32_u32_e32 v2, s26
	s_sub_i32 s1, 0, s26
	v_mov_b32_e32 v7, 0
	v_rcp_iflag_f32_e32 v2, v2
	v_mul_f32_e32 v2, 0x4f7ffffe, v2
	v_cvt_u32_f32_e32 v2, v2
	v_mul_lo_u32 v3, s1, v2
	v_mul_hi_u32 v3, v2, v3
	v_add_nc_u32_e32 v2, v2, v3
	v_mul_hi_u32 v2, v0, v2
	v_mul_lo_u32 v3, v2, s26
	v_add_nc_u32_e32 v4, 1, v2
	v_sub_nc_u32_e32 v3, v0, v3
	v_subrev_nc_u32_e32 v5, s26, v3
	v_cmp_le_u32_e32 vcc_lo, s26, v3
	v_cndmask_b32_e32 v3, v3, v5, vcc_lo
	v_cndmask_b32_e32 v2, v2, v4, vcc_lo
	v_cmp_le_u32_e32 vcc_lo, s26, v3
	v_add_nc_u32_e32 v4, 1, v2
	v_cndmask_b32_e32 v6, v2, v4, vcc_lo
.LBB110_5:
	s_or_b32 exec_lo, exec_lo, s0
	v_or_b32_e32 v3, s37, v7
	v_mov_b32_e32 v2, 0
	v_cmp_ne_u64_e32 vcc_lo, 0, v[2:3]
                                        ; implicit-def: $vgpr2_vgpr3
	s_and_saveexec_b32 s0, vcc_lo
	s_xor_b32 s1, exec_lo, s0
	s_cbranch_execz .LBB110_7
; %bb.6:
	s_ashr_i32 s2, s37, 31
	v_ashrrev_i32_e32 v10, 31, v7
	s_add_u32 s6, s36, s2
	s_mov_b32 s3, s2
	s_addc_u32 s7, s37, s2
	s_xor_b64 s[6:7], s[6:7], s[2:3]
	v_add_co_u32 v4, vcc_lo, v6, v10
	v_cvt_f32_u32_e32 v2, s6
	v_cvt_f32_u32_e32 v3, s7
	s_waitcnt lgkmcnt(0)
	s_sub_u32 s22, 0, s6
	s_subb_u32 s23, 0, s7
	v_add_co_ci_u32_e64 v5, null, v7, v10, vcc_lo
	v_fmamk_f32 v2, v3, 0x4f800000, v2
	v_xor_b32_e32 v11, v4, v10
	v_xor_b32_e32 v12, v5, v10
	v_rcp_f32_e32 v2, v2
	v_mul_f32_e32 v2, 0x5f7ffffc, v2
	v_mul_f32_e32 v3, 0x2f800000, v2
	v_trunc_f32_e32 v3, v3
	v_fmamk_f32 v2, v3, 0xcf800000, v2
	v_cvt_u32_f32_e32 v3, v3
	v_cvt_u32_f32_e32 v2, v2
	v_readfirstlane_b32 s0, v3
	v_readfirstlane_b32 s3, v2
	s_mul_i32 s24, s22, s0
	s_mul_hi_u32 s33, s22, s3
	s_mul_i32 s25, s23, s3
	s_add_i32 s24, s33, s24
	s_mul_i32 s34, s22, s3
	s_add_i32 s24, s24, s25
	s_mul_hi_u32 s33, s3, s34
	s_mul_i32 s40, s3, s24
	s_mul_hi_u32 s35, s0, s34
	s_mul_i32 s25, s0, s34
	s_mul_hi_u32 s34, s3, s24
	s_add_u32 s33, s33, s40
	s_addc_u32 s34, 0, s34
	s_mul_hi_u32 s41, s0, s24
	s_add_u32 s25, s33, s25
	s_mul_i32 s24, s0, s24
	s_addc_u32 s25, s34, s35
	s_addc_u32 s33, s41, 0
	s_add_u32 s24, s25, s24
	s_addc_u32 s25, 0, s33
	s_add_u32 s3, s3, s24
	s_cselect_b32 s24, -1, 0
	s_mul_hi_u32 s33, s22, s3
	s_cmp_lg_u32 s24, 0
	s_mul_i32 s24, s22, s3
	s_addc_u32 s0, s0, s25
	s_mul_i32 s23, s23, s3
	s_mul_i32 s22, s22, s0
	s_mul_hi_u32 s25, s3, s24
	s_add_i32 s22, s33, s22
	s_mul_hi_u32 s33, s0, s24
	s_add_i32 s22, s22, s23
	s_mul_i32 s23, s0, s24
	s_mul_i32 s35, s3, s22
	s_mul_hi_u32 s34, s3, s22
	s_add_u32 s25, s25, s35
	s_addc_u32 s34, 0, s34
	s_mul_hi_u32 s24, s0, s22
	s_add_u32 s23, s25, s23
	s_mul_i32 s22, s0, s22
	s_addc_u32 s23, s34, s33
	s_addc_u32 s24, s24, 0
	s_add_u32 s22, s23, s22
	s_addc_u32 s23, 0, s24
	s_add_u32 s3, s3, s22
	s_cselect_b32 s22, -1, 0
	v_mul_hi_u32 v13, v11, s3
	s_cmp_lg_u32 s22, 0
	v_mad_u64_u32 v[4:5], null, v12, s3, 0
	s_addc_u32 s0, s0, s23
	v_mad_u64_u32 v[2:3], null, v11, s0, 0
	v_mad_u64_u32 v[8:9], null, v12, s0, 0
	v_add_co_u32 v2, vcc_lo, v13, v2
	v_add_co_ci_u32_e64 v3, null, 0, v3, vcc_lo
	v_add_co_u32 v2, vcc_lo, v2, v4
	v_add_co_ci_u32_e32 v2, vcc_lo, v3, v5, vcc_lo
	v_add_co_ci_u32_e32 v3, vcc_lo, 0, v9, vcc_lo
	v_add_co_u32 v4, vcc_lo, v2, v8
	v_add_co_ci_u32_e64 v5, null, 0, v3, vcc_lo
	v_mul_lo_u32 v8, s7, v4
	v_mad_u64_u32 v[2:3], null, s6, v4, 0
	v_mul_lo_u32 v9, s6, v5
	v_sub_co_u32 v2, vcc_lo, v11, v2
	v_add3_u32 v3, v3, v9, v8
	v_add_co_u32 v9, s0, v4, 2
	v_add_co_ci_u32_e64 v11, null, 0, v5, s0
	v_sub_nc_u32_e32 v8, v12, v3
	v_sub_co_u32 v13, s0, v2, s6
	v_sub_co_ci_u32_e64 v3, null, v12, v3, vcc_lo
	v_subrev_co_ci_u32_e64 v8, null, s7, v8, vcc_lo
	v_cmp_le_u32_e32 vcc_lo, s6, v13
	v_subrev_co_ci_u32_e64 v8, null, 0, v8, s0
	v_cndmask_b32_e64 v12, 0, -1, vcc_lo
	v_cmp_le_u32_e32 vcc_lo, s7, v8
	v_cndmask_b32_e64 v13, 0, -1, vcc_lo
	v_cmp_le_u32_e32 vcc_lo, s6, v2
	;; [unrolled: 2-line block ×3, first 2 shown]
	v_cndmask_b32_e64 v14, 0, -1, vcc_lo
	v_cmp_eq_u32_e32 vcc_lo, s7, v8
	v_cndmask_b32_e32 v8, v13, v12, vcc_lo
	v_add_co_u32 v12, vcc_lo, v4, 1
	v_add_co_ci_u32_e64 v13, null, 0, v5, vcc_lo
	v_cmp_eq_u32_e32 vcc_lo, s7, v3
	v_cndmask_b32_e32 v2, v14, v2, vcc_lo
	v_cmp_ne_u32_e32 vcc_lo, 0, v8
	v_xor_b32_e32 v8, s2, v10
	v_cmp_ne_u32_e64 s0, 0, v2
	v_cndmask_b32_e32 v2, v12, v9, vcc_lo
	v_cndmask_b32_e32 v3, v13, v11, vcc_lo
	v_cndmask_b32_e64 v2, v4, v2, s0
	v_cndmask_b32_e64 v3, v5, v3, s0
	v_xor_b32_e32 v2, v2, v8
	v_xor_b32_e32 v3, v3, v8
	v_sub_co_u32 v2, vcc_lo, v2, v8
	v_sub_co_ci_u32_e64 v3, null, v3, v8, vcc_lo
.LBB110_7:
	s_andn2_saveexec_b32 s0, s1
	s_cbranch_execz .LBB110_9
; %bb.8:
	v_cvt_f32_u32_e32 v2, s36
	s_sub_i32 s1, 0, s36
	v_rcp_iflag_f32_e32 v2, v2
	v_mul_f32_e32 v2, 0x4f7ffffe, v2
	v_cvt_u32_f32_e32 v2, v2
	v_mul_lo_u32 v3, s1, v2
	v_mul_hi_u32 v3, v2, v3
	v_add_nc_u32_e32 v2, v2, v3
	v_mul_hi_u32 v2, v6, v2
	v_mul_lo_u32 v3, v2, s36
	v_add_nc_u32_e32 v4, 1, v2
	v_sub_nc_u32_e32 v3, v6, v3
	v_subrev_nc_u32_e32 v5, s36, v3
	v_cmp_le_u32_e32 vcc_lo, s36, v3
	v_cndmask_b32_e32 v3, v3, v5, vcc_lo
	v_cndmask_b32_e32 v2, v2, v4, vcc_lo
	v_cmp_le_u32_e32 vcc_lo, s36, v3
	v_add_nc_u32_e32 v4, 1, v2
	v_mov_b32_e32 v3, 0
	v_cndmask_b32_e32 v2, v2, v4, vcc_lo
.LBB110_9:
	s_or_b32 exec_lo, exec_lo, s0
	s_load_dword s1, s[4:5], 0x38
	v_mul_lo_u32 v4, v3, s36
	v_mul_lo_u32 v5, v2, s37
	v_mad_u64_u32 v[8:9], null, v2, s36, 0
	s_load_dword s4, s[4:5], 0x0
	v_mul_lo_u32 v14, v7, s26
	v_mul_lo_u32 v15, v6, s27
	s_mov_b32 s5, exec_lo
	v_add3_u32 v9, v9, v5, v4
	v_sub_co_u32 v4, vcc_lo, v6, v8
	v_sub_co_ci_u32_e64 v5, null, v7, v9, vcc_lo
	v_mad_u64_u32 v[6:7], null, v6, s26, 0
	s_waitcnt lgkmcnt(0)
	s_lshr_b32 s0, s1, 16
	s_add_u32 s2, s36, 1
	s_addc_u32 s3, s37, 0
	s_mul_hi_u32 s6, s20, s2
	s_mul_i32 s3, s20, s3
	s_mul_i32 s7, s21, s2
	s_add_i32 s3, s6, s3
	s_mul_i32 s2, s20, s2
	s_add_i32 s3, s3, s7
	v_mul_lo_u32 v12, s2, v3
	v_mad_u64_u32 v[10:11], null, s2, v2, 0
	v_mul_lo_u32 v13, s3, v2
	v_add3_u32 v7, v7, v15, v14
	v_mov_b32_e32 v17, s0
	v_add3_u32 v11, v11, v12, v13
	v_lshlrev_b64 v[12:13], 2, v[10:11]
	v_lshlrev_b64 v[10:11], 2, v[4:5]
	v_add_co_u32 v12, vcc_lo, s14, v12
	v_add_co_ci_u32_e64 v13, null, s15, v13, vcc_lo
	v_add_co_u32 v12, vcc_lo, v12, v10
	v_add_co_ci_u32_e64 v13, null, v13, v11, vcc_lo
	global_load_dwordx2 v[12:13], v[12:13], off
	s_waitcnt vmcnt(0)
	v_cmpx_lt_i32_e64 v12, v13
	s_cbranch_execz .LBB110_28
; %bb.10:
	v_mul_lo_u32 v18, v3, s30
	v_mul_lo_u32 v19, v2, s31
	v_mad_u64_u32 v[14:15], null, v2, s30, 0
	v_ashrrev_i32_e32 v17, 31, v12
	v_mov_b32_e32 v16, v12
	s_cmp_lg_u32 s4, 0
	s_mov_b32 s7, 0
	s_cselect_b32 s6, -1, 0
	v_add3_u32 v15, v15, v19, v18
	v_lshlrev_b64 v[16:17], 1, v[16:17]
	v_lshlrev_b64 v[19:20], 1, v[6:7]
	v_mov_b32_e32 v18, s0
	s_and_b32 s0, s4, -3
	v_lshlrev_b64 v[14:15], 1, v[14:15]
	s_cmp_lg_u32 s0, 1
	v_add_co_u32 v16, vcc_lo, v14, v16
	v_add_co_ci_u32_e64 v17, null, v15, v17, vcc_lo
	v_lshlrev_b64 v[14:15], 1, v[0:1]
	v_mul_lo_u32 v21, s29, v16
	v_mul_lo_u32 v17, s28, v17
	v_mad_u64_u32 v[14:15], null, s28, v16, v[14:15]
	v_mov_b32_e32 v16, 0x7fc0
	v_add3_u32 v15, v21, v15, v17
	v_sub_co_u32 v14, vcc_lo, v14, v19
	v_mov_b32_e32 v19, v18
	v_sub_co_ci_u32_e64 v15, null, v15, v20, vcc_lo
	v_add_co_u32 v14, vcc_lo, s10, v14
	s_cselect_b32 s10, -1, 0
	v_add_co_ci_u32_e64 v15, null, s11, v15, vcc_lo
	s_lshl_b64 s[2:3], s[28:29], 1
	s_branch .LBB110_12
.LBB110_11:                             ;   in Loop: Header=BB110_12 Depth=1
	v_add_nc_u32_e32 v12, 1, v12
	v_add_co_u32 v14, s0, v14, s2
	v_add_co_ci_u32_e64 v15, null, s3, v15, s0
	v_cmp_ge_i32_e32 vcc_lo, v12, v13
	v_mov_b32_e32 v18, v17
	v_mov_b32_e32 v19, v21
	s_or_b32 s7, vcc_lo, s7
	s_andn2_b32 exec_lo, exec_lo, s7
	s_cbranch_execz .LBB110_27
.LBB110_12:                             ; =>This Inner Loop Header: Depth=1
	global_load_ushort v17, v[14:15], off
	s_and_b32 vcc_lo, exec_lo, s6
	s_waitcnt vmcnt(0)
	v_and_b32_e32 v20, 0xffff, v17
	s_cbranch_vccz .LBB110_25
; %bb.13:                               ;   in Loop: Header=BB110_12 Depth=1
	s_and_b32 vcc_lo, exec_lo, s10
	s_mov_b32 s0, -1
                                        ; implicit-def: $vgpr21
                                        ; implicit-def: $vgpr17
	s_cbranch_vccz .LBB110_22
; %bb.14:                               ;   in Loop: Header=BB110_12 Depth=1
	s_cmp_lt_i32 s4, 4
                                        ; implicit-def: $vgpr21
                                        ; implicit-def: $vgpr17
	s_cbranch_scc1 .LBB110_18
; %bb.15:                               ;   in Loop: Header=BB110_12 Depth=1
	v_mov_b32_e32 v21, v19
	v_mov_b32_e32 v17, v18
	s_cmp_eq_u32 s4, 4
	s_cbranch_scc0 .LBB110_17
; %bb.16:                               ;   in Loop: Header=BB110_12 Depth=1
	v_lshlrev_b32_e32 v17, 16, v19
	v_lshlrev_b32_e32 v21, 16, v20
	v_mul_f32_e32 v17, v21, v17
	v_bfe_u32 v21, v17, 16, 1
	v_cmp_o_f32_e32 vcc_lo, v17, v17
	v_add3_u32 v17, v17, v21, 0x7fff
	v_cndmask_b32_sdwa v21, v16, v17, vcc_lo dst_sel:DWORD dst_unused:UNUSED_PAD src0_sel:DWORD src1_sel:WORD_1
	v_mov_b32_e32 v17, v21
.LBB110_17:                             ;   in Loop: Header=BB110_12 Depth=1
	s_mov_b32 s0, 0
.LBB110_18:                             ;   in Loop: Header=BB110_12 Depth=1
	s_andn2_b32 vcc_lo, exec_lo, s0
	s_cbranch_vccnz .LBB110_21
; %bb.19:                               ;   in Loop: Header=BB110_12 Depth=1
	v_mov_b32_e32 v21, v19
	v_mov_b32_e32 v17, v18
	s_cmp_lg_u32 s4, 2
	s_cbranch_scc1 .LBB110_21
; %bb.20:                               ;   in Loop: Header=BB110_12 Depth=1
	v_lshlrev_b32_e32 v17, 16, v20
	v_lshlrev_b32_e32 v21, 16, v19
	v_cmp_u_f32_e32 vcc_lo, v17, v17
	v_cmp_lt_f32_e64 s0, v17, v21
	s_or_b32 vcc_lo, vcc_lo, s0
	v_cndmask_b32_e32 v21, v18, v20, vcc_lo
	v_mov_b32_e32 v17, v21
.LBB110_21:                             ;   in Loop: Header=BB110_12 Depth=1
	s_mov_b32 s0, 0
.LBB110_22:                             ;   in Loop: Header=BB110_12 Depth=1
	s_and_b32 vcc_lo, exec_lo, s0
	s_cbranch_vccz .LBB110_24
; %bb.23:                               ;   in Loop: Header=BB110_12 Depth=1
	v_lshlrev_b32_e32 v17, 16, v19
	v_lshlrev_b32_e32 v21, 16, v20
	v_add_f32_e32 v17, v21, v17
	v_bfe_u32 v21, v17, 16, 1
	v_cmp_o_f32_e32 vcc_lo, v17, v17
	v_add3_u32 v17, v17, v21, 0x7fff
	v_cndmask_b32_sdwa v21, v16, v17, vcc_lo dst_sel:DWORD dst_unused:UNUSED_PAD src0_sel:DWORD src1_sel:WORD_1
	v_mov_b32_e32 v17, v21
.LBB110_24:                             ;   in Loop: Header=BB110_12 Depth=1
	s_cbranch_execnz .LBB110_11
	s_branch .LBB110_26
.LBB110_25:                             ;   in Loop: Header=BB110_12 Depth=1
                                        ; implicit-def: $vgpr21
                                        ; implicit-def: $vgpr17
.LBB110_26:                             ;   in Loop: Header=BB110_12 Depth=1
	v_lshlrev_b32_e32 v17, 16, v20
	v_lshlrev_b32_e32 v19, 16, v19
	v_cmp_u_f32_e32 vcc_lo, v17, v17
	v_cmp_lt_f32_e64 s0, v19, v17
	s_or_b32 vcc_lo, vcc_lo, s0
	v_cndmask_b32_e32 v17, v18, v20, vcc_lo
	v_mov_b32_e32 v21, v17
	s_branch .LBB110_11
.LBB110_27:
	s_or_b32 exec_lo, exec_lo, s7
.LBB110_28:
	s_or_b32 exec_lo, exec_lo, s5
	v_mul_lo_u32 v12, v9, s38
	v_mul_lo_u32 v13, v8, s39
	v_mad_u64_u32 v[8:9], null, v8, s38, 0
	s_mov_b32 s0, exec_lo
	v_add3_u32 v9, v9, v13, v12
	v_lshlrev_b64 v[8:9], 2, v[8:9]
	v_add_co_u32 v8, vcc_lo, s12, v8
	v_add_co_ci_u32_e64 v9, null, s13, v9, vcc_lo
	v_add_co_u32 v8, vcc_lo, v8, v10
	v_add_co_ci_u32_e64 v9, null, v9, v11, vcc_lo
	global_load_dword v9, v[8:9], off
	s_waitcnt vmcnt(0)
	v_cmpx_lt_i32_e32 -1, v9
	s_xor_b32 s0, exec_lo, s0
	s_cbranch_execz .LBB110_36
; %bb.29:
	v_cmp_ne_u32_e32 vcc_lo, 0, v9
	s_bitcmp1_b32 s1, 0
	v_mov_b32_e32 v8, 0x7fc0
	s_cselect_b32 s1, -1, 0
	s_or_b32 s1, s1, vcc_lo
	s_cmp_lg_u32 s4, 1
	s_cselect_b32 s2, -1, 0
	s_or_b32 s3, s2, s1
	s_and_saveexec_b32 s1, s3
	s_cbranch_execz .LBB110_35
; %bb.30:
	v_cmp_ne_u32_e32 vcc_lo, 0, v9
	s_xor_b32 s2, s2, -1
	s_and_b32 s3, s2, vcc_lo
	s_and_saveexec_b32 s2, s3
	s_cbranch_execz .LBB110_34
; %bb.31:
	v_lshlrev_b32_e32 v8, 16, v17
	s_mov_b32 s3, exec_lo
	v_cmpx_o_f32_e32 v8, v8
	s_cbranch_execz .LBB110_33
; %bb.32:
	v_cvt_f32_u32_e32 v9, v9
	v_bfe_u32 v10, v9, 16, 1
	v_add3_u32 v9, v9, v10, 0x7fff
	v_and_b32_e32 v9, 0xffff0000, v9
	v_div_scale_f32 v10, null, v9, v9, v8
	v_div_scale_f32 v13, vcc_lo, v8, v9, v8
	v_rcp_f32_e32 v11, v10
	v_fma_f32 v12, -v10, v11, 1.0
	v_fmac_f32_e32 v11, v12, v11
	v_mul_f32_e32 v12, v13, v11
	v_fma_f32 v14, -v10, v12, v13
	v_fmac_f32_e32 v12, v14, v11
	v_fma_f32 v10, -v10, v12, v13
	v_div_fmas_f32 v10, v10, v11, v12
	v_div_fixup_f32 v8, v10, v9, v8
	v_bfe_u32 v9, v8, 16, 1
	v_cmp_o_f32_e32 vcc_lo, v8, v8
	v_add3_u32 v8, v8, v9, 0x7fff
	v_mov_b32_e32 v9, 0x7fc0
	v_cndmask_b32_sdwa v17, v9, v8, vcc_lo dst_sel:DWORD dst_unused:UNUSED_PAD src0_sel:DWORD src1_sel:WORD_1
.LBB110_33:
	s_or_b32 exec_lo, exec_lo, s3
.LBB110_34:
	s_or_b32 exec_lo, exec_lo, s2
	v_mov_b32_e32 v8, v17
.LBB110_35:
	s_or_b32 exec_lo, exec_lo, s1
	s_mul_i32 s1, s18, s17
	s_mul_hi_u32 s2, s18, s16
	s_mul_i32 s3, s19, s16
	s_add_i32 s1, s2, s1
	s_mul_i32 s2, s18, s16
	s_add_i32 s1, s1, s3
	v_mul_lo_u32 v10, s2, v3
	v_mul_lo_u32 v9, s1, v2
	v_mad_u64_u32 v[2:3], null, s2, v2, 0
	v_mul_lo_u32 v11, v5, s16
	v_mul_lo_u32 v12, v4, s17
	v_mad_u64_u32 v[4:5], null, v4, s16, 0
	v_sub_co_u32 v0, vcc_lo, v0, v6
	v_add3_u32 v3, v3, v10, v9
	v_sub_co_ci_u32_e64 v1, null, v1, v7, vcc_lo
	v_add3_u32 v5, v5, v12, v11
	v_lshlrev_b64 v[2:3], 1, v[2:3]
	v_lshlrev_b64 v[0:1], 1, v[0:1]
	;; [unrolled: 1-line block ×3, first 2 shown]
	v_add_co_u32 v2, vcc_lo, s8, v2
	v_add_co_ci_u32_e64 v3, null, s9, v3, vcc_lo
	v_add_co_u32 v2, vcc_lo, v2, v4
	v_add_co_ci_u32_e64 v3, null, v3, v5, vcc_lo
	;; [unrolled: 2-line block ×3, first 2 shown]
	global_store_short v[0:1], v8, off
.LBB110_36:
	s_andn2_saveexec_b32 s0, s0
	s_cbranch_execnz .LBB110_38
.LBB110_37:
	s_endpgm
.LBB110_38:
	s_trap 2
	; divergent unreachable
	s_endpgm
	.section	.rodata,"a",@progbits
	.p2align	6, 0x0
	.amdhsa_kernel _ZN2at6native12_GLOBAL__N_129segment_reduce_forward_kernelIN3c108BFloat16EiEEvNS0_13ReductionTypeEPT_PKS6_PKT0_SC_llbS6_lllllll
		.amdhsa_group_segment_fixed_size 0
		.amdhsa_private_segment_fixed_size 0
		.amdhsa_kernarg_size 376
		.amdhsa_user_sgpr_count 6
		.amdhsa_user_sgpr_private_segment_buffer 1
		.amdhsa_user_sgpr_dispatch_ptr 0
		.amdhsa_user_sgpr_queue_ptr 0
		.amdhsa_user_sgpr_kernarg_segment_ptr 1
		.amdhsa_user_sgpr_dispatch_id 0
		.amdhsa_user_sgpr_flat_scratch_init 0
		.amdhsa_user_sgpr_private_segment_size 0
		.amdhsa_wavefront_size32 1
		.amdhsa_uses_dynamic_stack 0
		.amdhsa_system_sgpr_private_segment_wavefront_offset 0
		.amdhsa_system_sgpr_workgroup_id_x 1
		.amdhsa_system_sgpr_workgroup_id_y 0
		.amdhsa_system_sgpr_workgroup_id_z 0
		.amdhsa_system_sgpr_workgroup_info 0
		.amdhsa_system_vgpr_workitem_id 0
		.amdhsa_next_free_vgpr 22
		.amdhsa_next_free_sgpr 42
		.amdhsa_reserve_vcc 1
		.amdhsa_reserve_flat_scratch 0
		.amdhsa_float_round_mode_32 0
		.amdhsa_float_round_mode_16_64 0
		.amdhsa_float_denorm_mode_32 3
		.amdhsa_float_denorm_mode_16_64 3
		.amdhsa_dx10_clamp 1
		.amdhsa_ieee_mode 1
		.amdhsa_fp16_overflow 0
		.amdhsa_workgroup_processor_mode 1
		.amdhsa_memory_ordered 1
		.amdhsa_forward_progress 1
		.amdhsa_shared_vgpr_count 0
		.amdhsa_exception_fp_ieee_invalid_op 0
		.amdhsa_exception_fp_denorm_src 0
		.amdhsa_exception_fp_ieee_div_zero 0
		.amdhsa_exception_fp_ieee_overflow 0
		.amdhsa_exception_fp_ieee_underflow 0
		.amdhsa_exception_fp_ieee_inexact 0
		.amdhsa_exception_int_div_zero 0
	.end_amdhsa_kernel
	.section	.text._ZN2at6native12_GLOBAL__N_129segment_reduce_forward_kernelIN3c108BFloat16EiEEvNS0_13ReductionTypeEPT_PKS6_PKT0_SC_llbS6_lllllll,"axG",@progbits,_ZN2at6native12_GLOBAL__N_129segment_reduce_forward_kernelIN3c108BFloat16EiEEvNS0_13ReductionTypeEPT_PKS6_PKT0_SC_llbS6_lllllll,comdat
.Lfunc_end110:
	.size	_ZN2at6native12_GLOBAL__N_129segment_reduce_forward_kernelIN3c108BFloat16EiEEvNS0_13ReductionTypeEPT_PKS6_PKT0_SC_llbS6_lllllll, .Lfunc_end110-_ZN2at6native12_GLOBAL__N_129segment_reduce_forward_kernelIN3c108BFloat16EiEEvNS0_13ReductionTypeEPT_PKS6_PKT0_SC_llbS6_lllllll
                                        ; -- End function
	.set _ZN2at6native12_GLOBAL__N_129segment_reduce_forward_kernelIN3c108BFloat16EiEEvNS0_13ReductionTypeEPT_PKS6_PKT0_SC_llbS6_lllllll.num_vgpr, 22
	.set _ZN2at6native12_GLOBAL__N_129segment_reduce_forward_kernelIN3c108BFloat16EiEEvNS0_13ReductionTypeEPT_PKS6_PKT0_SC_llbS6_lllllll.num_agpr, 0
	.set _ZN2at6native12_GLOBAL__N_129segment_reduce_forward_kernelIN3c108BFloat16EiEEvNS0_13ReductionTypeEPT_PKS6_PKT0_SC_llbS6_lllllll.numbered_sgpr, 42
	.set _ZN2at6native12_GLOBAL__N_129segment_reduce_forward_kernelIN3c108BFloat16EiEEvNS0_13ReductionTypeEPT_PKS6_PKT0_SC_llbS6_lllllll.num_named_barrier, 0
	.set _ZN2at6native12_GLOBAL__N_129segment_reduce_forward_kernelIN3c108BFloat16EiEEvNS0_13ReductionTypeEPT_PKS6_PKT0_SC_llbS6_lllllll.private_seg_size, 0
	.set _ZN2at6native12_GLOBAL__N_129segment_reduce_forward_kernelIN3c108BFloat16EiEEvNS0_13ReductionTypeEPT_PKS6_PKT0_SC_llbS6_lllllll.uses_vcc, 1
	.set _ZN2at6native12_GLOBAL__N_129segment_reduce_forward_kernelIN3c108BFloat16EiEEvNS0_13ReductionTypeEPT_PKS6_PKT0_SC_llbS6_lllllll.uses_flat_scratch, 0
	.set _ZN2at6native12_GLOBAL__N_129segment_reduce_forward_kernelIN3c108BFloat16EiEEvNS0_13ReductionTypeEPT_PKS6_PKT0_SC_llbS6_lllllll.has_dyn_sized_stack, 0
	.set _ZN2at6native12_GLOBAL__N_129segment_reduce_forward_kernelIN3c108BFloat16EiEEvNS0_13ReductionTypeEPT_PKS6_PKT0_SC_llbS6_lllllll.has_recursion, 0
	.set _ZN2at6native12_GLOBAL__N_129segment_reduce_forward_kernelIN3c108BFloat16EiEEvNS0_13ReductionTypeEPT_PKS6_PKT0_SC_llbS6_lllllll.has_indirect_call, 0
	.section	.AMDGPU.csdata,"",@progbits
; Kernel info:
; codeLenInByte = 2988
; TotalNumSgprs: 44
; NumVgprs: 22
; ScratchSize: 0
; MemoryBound: 0
; FloatMode: 240
; IeeeMode: 1
; LDSByteSize: 0 bytes/workgroup (compile time only)
; SGPRBlocks: 0
; VGPRBlocks: 2
; NumSGPRsForWavesPerEU: 44
; NumVGPRsForWavesPerEU: 22
; Occupancy: 16
; WaveLimiterHint : 0
; COMPUTE_PGM_RSRC2:SCRATCH_EN: 0
; COMPUTE_PGM_RSRC2:USER_SGPR: 6
; COMPUTE_PGM_RSRC2:TRAP_HANDLER: 0
; COMPUTE_PGM_RSRC2:TGID_X_EN: 1
; COMPUTE_PGM_RSRC2:TGID_Y_EN: 0
; COMPUTE_PGM_RSRC2:TGID_Z_EN: 0
; COMPUTE_PGM_RSRC2:TIDIG_COMP_CNT: 0
	.section	.text._ZN7rocprim17ROCPRIM_400000_NS6detail17trampoline_kernelINS0_14default_configENS1_32segmented_reduce_config_selectorIN3c108BFloat16EEEZNS1_21segmented_reduce_implIS3_PKS6_PS6_PKiS6_N6hipcub16HIPCUB_304000_NS6detail27convert_result_type_wrapperISA_SB_N2at6native12_GLOBAL__N_19CustomMaxEEEEE10hipError_tPvRmT0_T1_jT2_SS_T4_T3_P12ihipStream_tbEUlT_E_NS1_11comp_targetILNS1_3genE0ELNS1_11target_archE4294967295ELNS1_3gpuE0ELNS1_3repE0EEENS1_30default_config_static_selectorELNS0_4arch9wavefront6targetE0EEEvSR_,"axG",@progbits,_ZN7rocprim17ROCPRIM_400000_NS6detail17trampoline_kernelINS0_14default_configENS1_32segmented_reduce_config_selectorIN3c108BFloat16EEEZNS1_21segmented_reduce_implIS3_PKS6_PS6_PKiS6_N6hipcub16HIPCUB_304000_NS6detail27convert_result_type_wrapperISA_SB_N2at6native12_GLOBAL__N_19CustomMaxEEEEE10hipError_tPvRmT0_T1_jT2_SS_T4_T3_P12ihipStream_tbEUlT_E_NS1_11comp_targetILNS1_3genE0ELNS1_11target_archE4294967295ELNS1_3gpuE0ELNS1_3repE0EEENS1_30default_config_static_selectorELNS0_4arch9wavefront6targetE0EEEvSR_,comdat
	.globl	_ZN7rocprim17ROCPRIM_400000_NS6detail17trampoline_kernelINS0_14default_configENS1_32segmented_reduce_config_selectorIN3c108BFloat16EEEZNS1_21segmented_reduce_implIS3_PKS6_PS6_PKiS6_N6hipcub16HIPCUB_304000_NS6detail27convert_result_type_wrapperISA_SB_N2at6native12_GLOBAL__N_19CustomMaxEEEEE10hipError_tPvRmT0_T1_jT2_SS_T4_T3_P12ihipStream_tbEUlT_E_NS1_11comp_targetILNS1_3genE0ELNS1_11target_archE4294967295ELNS1_3gpuE0ELNS1_3repE0EEENS1_30default_config_static_selectorELNS0_4arch9wavefront6targetE0EEEvSR_ ; -- Begin function _ZN7rocprim17ROCPRIM_400000_NS6detail17trampoline_kernelINS0_14default_configENS1_32segmented_reduce_config_selectorIN3c108BFloat16EEEZNS1_21segmented_reduce_implIS3_PKS6_PS6_PKiS6_N6hipcub16HIPCUB_304000_NS6detail27convert_result_type_wrapperISA_SB_N2at6native12_GLOBAL__N_19CustomMaxEEEEE10hipError_tPvRmT0_T1_jT2_SS_T4_T3_P12ihipStream_tbEUlT_E_NS1_11comp_targetILNS1_3genE0ELNS1_11target_archE4294967295ELNS1_3gpuE0ELNS1_3repE0EEENS1_30default_config_static_selectorELNS0_4arch9wavefront6targetE0EEEvSR_
	.p2align	8
	.type	_ZN7rocprim17ROCPRIM_400000_NS6detail17trampoline_kernelINS0_14default_configENS1_32segmented_reduce_config_selectorIN3c108BFloat16EEEZNS1_21segmented_reduce_implIS3_PKS6_PS6_PKiS6_N6hipcub16HIPCUB_304000_NS6detail27convert_result_type_wrapperISA_SB_N2at6native12_GLOBAL__N_19CustomMaxEEEEE10hipError_tPvRmT0_T1_jT2_SS_T4_T3_P12ihipStream_tbEUlT_E_NS1_11comp_targetILNS1_3genE0ELNS1_11target_archE4294967295ELNS1_3gpuE0ELNS1_3repE0EEENS1_30default_config_static_selectorELNS0_4arch9wavefront6targetE0EEEvSR_,@function
_ZN7rocprim17ROCPRIM_400000_NS6detail17trampoline_kernelINS0_14default_configENS1_32segmented_reduce_config_selectorIN3c108BFloat16EEEZNS1_21segmented_reduce_implIS3_PKS6_PS6_PKiS6_N6hipcub16HIPCUB_304000_NS6detail27convert_result_type_wrapperISA_SB_N2at6native12_GLOBAL__N_19CustomMaxEEEEE10hipError_tPvRmT0_T1_jT2_SS_T4_T3_P12ihipStream_tbEUlT_E_NS1_11comp_targetILNS1_3genE0ELNS1_11target_archE4294967295ELNS1_3gpuE0ELNS1_3repE0EEENS1_30default_config_static_selectorELNS0_4arch9wavefront6targetE0EEEvSR_: ; @_ZN7rocprim17ROCPRIM_400000_NS6detail17trampoline_kernelINS0_14default_configENS1_32segmented_reduce_config_selectorIN3c108BFloat16EEEZNS1_21segmented_reduce_implIS3_PKS6_PS6_PKiS6_N6hipcub16HIPCUB_304000_NS6detail27convert_result_type_wrapperISA_SB_N2at6native12_GLOBAL__N_19CustomMaxEEEEE10hipError_tPvRmT0_T1_jT2_SS_T4_T3_P12ihipStream_tbEUlT_E_NS1_11comp_targetILNS1_3genE0ELNS1_11target_archE4294967295ELNS1_3gpuE0ELNS1_3repE0EEENS1_30default_config_static_selectorELNS0_4arch9wavefront6targetE0EEEvSR_
; %bb.0:
	.section	.rodata,"a",@progbits
	.p2align	6, 0x0
	.amdhsa_kernel _ZN7rocprim17ROCPRIM_400000_NS6detail17trampoline_kernelINS0_14default_configENS1_32segmented_reduce_config_selectorIN3c108BFloat16EEEZNS1_21segmented_reduce_implIS3_PKS6_PS6_PKiS6_N6hipcub16HIPCUB_304000_NS6detail27convert_result_type_wrapperISA_SB_N2at6native12_GLOBAL__N_19CustomMaxEEEEE10hipError_tPvRmT0_T1_jT2_SS_T4_T3_P12ihipStream_tbEUlT_E_NS1_11comp_targetILNS1_3genE0ELNS1_11target_archE4294967295ELNS1_3gpuE0ELNS1_3repE0EEENS1_30default_config_static_selectorELNS0_4arch9wavefront6targetE0EEEvSR_
		.amdhsa_group_segment_fixed_size 0
		.amdhsa_private_segment_fixed_size 0
		.amdhsa_kernarg_size 48
		.amdhsa_user_sgpr_count 6
		.amdhsa_user_sgpr_private_segment_buffer 1
		.amdhsa_user_sgpr_dispatch_ptr 0
		.amdhsa_user_sgpr_queue_ptr 0
		.amdhsa_user_sgpr_kernarg_segment_ptr 1
		.amdhsa_user_sgpr_dispatch_id 0
		.amdhsa_user_sgpr_flat_scratch_init 0
		.amdhsa_user_sgpr_private_segment_size 0
		.amdhsa_wavefront_size32 1
		.amdhsa_uses_dynamic_stack 0
		.amdhsa_system_sgpr_private_segment_wavefront_offset 0
		.amdhsa_system_sgpr_workgroup_id_x 1
		.amdhsa_system_sgpr_workgroup_id_y 0
		.amdhsa_system_sgpr_workgroup_id_z 0
		.amdhsa_system_sgpr_workgroup_info 0
		.amdhsa_system_vgpr_workitem_id 0
		.amdhsa_next_free_vgpr 1
		.amdhsa_next_free_sgpr 1
		.amdhsa_reserve_vcc 0
		.amdhsa_reserve_flat_scratch 0
		.amdhsa_float_round_mode_32 0
		.amdhsa_float_round_mode_16_64 0
		.amdhsa_float_denorm_mode_32 3
		.amdhsa_float_denorm_mode_16_64 3
		.amdhsa_dx10_clamp 1
		.amdhsa_ieee_mode 1
		.amdhsa_fp16_overflow 0
		.amdhsa_workgroup_processor_mode 1
		.amdhsa_memory_ordered 1
		.amdhsa_forward_progress 1
		.amdhsa_shared_vgpr_count 0
		.amdhsa_exception_fp_ieee_invalid_op 0
		.amdhsa_exception_fp_denorm_src 0
		.amdhsa_exception_fp_ieee_div_zero 0
		.amdhsa_exception_fp_ieee_overflow 0
		.amdhsa_exception_fp_ieee_underflow 0
		.amdhsa_exception_fp_ieee_inexact 0
		.amdhsa_exception_int_div_zero 0
	.end_amdhsa_kernel
	.section	.text._ZN7rocprim17ROCPRIM_400000_NS6detail17trampoline_kernelINS0_14default_configENS1_32segmented_reduce_config_selectorIN3c108BFloat16EEEZNS1_21segmented_reduce_implIS3_PKS6_PS6_PKiS6_N6hipcub16HIPCUB_304000_NS6detail27convert_result_type_wrapperISA_SB_N2at6native12_GLOBAL__N_19CustomMaxEEEEE10hipError_tPvRmT0_T1_jT2_SS_T4_T3_P12ihipStream_tbEUlT_E_NS1_11comp_targetILNS1_3genE0ELNS1_11target_archE4294967295ELNS1_3gpuE0ELNS1_3repE0EEENS1_30default_config_static_selectorELNS0_4arch9wavefront6targetE0EEEvSR_,"axG",@progbits,_ZN7rocprim17ROCPRIM_400000_NS6detail17trampoline_kernelINS0_14default_configENS1_32segmented_reduce_config_selectorIN3c108BFloat16EEEZNS1_21segmented_reduce_implIS3_PKS6_PS6_PKiS6_N6hipcub16HIPCUB_304000_NS6detail27convert_result_type_wrapperISA_SB_N2at6native12_GLOBAL__N_19CustomMaxEEEEE10hipError_tPvRmT0_T1_jT2_SS_T4_T3_P12ihipStream_tbEUlT_E_NS1_11comp_targetILNS1_3genE0ELNS1_11target_archE4294967295ELNS1_3gpuE0ELNS1_3repE0EEENS1_30default_config_static_selectorELNS0_4arch9wavefront6targetE0EEEvSR_,comdat
.Lfunc_end111:
	.size	_ZN7rocprim17ROCPRIM_400000_NS6detail17trampoline_kernelINS0_14default_configENS1_32segmented_reduce_config_selectorIN3c108BFloat16EEEZNS1_21segmented_reduce_implIS3_PKS6_PS6_PKiS6_N6hipcub16HIPCUB_304000_NS6detail27convert_result_type_wrapperISA_SB_N2at6native12_GLOBAL__N_19CustomMaxEEEEE10hipError_tPvRmT0_T1_jT2_SS_T4_T3_P12ihipStream_tbEUlT_E_NS1_11comp_targetILNS1_3genE0ELNS1_11target_archE4294967295ELNS1_3gpuE0ELNS1_3repE0EEENS1_30default_config_static_selectorELNS0_4arch9wavefront6targetE0EEEvSR_, .Lfunc_end111-_ZN7rocprim17ROCPRIM_400000_NS6detail17trampoline_kernelINS0_14default_configENS1_32segmented_reduce_config_selectorIN3c108BFloat16EEEZNS1_21segmented_reduce_implIS3_PKS6_PS6_PKiS6_N6hipcub16HIPCUB_304000_NS6detail27convert_result_type_wrapperISA_SB_N2at6native12_GLOBAL__N_19CustomMaxEEEEE10hipError_tPvRmT0_T1_jT2_SS_T4_T3_P12ihipStream_tbEUlT_E_NS1_11comp_targetILNS1_3genE0ELNS1_11target_archE4294967295ELNS1_3gpuE0ELNS1_3repE0EEENS1_30default_config_static_selectorELNS0_4arch9wavefront6targetE0EEEvSR_
                                        ; -- End function
	.set _ZN7rocprim17ROCPRIM_400000_NS6detail17trampoline_kernelINS0_14default_configENS1_32segmented_reduce_config_selectorIN3c108BFloat16EEEZNS1_21segmented_reduce_implIS3_PKS6_PS6_PKiS6_N6hipcub16HIPCUB_304000_NS6detail27convert_result_type_wrapperISA_SB_N2at6native12_GLOBAL__N_19CustomMaxEEEEE10hipError_tPvRmT0_T1_jT2_SS_T4_T3_P12ihipStream_tbEUlT_E_NS1_11comp_targetILNS1_3genE0ELNS1_11target_archE4294967295ELNS1_3gpuE0ELNS1_3repE0EEENS1_30default_config_static_selectorELNS0_4arch9wavefront6targetE0EEEvSR_.num_vgpr, 0
	.set _ZN7rocprim17ROCPRIM_400000_NS6detail17trampoline_kernelINS0_14default_configENS1_32segmented_reduce_config_selectorIN3c108BFloat16EEEZNS1_21segmented_reduce_implIS3_PKS6_PS6_PKiS6_N6hipcub16HIPCUB_304000_NS6detail27convert_result_type_wrapperISA_SB_N2at6native12_GLOBAL__N_19CustomMaxEEEEE10hipError_tPvRmT0_T1_jT2_SS_T4_T3_P12ihipStream_tbEUlT_E_NS1_11comp_targetILNS1_3genE0ELNS1_11target_archE4294967295ELNS1_3gpuE0ELNS1_3repE0EEENS1_30default_config_static_selectorELNS0_4arch9wavefront6targetE0EEEvSR_.num_agpr, 0
	.set _ZN7rocprim17ROCPRIM_400000_NS6detail17trampoline_kernelINS0_14default_configENS1_32segmented_reduce_config_selectorIN3c108BFloat16EEEZNS1_21segmented_reduce_implIS3_PKS6_PS6_PKiS6_N6hipcub16HIPCUB_304000_NS6detail27convert_result_type_wrapperISA_SB_N2at6native12_GLOBAL__N_19CustomMaxEEEEE10hipError_tPvRmT0_T1_jT2_SS_T4_T3_P12ihipStream_tbEUlT_E_NS1_11comp_targetILNS1_3genE0ELNS1_11target_archE4294967295ELNS1_3gpuE0ELNS1_3repE0EEENS1_30default_config_static_selectorELNS0_4arch9wavefront6targetE0EEEvSR_.numbered_sgpr, 0
	.set _ZN7rocprim17ROCPRIM_400000_NS6detail17trampoline_kernelINS0_14default_configENS1_32segmented_reduce_config_selectorIN3c108BFloat16EEEZNS1_21segmented_reduce_implIS3_PKS6_PS6_PKiS6_N6hipcub16HIPCUB_304000_NS6detail27convert_result_type_wrapperISA_SB_N2at6native12_GLOBAL__N_19CustomMaxEEEEE10hipError_tPvRmT0_T1_jT2_SS_T4_T3_P12ihipStream_tbEUlT_E_NS1_11comp_targetILNS1_3genE0ELNS1_11target_archE4294967295ELNS1_3gpuE0ELNS1_3repE0EEENS1_30default_config_static_selectorELNS0_4arch9wavefront6targetE0EEEvSR_.num_named_barrier, 0
	.set _ZN7rocprim17ROCPRIM_400000_NS6detail17trampoline_kernelINS0_14default_configENS1_32segmented_reduce_config_selectorIN3c108BFloat16EEEZNS1_21segmented_reduce_implIS3_PKS6_PS6_PKiS6_N6hipcub16HIPCUB_304000_NS6detail27convert_result_type_wrapperISA_SB_N2at6native12_GLOBAL__N_19CustomMaxEEEEE10hipError_tPvRmT0_T1_jT2_SS_T4_T3_P12ihipStream_tbEUlT_E_NS1_11comp_targetILNS1_3genE0ELNS1_11target_archE4294967295ELNS1_3gpuE0ELNS1_3repE0EEENS1_30default_config_static_selectorELNS0_4arch9wavefront6targetE0EEEvSR_.private_seg_size, 0
	.set _ZN7rocprim17ROCPRIM_400000_NS6detail17trampoline_kernelINS0_14default_configENS1_32segmented_reduce_config_selectorIN3c108BFloat16EEEZNS1_21segmented_reduce_implIS3_PKS6_PS6_PKiS6_N6hipcub16HIPCUB_304000_NS6detail27convert_result_type_wrapperISA_SB_N2at6native12_GLOBAL__N_19CustomMaxEEEEE10hipError_tPvRmT0_T1_jT2_SS_T4_T3_P12ihipStream_tbEUlT_E_NS1_11comp_targetILNS1_3genE0ELNS1_11target_archE4294967295ELNS1_3gpuE0ELNS1_3repE0EEENS1_30default_config_static_selectorELNS0_4arch9wavefront6targetE0EEEvSR_.uses_vcc, 0
	.set _ZN7rocprim17ROCPRIM_400000_NS6detail17trampoline_kernelINS0_14default_configENS1_32segmented_reduce_config_selectorIN3c108BFloat16EEEZNS1_21segmented_reduce_implIS3_PKS6_PS6_PKiS6_N6hipcub16HIPCUB_304000_NS6detail27convert_result_type_wrapperISA_SB_N2at6native12_GLOBAL__N_19CustomMaxEEEEE10hipError_tPvRmT0_T1_jT2_SS_T4_T3_P12ihipStream_tbEUlT_E_NS1_11comp_targetILNS1_3genE0ELNS1_11target_archE4294967295ELNS1_3gpuE0ELNS1_3repE0EEENS1_30default_config_static_selectorELNS0_4arch9wavefront6targetE0EEEvSR_.uses_flat_scratch, 0
	.set _ZN7rocprim17ROCPRIM_400000_NS6detail17trampoline_kernelINS0_14default_configENS1_32segmented_reduce_config_selectorIN3c108BFloat16EEEZNS1_21segmented_reduce_implIS3_PKS6_PS6_PKiS6_N6hipcub16HIPCUB_304000_NS6detail27convert_result_type_wrapperISA_SB_N2at6native12_GLOBAL__N_19CustomMaxEEEEE10hipError_tPvRmT0_T1_jT2_SS_T4_T3_P12ihipStream_tbEUlT_E_NS1_11comp_targetILNS1_3genE0ELNS1_11target_archE4294967295ELNS1_3gpuE0ELNS1_3repE0EEENS1_30default_config_static_selectorELNS0_4arch9wavefront6targetE0EEEvSR_.has_dyn_sized_stack, 0
	.set _ZN7rocprim17ROCPRIM_400000_NS6detail17trampoline_kernelINS0_14default_configENS1_32segmented_reduce_config_selectorIN3c108BFloat16EEEZNS1_21segmented_reduce_implIS3_PKS6_PS6_PKiS6_N6hipcub16HIPCUB_304000_NS6detail27convert_result_type_wrapperISA_SB_N2at6native12_GLOBAL__N_19CustomMaxEEEEE10hipError_tPvRmT0_T1_jT2_SS_T4_T3_P12ihipStream_tbEUlT_E_NS1_11comp_targetILNS1_3genE0ELNS1_11target_archE4294967295ELNS1_3gpuE0ELNS1_3repE0EEENS1_30default_config_static_selectorELNS0_4arch9wavefront6targetE0EEEvSR_.has_recursion, 0
	.set _ZN7rocprim17ROCPRIM_400000_NS6detail17trampoline_kernelINS0_14default_configENS1_32segmented_reduce_config_selectorIN3c108BFloat16EEEZNS1_21segmented_reduce_implIS3_PKS6_PS6_PKiS6_N6hipcub16HIPCUB_304000_NS6detail27convert_result_type_wrapperISA_SB_N2at6native12_GLOBAL__N_19CustomMaxEEEEE10hipError_tPvRmT0_T1_jT2_SS_T4_T3_P12ihipStream_tbEUlT_E_NS1_11comp_targetILNS1_3genE0ELNS1_11target_archE4294967295ELNS1_3gpuE0ELNS1_3repE0EEENS1_30default_config_static_selectorELNS0_4arch9wavefront6targetE0EEEvSR_.has_indirect_call, 0
	.section	.AMDGPU.csdata,"",@progbits
; Kernel info:
; codeLenInByte = 0
; TotalNumSgprs: 0
; NumVgprs: 0
; ScratchSize: 0
; MemoryBound: 0
; FloatMode: 240
; IeeeMode: 1
; LDSByteSize: 0 bytes/workgroup (compile time only)
; SGPRBlocks: 0
; VGPRBlocks: 0
; NumSGPRsForWavesPerEU: 1
; NumVGPRsForWavesPerEU: 1
; Occupancy: 16
; WaveLimiterHint : 0
; COMPUTE_PGM_RSRC2:SCRATCH_EN: 0
; COMPUTE_PGM_RSRC2:USER_SGPR: 6
; COMPUTE_PGM_RSRC2:TRAP_HANDLER: 0
; COMPUTE_PGM_RSRC2:TGID_X_EN: 1
; COMPUTE_PGM_RSRC2:TGID_Y_EN: 0
; COMPUTE_PGM_RSRC2:TGID_Z_EN: 0
; COMPUTE_PGM_RSRC2:TIDIG_COMP_CNT: 0
	.section	.text._ZN7rocprim17ROCPRIM_400000_NS6detail17trampoline_kernelINS0_14default_configENS1_32segmented_reduce_config_selectorIN3c108BFloat16EEEZNS1_21segmented_reduce_implIS3_PKS6_PS6_PKiS6_N6hipcub16HIPCUB_304000_NS6detail27convert_result_type_wrapperISA_SB_N2at6native12_GLOBAL__N_19CustomMaxEEEEE10hipError_tPvRmT0_T1_jT2_SS_T4_T3_P12ihipStream_tbEUlT_E_NS1_11comp_targetILNS1_3genE5ELNS1_11target_archE942ELNS1_3gpuE9ELNS1_3repE0EEENS1_30default_config_static_selectorELNS0_4arch9wavefront6targetE0EEEvSR_,"axG",@progbits,_ZN7rocprim17ROCPRIM_400000_NS6detail17trampoline_kernelINS0_14default_configENS1_32segmented_reduce_config_selectorIN3c108BFloat16EEEZNS1_21segmented_reduce_implIS3_PKS6_PS6_PKiS6_N6hipcub16HIPCUB_304000_NS6detail27convert_result_type_wrapperISA_SB_N2at6native12_GLOBAL__N_19CustomMaxEEEEE10hipError_tPvRmT0_T1_jT2_SS_T4_T3_P12ihipStream_tbEUlT_E_NS1_11comp_targetILNS1_3genE5ELNS1_11target_archE942ELNS1_3gpuE9ELNS1_3repE0EEENS1_30default_config_static_selectorELNS0_4arch9wavefront6targetE0EEEvSR_,comdat
	.globl	_ZN7rocprim17ROCPRIM_400000_NS6detail17trampoline_kernelINS0_14default_configENS1_32segmented_reduce_config_selectorIN3c108BFloat16EEEZNS1_21segmented_reduce_implIS3_PKS6_PS6_PKiS6_N6hipcub16HIPCUB_304000_NS6detail27convert_result_type_wrapperISA_SB_N2at6native12_GLOBAL__N_19CustomMaxEEEEE10hipError_tPvRmT0_T1_jT2_SS_T4_T3_P12ihipStream_tbEUlT_E_NS1_11comp_targetILNS1_3genE5ELNS1_11target_archE942ELNS1_3gpuE9ELNS1_3repE0EEENS1_30default_config_static_selectorELNS0_4arch9wavefront6targetE0EEEvSR_ ; -- Begin function _ZN7rocprim17ROCPRIM_400000_NS6detail17trampoline_kernelINS0_14default_configENS1_32segmented_reduce_config_selectorIN3c108BFloat16EEEZNS1_21segmented_reduce_implIS3_PKS6_PS6_PKiS6_N6hipcub16HIPCUB_304000_NS6detail27convert_result_type_wrapperISA_SB_N2at6native12_GLOBAL__N_19CustomMaxEEEEE10hipError_tPvRmT0_T1_jT2_SS_T4_T3_P12ihipStream_tbEUlT_E_NS1_11comp_targetILNS1_3genE5ELNS1_11target_archE942ELNS1_3gpuE9ELNS1_3repE0EEENS1_30default_config_static_selectorELNS0_4arch9wavefront6targetE0EEEvSR_
	.p2align	8
	.type	_ZN7rocprim17ROCPRIM_400000_NS6detail17trampoline_kernelINS0_14default_configENS1_32segmented_reduce_config_selectorIN3c108BFloat16EEEZNS1_21segmented_reduce_implIS3_PKS6_PS6_PKiS6_N6hipcub16HIPCUB_304000_NS6detail27convert_result_type_wrapperISA_SB_N2at6native12_GLOBAL__N_19CustomMaxEEEEE10hipError_tPvRmT0_T1_jT2_SS_T4_T3_P12ihipStream_tbEUlT_E_NS1_11comp_targetILNS1_3genE5ELNS1_11target_archE942ELNS1_3gpuE9ELNS1_3repE0EEENS1_30default_config_static_selectorELNS0_4arch9wavefront6targetE0EEEvSR_,@function
_ZN7rocprim17ROCPRIM_400000_NS6detail17trampoline_kernelINS0_14default_configENS1_32segmented_reduce_config_selectorIN3c108BFloat16EEEZNS1_21segmented_reduce_implIS3_PKS6_PS6_PKiS6_N6hipcub16HIPCUB_304000_NS6detail27convert_result_type_wrapperISA_SB_N2at6native12_GLOBAL__N_19CustomMaxEEEEE10hipError_tPvRmT0_T1_jT2_SS_T4_T3_P12ihipStream_tbEUlT_E_NS1_11comp_targetILNS1_3genE5ELNS1_11target_archE942ELNS1_3gpuE9ELNS1_3repE0EEENS1_30default_config_static_selectorELNS0_4arch9wavefront6targetE0EEEvSR_: ; @_ZN7rocprim17ROCPRIM_400000_NS6detail17trampoline_kernelINS0_14default_configENS1_32segmented_reduce_config_selectorIN3c108BFloat16EEEZNS1_21segmented_reduce_implIS3_PKS6_PS6_PKiS6_N6hipcub16HIPCUB_304000_NS6detail27convert_result_type_wrapperISA_SB_N2at6native12_GLOBAL__N_19CustomMaxEEEEE10hipError_tPvRmT0_T1_jT2_SS_T4_T3_P12ihipStream_tbEUlT_E_NS1_11comp_targetILNS1_3genE5ELNS1_11target_archE942ELNS1_3gpuE9ELNS1_3repE0EEENS1_30default_config_static_selectorELNS0_4arch9wavefront6targetE0EEEvSR_
; %bb.0:
	.section	.rodata,"a",@progbits
	.p2align	6, 0x0
	.amdhsa_kernel _ZN7rocprim17ROCPRIM_400000_NS6detail17trampoline_kernelINS0_14default_configENS1_32segmented_reduce_config_selectorIN3c108BFloat16EEEZNS1_21segmented_reduce_implIS3_PKS6_PS6_PKiS6_N6hipcub16HIPCUB_304000_NS6detail27convert_result_type_wrapperISA_SB_N2at6native12_GLOBAL__N_19CustomMaxEEEEE10hipError_tPvRmT0_T1_jT2_SS_T4_T3_P12ihipStream_tbEUlT_E_NS1_11comp_targetILNS1_3genE5ELNS1_11target_archE942ELNS1_3gpuE9ELNS1_3repE0EEENS1_30default_config_static_selectorELNS0_4arch9wavefront6targetE0EEEvSR_
		.amdhsa_group_segment_fixed_size 0
		.amdhsa_private_segment_fixed_size 0
		.amdhsa_kernarg_size 48
		.amdhsa_user_sgpr_count 6
		.amdhsa_user_sgpr_private_segment_buffer 1
		.amdhsa_user_sgpr_dispatch_ptr 0
		.amdhsa_user_sgpr_queue_ptr 0
		.amdhsa_user_sgpr_kernarg_segment_ptr 1
		.amdhsa_user_sgpr_dispatch_id 0
		.amdhsa_user_sgpr_flat_scratch_init 0
		.amdhsa_user_sgpr_private_segment_size 0
		.amdhsa_wavefront_size32 1
		.amdhsa_uses_dynamic_stack 0
		.amdhsa_system_sgpr_private_segment_wavefront_offset 0
		.amdhsa_system_sgpr_workgroup_id_x 1
		.amdhsa_system_sgpr_workgroup_id_y 0
		.amdhsa_system_sgpr_workgroup_id_z 0
		.amdhsa_system_sgpr_workgroup_info 0
		.amdhsa_system_vgpr_workitem_id 0
		.amdhsa_next_free_vgpr 1
		.amdhsa_next_free_sgpr 1
		.amdhsa_reserve_vcc 0
		.amdhsa_reserve_flat_scratch 0
		.amdhsa_float_round_mode_32 0
		.amdhsa_float_round_mode_16_64 0
		.amdhsa_float_denorm_mode_32 3
		.amdhsa_float_denorm_mode_16_64 3
		.amdhsa_dx10_clamp 1
		.amdhsa_ieee_mode 1
		.amdhsa_fp16_overflow 0
		.amdhsa_workgroup_processor_mode 1
		.amdhsa_memory_ordered 1
		.amdhsa_forward_progress 1
		.amdhsa_shared_vgpr_count 0
		.amdhsa_exception_fp_ieee_invalid_op 0
		.amdhsa_exception_fp_denorm_src 0
		.amdhsa_exception_fp_ieee_div_zero 0
		.amdhsa_exception_fp_ieee_overflow 0
		.amdhsa_exception_fp_ieee_underflow 0
		.amdhsa_exception_fp_ieee_inexact 0
		.amdhsa_exception_int_div_zero 0
	.end_amdhsa_kernel
	.section	.text._ZN7rocprim17ROCPRIM_400000_NS6detail17trampoline_kernelINS0_14default_configENS1_32segmented_reduce_config_selectorIN3c108BFloat16EEEZNS1_21segmented_reduce_implIS3_PKS6_PS6_PKiS6_N6hipcub16HIPCUB_304000_NS6detail27convert_result_type_wrapperISA_SB_N2at6native12_GLOBAL__N_19CustomMaxEEEEE10hipError_tPvRmT0_T1_jT2_SS_T4_T3_P12ihipStream_tbEUlT_E_NS1_11comp_targetILNS1_3genE5ELNS1_11target_archE942ELNS1_3gpuE9ELNS1_3repE0EEENS1_30default_config_static_selectorELNS0_4arch9wavefront6targetE0EEEvSR_,"axG",@progbits,_ZN7rocprim17ROCPRIM_400000_NS6detail17trampoline_kernelINS0_14default_configENS1_32segmented_reduce_config_selectorIN3c108BFloat16EEEZNS1_21segmented_reduce_implIS3_PKS6_PS6_PKiS6_N6hipcub16HIPCUB_304000_NS6detail27convert_result_type_wrapperISA_SB_N2at6native12_GLOBAL__N_19CustomMaxEEEEE10hipError_tPvRmT0_T1_jT2_SS_T4_T3_P12ihipStream_tbEUlT_E_NS1_11comp_targetILNS1_3genE5ELNS1_11target_archE942ELNS1_3gpuE9ELNS1_3repE0EEENS1_30default_config_static_selectorELNS0_4arch9wavefront6targetE0EEEvSR_,comdat
.Lfunc_end112:
	.size	_ZN7rocprim17ROCPRIM_400000_NS6detail17trampoline_kernelINS0_14default_configENS1_32segmented_reduce_config_selectorIN3c108BFloat16EEEZNS1_21segmented_reduce_implIS3_PKS6_PS6_PKiS6_N6hipcub16HIPCUB_304000_NS6detail27convert_result_type_wrapperISA_SB_N2at6native12_GLOBAL__N_19CustomMaxEEEEE10hipError_tPvRmT0_T1_jT2_SS_T4_T3_P12ihipStream_tbEUlT_E_NS1_11comp_targetILNS1_3genE5ELNS1_11target_archE942ELNS1_3gpuE9ELNS1_3repE0EEENS1_30default_config_static_selectorELNS0_4arch9wavefront6targetE0EEEvSR_, .Lfunc_end112-_ZN7rocprim17ROCPRIM_400000_NS6detail17trampoline_kernelINS0_14default_configENS1_32segmented_reduce_config_selectorIN3c108BFloat16EEEZNS1_21segmented_reduce_implIS3_PKS6_PS6_PKiS6_N6hipcub16HIPCUB_304000_NS6detail27convert_result_type_wrapperISA_SB_N2at6native12_GLOBAL__N_19CustomMaxEEEEE10hipError_tPvRmT0_T1_jT2_SS_T4_T3_P12ihipStream_tbEUlT_E_NS1_11comp_targetILNS1_3genE5ELNS1_11target_archE942ELNS1_3gpuE9ELNS1_3repE0EEENS1_30default_config_static_selectorELNS0_4arch9wavefront6targetE0EEEvSR_
                                        ; -- End function
	.set _ZN7rocprim17ROCPRIM_400000_NS6detail17trampoline_kernelINS0_14default_configENS1_32segmented_reduce_config_selectorIN3c108BFloat16EEEZNS1_21segmented_reduce_implIS3_PKS6_PS6_PKiS6_N6hipcub16HIPCUB_304000_NS6detail27convert_result_type_wrapperISA_SB_N2at6native12_GLOBAL__N_19CustomMaxEEEEE10hipError_tPvRmT0_T1_jT2_SS_T4_T3_P12ihipStream_tbEUlT_E_NS1_11comp_targetILNS1_3genE5ELNS1_11target_archE942ELNS1_3gpuE9ELNS1_3repE0EEENS1_30default_config_static_selectorELNS0_4arch9wavefront6targetE0EEEvSR_.num_vgpr, 0
	.set _ZN7rocprim17ROCPRIM_400000_NS6detail17trampoline_kernelINS0_14default_configENS1_32segmented_reduce_config_selectorIN3c108BFloat16EEEZNS1_21segmented_reduce_implIS3_PKS6_PS6_PKiS6_N6hipcub16HIPCUB_304000_NS6detail27convert_result_type_wrapperISA_SB_N2at6native12_GLOBAL__N_19CustomMaxEEEEE10hipError_tPvRmT0_T1_jT2_SS_T4_T3_P12ihipStream_tbEUlT_E_NS1_11comp_targetILNS1_3genE5ELNS1_11target_archE942ELNS1_3gpuE9ELNS1_3repE0EEENS1_30default_config_static_selectorELNS0_4arch9wavefront6targetE0EEEvSR_.num_agpr, 0
	.set _ZN7rocprim17ROCPRIM_400000_NS6detail17trampoline_kernelINS0_14default_configENS1_32segmented_reduce_config_selectorIN3c108BFloat16EEEZNS1_21segmented_reduce_implIS3_PKS6_PS6_PKiS6_N6hipcub16HIPCUB_304000_NS6detail27convert_result_type_wrapperISA_SB_N2at6native12_GLOBAL__N_19CustomMaxEEEEE10hipError_tPvRmT0_T1_jT2_SS_T4_T3_P12ihipStream_tbEUlT_E_NS1_11comp_targetILNS1_3genE5ELNS1_11target_archE942ELNS1_3gpuE9ELNS1_3repE0EEENS1_30default_config_static_selectorELNS0_4arch9wavefront6targetE0EEEvSR_.numbered_sgpr, 0
	.set _ZN7rocprim17ROCPRIM_400000_NS6detail17trampoline_kernelINS0_14default_configENS1_32segmented_reduce_config_selectorIN3c108BFloat16EEEZNS1_21segmented_reduce_implIS3_PKS6_PS6_PKiS6_N6hipcub16HIPCUB_304000_NS6detail27convert_result_type_wrapperISA_SB_N2at6native12_GLOBAL__N_19CustomMaxEEEEE10hipError_tPvRmT0_T1_jT2_SS_T4_T3_P12ihipStream_tbEUlT_E_NS1_11comp_targetILNS1_3genE5ELNS1_11target_archE942ELNS1_3gpuE9ELNS1_3repE0EEENS1_30default_config_static_selectorELNS0_4arch9wavefront6targetE0EEEvSR_.num_named_barrier, 0
	.set _ZN7rocprim17ROCPRIM_400000_NS6detail17trampoline_kernelINS0_14default_configENS1_32segmented_reduce_config_selectorIN3c108BFloat16EEEZNS1_21segmented_reduce_implIS3_PKS6_PS6_PKiS6_N6hipcub16HIPCUB_304000_NS6detail27convert_result_type_wrapperISA_SB_N2at6native12_GLOBAL__N_19CustomMaxEEEEE10hipError_tPvRmT0_T1_jT2_SS_T4_T3_P12ihipStream_tbEUlT_E_NS1_11comp_targetILNS1_3genE5ELNS1_11target_archE942ELNS1_3gpuE9ELNS1_3repE0EEENS1_30default_config_static_selectorELNS0_4arch9wavefront6targetE0EEEvSR_.private_seg_size, 0
	.set _ZN7rocprim17ROCPRIM_400000_NS6detail17trampoline_kernelINS0_14default_configENS1_32segmented_reduce_config_selectorIN3c108BFloat16EEEZNS1_21segmented_reduce_implIS3_PKS6_PS6_PKiS6_N6hipcub16HIPCUB_304000_NS6detail27convert_result_type_wrapperISA_SB_N2at6native12_GLOBAL__N_19CustomMaxEEEEE10hipError_tPvRmT0_T1_jT2_SS_T4_T3_P12ihipStream_tbEUlT_E_NS1_11comp_targetILNS1_3genE5ELNS1_11target_archE942ELNS1_3gpuE9ELNS1_3repE0EEENS1_30default_config_static_selectorELNS0_4arch9wavefront6targetE0EEEvSR_.uses_vcc, 0
	.set _ZN7rocprim17ROCPRIM_400000_NS6detail17trampoline_kernelINS0_14default_configENS1_32segmented_reduce_config_selectorIN3c108BFloat16EEEZNS1_21segmented_reduce_implIS3_PKS6_PS6_PKiS6_N6hipcub16HIPCUB_304000_NS6detail27convert_result_type_wrapperISA_SB_N2at6native12_GLOBAL__N_19CustomMaxEEEEE10hipError_tPvRmT0_T1_jT2_SS_T4_T3_P12ihipStream_tbEUlT_E_NS1_11comp_targetILNS1_3genE5ELNS1_11target_archE942ELNS1_3gpuE9ELNS1_3repE0EEENS1_30default_config_static_selectorELNS0_4arch9wavefront6targetE0EEEvSR_.uses_flat_scratch, 0
	.set _ZN7rocprim17ROCPRIM_400000_NS6detail17trampoline_kernelINS0_14default_configENS1_32segmented_reduce_config_selectorIN3c108BFloat16EEEZNS1_21segmented_reduce_implIS3_PKS6_PS6_PKiS6_N6hipcub16HIPCUB_304000_NS6detail27convert_result_type_wrapperISA_SB_N2at6native12_GLOBAL__N_19CustomMaxEEEEE10hipError_tPvRmT0_T1_jT2_SS_T4_T3_P12ihipStream_tbEUlT_E_NS1_11comp_targetILNS1_3genE5ELNS1_11target_archE942ELNS1_3gpuE9ELNS1_3repE0EEENS1_30default_config_static_selectorELNS0_4arch9wavefront6targetE0EEEvSR_.has_dyn_sized_stack, 0
	.set _ZN7rocprim17ROCPRIM_400000_NS6detail17trampoline_kernelINS0_14default_configENS1_32segmented_reduce_config_selectorIN3c108BFloat16EEEZNS1_21segmented_reduce_implIS3_PKS6_PS6_PKiS6_N6hipcub16HIPCUB_304000_NS6detail27convert_result_type_wrapperISA_SB_N2at6native12_GLOBAL__N_19CustomMaxEEEEE10hipError_tPvRmT0_T1_jT2_SS_T4_T3_P12ihipStream_tbEUlT_E_NS1_11comp_targetILNS1_3genE5ELNS1_11target_archE942ELNS1_3gpuE9ELNS1_3repE0EEENS1_30default_config_static_selectorELNS0_4arch9wavefront6targetE0EEEvSR_.has_recursion, 0
	.set _ZN7rocprim17ROCPRIM_400000_NS6detail17trampoline_kernelINS0_14default_configENS1_32segmented_reduce_config_selectorIN3c108BFloat16EEEZNS1_21segmented_reduce_implIS3_PKS6_PS6_PKiS6_N6hipcub16HIPCUB_304000_NS6detail27convert_result_type_wrapperISA_SB_N2at6native12_GLOBAL__N_19CustomMaxEEEEE10hipError_tPvRmT0_T1_jT2_SS_T4_T3_P12ihipStream_tbEUlT_E_NS1_11comp_targetILNS1_3genE5ELNS1_11target_archE942ELNS1_3gpuE9ELNS1_3repE0EEENS1_30default_config_static_selectorELNS0_4arch9wavefront6targetE0EEEvSR_.has_indirect_call, 0
	.section	.AMDGPU.csdata,"",@progbits
; Kernel info:
; codeLenInByte = 0
; TotalNumSgprs: 0
; NumVgprs: 0
; ScratchSize: 0
; MemoryBound: 0
; FloatMode: 240
; IeeeMode: 1
; LDSByteSize: 0 bytes/workgroup (compile time only)
; SGPRBlocks: 0
; VGPRBlocks: 0
; NumSGPRsForWavesPerEU: 1
; NumVGPRsForWavesPerEU: 1
; Occupancy: 16
; WaveLimiterHint : 0
; COMPUTE_PGM_RSRC2:SCRATCH_EN: 0
; COMPUTE_PGM_RSRC2:USER_SGPR: 6
; COMPUTE_PGM_RSRC2:TRAP_HANDLER: 0
; COMPUTE_PGM_RSRC2:TGID_X_EN: 1
; COMPUTE_PGM_RSRC2:TGID_Y_EN: 0
; COMPUTE_PGM_RSRC2:TGID_Z_EN: 0
; COMPUTE_PGM_RSRC2:TIDIG_COMP_CNT: 0
	.section	.text._ZN7rocprim17ROCPRIM_400000_NS6detail17trampoline_kernelINS0_14default_configENS1_32segmented_reduce_config_selectorIN3c108BFloat16EEEZNS1_21segmented_reduce_implIS3_PKS6_PS6_PKiS6_N6hipcub16HIPCUB_304000_NS6detail27convert_result_type_wrapperISA_SB_N2at6native12_GLOBAL__N_19CustomMaxEEEEE10hipError_tPvRmT0_T1_jT2_SS_T4_T3_P12ihipStream_tbEUlT_E_NS1_11comp_targetILNS1_3genE10ELNS1_11target_archE1201ELNS1_3gpuE5ELNS1_3repE0EEENS1_30default_config_static_selectorELNS0_4arch9wavefront6targetE0EEEvSR_,"axG",@progbits,_ZN7rocprim17ROCPRIM_400000_NS6detail17trampoline_kernelINS0_14default_configENS1_32segmented_reduce_config_selectorIN3c108BFloat16EEEZNS1_21segmented_reduce_implIS3_PKS6_PS6_PKiS6_N6hipcub16HIPCUB_304000_NS6detail27convert_result_type_wrapperISA_SB_N2at6native12_GLOBAL__N_19CustomMaxEEEEE10hipError_tPvRmT0_T1_jT2_SS_T4_T3_P12ihipStream_tbEUlT_E_NS1_11comp_targetILNS1_3genE10ELNS1_11target_archE1201ELNS1_3gpuE5ELNS1_3repE0EEENS1_30default_config_static_selectorELNS0_4arch9wavefront6targetE0EEEvSR_,comdat
	.globl	_ZN7rocprim17ROCPRIM_400000_NS6detail17trampoline_kernelINS0_14default_configENS1_32segmented_reduce_config_selectorIN3c108BFloat16EEEZNS1_21segmented_reduce_implIS3_PKS6_PS6_PKiS6_N6hipcub16HIPCUB_304000_NS6detail27convert_result_type_wrapperISA_SB_N2at6native12_GLOBAL__N_19CustomMaxEEEEE10hipError_tPvRmT0_T1_jT2_SS_T4_T3_P12ihipStream_tbEUlT_E_NS1_11comp_targetILNS1_3genE10ELNS1_11target_archE1201ELNS1_3gpuE5ELNS1_3repE0EEENS1_30default_config_static_selectorELNS0_4arch9wavefront6targetE0EEEvSR_ ; -- Begin function _ZN7rocprim17ROCPRIM_400000_NS6detail17trampoline_kernelINS0_14default_configENS1_32segmented_reduce_config_selectorIN3c108BFloat16EEEZNS1_21segmented_reduce_implIS3_PKS6_PS6_PKiS6_N6hipcub16HIPCUB_304000_NS6detail27convert_result_type_wrapperISA_SB_N2at6native12_GLOBAL__N_19CustomMaxEEEEE10hipError_tPvRmT0_T1_jT2_SS_T4_T3_P12ihipStream_tbEUlT_E_NS1_11comp_targetILNS1_3genE10ELNS1_11target_archE1201ELNS1_3gpuE5ELNS1_3repE0EEENS1_30default_config_static_selectorELNS0_4arch9wavefront6targetE0EEEvSR_
	.p2align	8
	.type	_ZN7rocprim17ROCPRIM_400000_NS6detail17trampoline_kernelINS0_14default_configENS1_32segmented_reduce_config_selectorIN3c108BFloat16EEEZNS1_21segmented_reduce_implIS3_PKS6_PS6_PKiS6_N6hipcub16HIPCUB_304000_NS6detail27convert_result_type_wrapperISA_SB_N2at6native12_GLOBAL__N_19CustomMaxEEEEE10hipError_tPvRmT0_T1_jT2_SS_T4_T3_P12ihipStream_tbEUlT_E_NS1_11comp_targetILNS1_3genE10ELNS1_11target_archE1201ELNS1_3gpuE5ELNS1_3repE0EEENS1_30default_config_static_selectorELNS0_4arch9wavefront6targetE0EEEvSR_,@function
_ZN7rocprim17ROCPRIM_400000_NS6detail17trampoline_kernelINS0_14default_configENS1_32segmented_reduce_config_selectorIN3c108BFloat16EEEZNS1_21segmented_reduce_implIS3_PKS6_PS6_PKiS6_N6hipcub16HIPCUB_304000_NS6detail27convert_result_type_wrapperISA_SB_N2at6native12_GLOBAL__N_19CustomMaxEEEEE10hipError_tPvRmT0_T1_jT2_SS_T4_T3_P12ihipStream_tbEUlT_E_NS1_11comp_targetILNS1_3genE10ELNS1_11target_archE1201ELNS1_3gpuE5ELNS1_3repE0EEENS1_30default_config_static_selectorELNS0_4arch9wavefront6targetE0EEEvSR_: ; @_ZN7rocprim17ROCPRIM_400000_NS6detail17trampoline_kernelINS0_14default_configENS1_32segmented_reduce_config_selectorIN3c108BFloat16EEEZNS1_21segmented_reduce_implIS3_PKS6_PS6_PKiS6_N6hipcub16HIPCUB_304000_NS6detail27convert_result_type_wrapperISA_SB_N2at6native12_GLOBAL__N_19CustomMaxEEEEE10hipError_tPvRmT0_T1_jT2_SS_T4_T3_P12ihipStream_tbEUlT_E_NS1_11comp_targetILNS1_3genE10ELNS1_11target_archE1201ELNS1_3gpuE5ELNS1_3repE0EEENS1_30default_config_static_selectorELNS0_4arch9wavefront6targetE0EEEvSR_
; %bb.0:
	.section	.rodata,"a",@progbits
	.p2align	6, 0x0
	.amdhsa_kernel _ZN7rocprim17ROCPRIM_400000_NS6detail17trampoline_kernelINS0_14default_configENS1_32segmented_reduce_config_selectorIN3c108BFloat16EEEZNS1_21segmented_reduce_implIS3_PKS6_PS6_PKiS6_N6hipcub16HIPCUB_304000_NS6detail27convert_result_type_wrapperISA_SB_N2at6native12_GLOBAL__N_19CustomMaxEEEEE10hipError_tPvRmT0_T1_jT2_SS_T4_T3_P12ihipStream_tbEUlT_E_NS1_11comp_targetILNS1_3genE10ELNS1_11target_archE1201ELNS1_3gpuE5ELNS1_3repE0EEENS1_30default_config_static_selectorELNS0_4arch9wavefront6targetE0EEEvSR_
		.amdhsa_group_segment_fixed_size 0
		.amdhsa_private_segment_fixed_size 0
		.amdhsa_kernarg_size 48
		.amdhsa_user_sgpr_count 6
		.amdhsa_user_sgpr_private_segment_buffer 1
		.amdhsa_user_sgpr_dispatch_ptr 0
		.amdhsa_user_sgpr_queue_ptr 0
		.amdhsa_user_sgpr_kernarg_segment_ptr 1
		.amdhsa_user_sgpr_dispatch_id 0
		.amdhsa_user_sgpr_flat_scratch_init 0
		.amdhsa_user_sgpr_private_segment_size 0
		.amdhsa_wavefront_size32 1
		.amdhsa_uses_dynamic_stack 0
		.amdhsa_system_sgpr_private_segment_wavefront_offset 0
		.amdhsa_system_sgpr_workgroup_id_x 1
		.amdhsa_system_sgpr_workgroup_id_y 0
		.amdhsa_system_sgpr_workgroup_id_z 0
		.amdhsa_system_sgpr_workgroup_info 0
		.amdhsa_system_vgpr_workitem_id 0
		.amdhsa_next_free_vgpr 1
		.amdhsa_next_free_sgpr 1
		.amdhsa_reserve_vcc 0
		.amdhsa_reserve_flat_scratch 0
		.amdhsa_float_round_mode_32 0
		.amdhsa_float_round_mode_16_64 0
		.amdhsa_float_denorm_mode_32 3
		.amdhsa_float_denorm_mode_16_64 3
		.amdhsa_dx10_clamp 1
		.amdhsa_ieee_mode 1
		.amdhsa_fp16_overflow 0
		.amdhsa_workgroup_processor_mode 1
		.amdhsa_memory_ordered 1
		.amdhsa_forward_progress 1
		.amdhsa_shared_vgpr_count 0
		.amdhsa_exception_fp_ieee_invalid_op 0
		.amdhsa_exception_fp_denorm_src 0
		.amdhsa_exception_fp_ieee_div_zero 0
		.amdhsa_exception_fp_ieee_overflow 0
		.amdhsa_exception_fp_ieee_underflow 0
		.amdhsa_exception_fp_ieee_inexact 0
		.amdhsa_exception_int_div_zero 0
	.end_amdhsa_kernel
	.section	.text._ZN7rocprim17ROCPRIM_400000_NS6detail17trampoline_kernelINS0_14default_configENS1_32segmented_reduce_config_selectorIN3c108BFloat16EEEZNS1_21segmented_reduce_implIS3_PKS6_PS6_PKiS6_N6hipcub16HIPCUB_304000_NS6detail27convert_result_type_wrapperISA_SB_N2at6native12_GLOBAL__N_19CustomMaxEEEEE10hipError_tPvRmT0_T1_jT2_SS_T4_T3_P12ihipStream_tbEUlT_E_NS1_11comp_targetILNS1_3genE10ELNS1_11target_archE1201ELNS1_3gpuE5ELNS1_3repE0EEENS1_30default_config_static_selectorELNS0_4arch9wavefront6targetE0EEEvSR_,"axG",@progbits,_ZN7rocprim17ROCPRIM_400000_NS6detail17trampoline_kernelINS0_14default_configENS1_32segmented_reduce_config_selectorIN3c108BFloat16EEEZNS1_21segmented_reduce_implIS3_PKS6_PS6_PKiS6_N6hipcub16HIPCUB_304000_NS6detail27convert_result_type_wrapperISA_SB_N2at6native12_GLOBAL__N_19CustomMaxEEEEE10hipError_tPvRmT0_T1_jT2_SS_T4_T3_P12ihipStream_tbEUlT_E_NS1_11comp_targetILNS1_3genE10ELNS1_11target_archE1201ELNS1_3gpuE5ELNS1_3repE0EEENS1_30default_config_static_selectorELNS0_4arch9wavefront6targetE0EEEvSR_,comdat
.Lfunc_end113:
	.size	_ZN7rocprim17ROCPRIM_400000_NS6detail17trampoline_kernelINS0_14default_configENS1_32segmented_reduce_config_selectorIN3c108BFloat16EEEZNS1_21segmented_reduce_implIS3_PKS6_PS6_PKiS6_N6hipcub16HIPCUB_304000_NS6detail27convert_result_type_wrapperISA_SB_N2at6native12_GLOBAL__N_19CustomMaxEEEEE10hipError_tPvRmT0_T1_jT2_SS_T4_T3_P12ihipStream_tbEUlT_E_NS1_11comp_targetILNS1_3genE10ELNS1_11target_archE1201ELNS1_3gpuE5ELNS1_3repE0EEENS1_30default_config_static_selectorELNS0_4arch9wavefront6targetE0EEEvSR_, .Lfunc_end113-_ZN7rocprim17ROCPRIM_400000_NS6detail17trampoline_kernelINS0_14default_configENS1_32segmented_reduce_config_selectorIN3c108BFloat16EEEZNS1_21segmented_reduce_implIS3_PKS6_PS6_PKiS6_N6hipcub16HIPCUB_304000_NS6detail27convert_result_type_wrapperISA_SB_N2at6native12_GLOBAL__N_19CustomMaxEEEEE10hipError_tPvRmT0_T1_jT2_SS_T4_T3_P12ihipStream_tbEUlT_E_NS1_11comp_targetILNS1_3genE10ELNS1_11target_archE1201ELNS1_3gpuE5ELNS1_3repE0EEENS1_30default_config_static_selectorELNS0_4arch9wavefront6targetE0EEEvSR_
                                        ; -- End function
	.set _ZN7rocprim17ROCPRIM_400000_NS6detail17trampoline_kernelINS0_14default_configENS1_32segmented_reduce_config_selectorIN3c108BFloat16EEEZNS1_21segmented_reduce_implIS3_PKS6_PS6_PKiS6_N6hipcub16HIPCUB_304000_NS6detail27convert_result_type_wrapperISA_SB_N2at6native12_GLOBAL__N_19CustomMaxEEEEE10hipError_tPvRmT0_T1_jT2_SS_T4_T3_P12ihipStream_tbEUlT_E_NS1_11comp_targetILNS1_3genE10ELNS1_11target_archE1201ELNS1_3gpuE5ELNS1_3repE0EEENS1_30default_config_static_selectorELNS0_4arch9wavefront6targetE0EEEvSR_.num_vgpr, 0
	.set _ZN7rocprim17ROCPRIM_400000_NS6detail17trampoline_kernelINS0_14default_configENS1_32segmented_reduce_config_selectorIN3c108BFloat16EEEZNS1_21segmented_reduce_implIS3_PKS6_PS6_PKiS6_N6hipcub16HIPCUB_304000_NS6detail27convert_result_type_wrapperISA_SB_N2at6native12_GLOBAL__N_19CustomMaxEEEEE10hipError_tPvRmT0_T1_jT2_SS_T4_T3_P12ihipStream_tbEUlT_E_NS1_11comp_targetILNS1_3genE10ELNS1_11target_archE1201ELNS1_3gpuE5ELNS1_3repE0EEENS1_30default_config_static_selectorELNS0_4arch9wavefront6targetE0EEEvSR_.num_agpr, 0
	.set _ZN7rocprim17ROCPRIM_400000_NS6detail17trampoline_kernelINS0_14default_configENS1_32segmented_reduce_config_selectorIN3c108BFloat16EEEZNS1_21segmented_reduce_implIS3_PKS6_PS6_PKiS6_N6hipcub16HIPCUB_304000_NS6detail27convert_result_type_wrapperISA_SB_N2at6native12_GLOBAL__N_19CustomMaxEEEEE10hipError_tPvRmT0_T1_jT2_SS_T4_T3_P12ihipStream_tbEUlT_E_NS1_11comp_targetILNS1_3genE10ELNS1_11target_archE1201ELNS1_3gpuE5ELNS1_3repE0EEENS1_30default_config_static_selectorELNS0_4arch9wavefront6targetE0EEEvSR_.numbered_sgpr, 0
	.set _ZN7rocprim17ROCPRIM_400000_NS6detail17trampoline_kernelINS0_14default_configENS1_32segmented_reduce_config_selectorIN3c108BFloat16EEEZNS1_21segmented_reduce_implIS3_PKS6_PS6_PKiS6_N6hipcub16HIPCUB_304000_NS6detail27convert_result_type_wrapperISA_SB_N2at6native12_GLOBAL__N_19CustomMaxEEEEE10hipError_tPvRmT0_T1_jT2_SS_T4_T3_P12ihipStream_tbEUlT_E_NS1_11comp_targetILNS1_3genE10ELNS1_11target_archE1201ELNS1_3gpuE5ELNS1_3repE0EEENS1_30default_config_static_selectorELNS0_4arch9wavefront6targetE0EEEvSR_.num_named_barrier, 0
	.set _ZN7rocprim17ROCPRIM_400000_NS6detail17trampoline_kernelINS0_14default_configENS1_32segmented_reduce_config_selectorIN3c108BFloat16EEEZNS1_21segmented_reduce_implIS3_PKS6_PS6_PKiS6_N6hipcub16HIPCUB_304000_NS6detail27convert_result_type_wrapperISA_SB_N2at6native12_GLOBAL__N_19CustomMaxEEEEE10hipError_tPvRmT0_T1_jT2_SS_T4_T3_P12ihipStream_tbEUlT_E_NS1_11comp_targetILNS1_3genE10ELNS1_11target_archE1201ELNS1_3gpuE5ELNS1_3repE0EEENS1_30default_config_static_selectorELNS0_4arch9wavefront6targetE0EEEvSR_.private_seg_size, 0
	.set _ZN7rocprim17ROCPRIM_400000_NS6detail17trampoline_kernelINS0_14default_configENS1_32segmented_reduce_config_selectorIN3c108BFloat16EEEZNS1_21segmented_reduce_implIS3_PKS6_PS6_PKiS6_N6hipcub16HIPCUB_304000_NS6detail27convert_result_type_wrapperISA_SB_N2at6native12_GLOBAL__N_19CustomMaxEEEEE10hipError_tPvRmT0_T1_jT2_SS_T4_T3_P12ihipStream_tbEUlT_E_NS1_11comp_targetILNS1_3genE10ELNS1_11target_archE1201ELNS1_3gpuE5ELNS1_3repE0EEENS1_30default_config_static_selectorELNS0_4arch9wavefront6targetE0EEEvSR_.uses_vcc, 0
	.set _ZN7rocprim17ROCPRIM_400000_NS6detail17trampoline_kernelINS0_14default_configENS1_32segmented_reduce_config_selectorIN3c108BFloat16EEEZNS1_21segmented_reduce_implIS3_PKS6_PS6_PKiS6_N6hipcub16HIPCUB_304000_NS6detail27convert_result_type_wrapperISA_SB_N2at6native12_GLOBAL__N_19CustomMaxEEEEE10hipError_tPvRmT0_T1_jT2_SS_T4_T3_P12ihipStream_tbEUlT_E_NS1_11comp_targetILNS1_3genE10ELNS1_11target_archE1201ELNS1_3gpuE5ELNS1_3repE0EEENS1_30default_config_static_selectorELNS0_4arch9wavefront6targetE0EEEvSR_.uses_flat_scratch, 0
	.set _ZN7rocprim17ROCPRIM_400000_NS6detail17trampoline_kernelINS0_14default_configENS1_32segmented_reduce_config_selectorIN3c108BFloat16EEEZNS1_21segmented_reduce_implIS3_PKS6_PS6_PKiS6_N6hipcub16HIPCUB_304000_NS6detail27convert_result_type_wrapperISA_SB_N2at6native12_GLOBAL__N_19CustomMaxEEEEE10hipError_tPvRmT0_T1_jT2_SS_T4_T3_P12ihipStream_tbEUlT_E_NS1_11comp_targetILNS1_3genE10ELNS1_11target_archE1201ELNS1_3gpuE5ELNS1_3repE0EEENS1_30default_config_static_selectorELNS0_4arch9wavefront6targetE0EEEvSR_.has_dyn_sized_stack, 0
	.set _ZN7rocprim17ROCPRIM_400000_NS6detail17trampoline_kernelINS0_14default_configENS1_32segmented_reduce_config_selectorIN3c108BFloat16EEEZNS1_21segmented_reduce_implIS3_PKS6_PS6_PKiS6_N6hipcub16HIPCUB_304000_NS6detail27convert_result_type_wrapperISA_SB_N2at6native12_GLOBAL__N_19CustomMaxEEEEE10hipError_tPvRmT0_T1_jT2_SS_T4_T3_P12ihipStream_tbEUlT_E_NS1_11comp_targetILNS1_3genE10ELNS1_11target_archE1201ELNS1_3gpuE5ELNS1_3repE0EEENS1_30default_config_static_selectorELNS0_4arch9wavefront6targetE0EEEvSR_.has_recursion, 0
	.set _ZN7rocprim17ROCPRIM_400000_NS6detail17trampoline_kernelINS0_14default_configENS1_32segmented_reduce_config_selectorIN3c108BFloat16EEEZNS1_21segmented_reduce_implIS3_PKS6_PS6_PKiS6_N6hipcub16HIPCUB_304000_NS6detail27convert_result_type_wrapperISA_SB_N2at6native12_GLOBAL__N_19CustomMaxEEEEE10hipError_tPvRmT0_T1_jT2_SS_T4_T3_P12ihipStream_tbEUlT_E_NS1_11comp_targetILNS1_3genE10ELNS1_11target_archE1201ELNS1_3gpuE5ELNS1_3repE0EEENS1_30default_config_static_selectorELNS0_4arch9wavefront6targetE0EEEvSR_.has_indirect_call, 0
	.section	.AMDGPU.csdata,"",@progbits
; Kernel info:
; codeLenInByte = 0
; TotalNumSgprs: 0
; NumVgprs: 0
; ScratchSize: 0
; MemoryBound: 0
; FloatMode: 240
; IeeeMode: 1
; LDSByteSize: 0 bytes/workgroup (compile time only)
; SGPRBlocks: 0
; VGPRBlocks: 0
; NumSGPRsForWavesPerEU: 1
; NumVGPRsForWavesPerEU: 1
; Occupancy: 16
; WaveLimiterHint : 0
; COMPUTE_PGM_RSRC2:SCRATCH_EN: 0
; COMPUTE_PGM_RSRC2:USER_SGPR: 6
; COMPUTE_PGM_RSRC2:TRAP_HANDLER: 0
; COMPUTE_PGM_RSRC2:TGID_X_EN: 1
; COMPUTE_PGM_RSRC2:TGID_Y_EN: 0
; COMPUTE_PGM_RSRC2:TGID_Z_EN: 0
; COMPUTE_PGM_RSRC2:TIDIG_COMP_CNT: 0
	.section	.text._ZN7rocprim17ROCPRIM_400000_NS6detail17trampoline_kernelINS0_14default_configENS1_32segmented_reduce_config_selectorIN3c108BFloat16EEEZNS1_21segmented_reduce_implIS3_PKS6_PS6_PKiS6_N6hipcub16HIPCUB_304000_NS6detail27convert_result_type_wrapperISA_SB_N2at6native12_GLOBAL__N_19CustomMaxEEEEE10hipError_tPvRmT0_T1_jT2_SS_T4_T3_P12ihipStream_tbEUlT_E_NS1_11comp_targetILNS1_3genE4ELNS1_11target_archE910ELNS1_3gpuE8ELNS1_3repE0EEENS1_30default_config_static_selectorELNS0_4arch9wavefront6targetE0EEEvSR_,"axG",@progbits,_ZN7rocprim17ROCPRIM_400000_NS6detail17trampoline_kernelINS0_14default_configENS1_32segmented_reduce_config_selectorIN3c108BFloat16EEEZNS1_21segmented_reduce_implIS3_PKS6_PS6_PKiS6_N6hipcub16HIPCUB_304000_NS6detail27convert_result_type_wrapperISA_SB_N2at6native12_GLOBAL__N_19CustomMaxEEEEE10hipError_tPvRmT0_T1_jT2_SS_T4_T3_P12ihipStream_tbEUlT_E_NS1_11comp_targetILNS1_3genE4ELNS1_11target_archE910ELNS1_3gpuE8ELNS1_3repE0EEENS1_30default_config_static_selectorELNS0_4arch9wavefront6targetE0EEEvSR_,comdat
	.globl	_ZN7rocprim17ROCPRIM_400000_NS6detail17trampoline_kernelINS0_14default_configENS1_32segmented_reduce_config_selectorIN3c108BFloat16EEEZNS1_21segmented_reduce_implIS3_PKS6_PS6_PKiS6_N6hipcub16HIPCUB_304000_NS6detail27convert_result_type_wrapperISA_SB_N2at6native12_GLOBAL__N_19CustomMaxEEEEE10hipError_tPvRmT0_T1_jT2_SS_T4_T3_P12ihipStream_tbEUlT_E_NS1_11comp_targetILNS1_3genE4ELNS1_11target_archE910ELNS1_3gpuE8ELNS1_3repE0EEENS1_30default_config_static_selectorELNS0_4arch9wavefront6targetE0EEEvSR_ ; -- Begin function _ZN7rocprim17ROCPRIM_400000_NS6detail17trampoline_kernelINS0_14default_configENS1_32segmented_reduce_config_selectorIN3c108BFloat16EEEZNS1_21segmented_reduce_implIS3_PKS6_PS6_PKiS6_N6hipcub16HIPCUB_304000_NS6detail27convert_result_type_wrapperISA_SB_N2at6native12_GLOBAL__N_19CustomMaxEEEEE10hipError_tPvRmT0_T1_jT2_SS_T4_T3_P12ihipStream_tbEUlT_E_NS1_11comp_targetILNS1_3genE4ELNS1_11target_archE910ELNS1_3gpuE8ELNS1_3repE0EEENS1_30default_config_static_selectorELNS0_4arch9wavefront6targetE0EEEvSR_
	.p2align	8
	.type	_ZN7rocprim17ROCPRIM_400000_NS6detail17trampoline_kernelINS0_14default_configENS1_32segmented_reduce_config_selectorIN3c108BFloat16EEEZNS1_21segmented_reduce_implIS3_PKS6_PS6_PKiS6_N6hipcub16HIPCUB_304000_NS6detail27convert_result_type_wrapperISA_SB_N2at6native12_GLOBAL__N_19CustomMaxEEEEE10hipError_tPvRmT0_T1_jT2_SS_T4_T3_P12ihipStream_tbEUlT_E_NS1_11comp_targetILNS1_3genE4ELNS1_11target_archE910ELNS1_3gpuE8ELNS1_3repE0EEENS1_30default_config_static_selectorELNS0_4arch9wavefront6targetE0EEEvSR_,@function
_ZN7rocprim17ROCPRIM_400000_NS6detail17trampoline_kernelINS0_14default_configENS1_32segmented_reduce_config_selectorIN3c108BFloat16EEEZNS1_21segmented_reduce_implIS3_PKS6_PS6_PKiS6_N6hipcub16HIPCUB_304000_NS6detail27convert_result_type_wrapperISA_SB_N2at6native12_GLOBAL__N_19CustomMaxEEEEE10hipError_tPvRmT0_T1_jT2_SS_T4_T3_P12ihipStream_tbEUlT_E_NS1_11comp_targetILNS1_3genE4ELNS1_11target_archE910ELNS1_3gpuE8ELNS1_3repE0EEENS1_30default_config_static_selectorELNS0_4arch9wavefront6targetE0EEEvSR_: ; @_ZN7rocprim17ROCPRIM_400000_NS6detail17trampoline_kernelINS0_14default_configENS1_32segmented_reduce_config_selectorIN3c108BFloat16EEEZNS1_21segmented_reduce_implIS3_PKS6_PS6_PKiS6_N6hipcub16HIPCUB_304000_NS6detail27convert_result_type_wrapperISA_SB_N2at6native12_GLOBAL__N_19CustomMaxEEEEE10hipError_tPvRmT0_T1_jT2_SS_T4_T3_P12ihipStream_tbEUlT_E_NS1_11comp_targetILNS1_3genE4ELNS1_11target_archE910ELNS1_3gpuE8ELNS1_3repE0EEENS1_30default_config_static_selectorELNS0_4arch9wavefront6targetE0EEEvSR_
; %bb.0:
	.section	.rodata,"a",@progbits
	.p2align	6, 0x0
	.amdhsa_kernel _ZN7rocprim17ROCPRIM_400000_NS6detail17trampoline_kernelINS0_14default_configENS1_32segmented_reduce_config_selectorIN3c108BFloat16EEEZNS1_21segmented_reduce_implIS3_PKS6_PS6_PKiS6_N6hipcub16HIPCUB_304000_NS6detail27convert_result_type_wrapperISA_SB_N2at6native12_GLOBAL__N_19CustomMaxEEEEE10hipError_tPvRmT0_T1_jT2_SS_T4_T3_P12ihipStream_tbEUlT_E_NS1_11comp_targetILNS1_3genE4ELNS1_11target_archE910ELNS1_3gpuE8ELNS1_3repE0EEENS1_30default_config_static_selectorELNS0_4arch9wavefront6targetE0EEEvSR_
		.amdhsa_group_segment_fixed_size 0
		.amdhsa_private_segment_fixed_size 0
		.amdhsa_kernarg_size 48
		.amdhsa_user_sgpr_count 6
		.amdhsa_user_sgpr_private_segment_buffer 1
		.amdhsa_user_sgpr_dispatch_ptr 0
		.amdhsa_user_sgpr_queue_ptr 0
		.amdhsa_user_sgpr_kernarg_segment_ptr 1
		.amdhsa_user_sgpr_dispatch_id 0
		.amdhsa_user_sgpr_flat_scratch_init 0
		.amdhsa_user_sgpr_private_segment_size 0
		.amdhsa_wavefront_size32 1
		.amdhsa_uses_dynamic_stack 0
		.amdhsa_system_sgpr_private_segment_wavefront_offset 0
		.amdhsa_system_sgpr_workgroup_id_x 1
		.amdhsa_system_sgpr_workgroup_id_y 0
		.amdhsa_system_sgpr_workgroup_id_z 0
		.amdhsa_system_sgpr_workgroup_info 0
		.amdhsa_system_vgpr_workitem_id 0
		.amdhsa_next_free_vgpr 1
		.amdhsa_next_free_sgpr 1
		.amdhsa_reserve_vcc 0
		.amdhsa_reserve_flat_scratch 0
		.amdhsa_float_round_mode_32 0
		.amdhsa_float_round_mode_16_64 0
		.amdhsa_float_denorm_mode_32 3
		.amdhsa_float_denorm_mode_16_64 3
		.amdhsa_dx10_clamp 1
		.amdhsa_ieee_mode 1
		.amdhsa_fp16_overflow 0
		.amdhsa_workgroup_processor_mode 1
		.amdhsa_memory_ordered 1
		.amdhsa_forward_progress 1
		.amdhsa_shared_vgpr_count 0
		.amdhsa_exception_fp_ieee_invalid_op 0
		.amdhsa_exception_fp_denorm_src 0
		.amdhsa_exception_fp_ieee_div_zero 0
		.amdhsa_exception_fp_ieee_overflow 0
		.amdhsa_exception_fp_ieee_underflow 0
		.amdhsa_exception_fp_ieee_inexact 0
		.amdhsa_exception_int_div_zero 0
	.end_amdhsa_kernel
	.section	.text._ZN7rocprim17ROCPRIM_400000_NS6detail17trampoline_kernelINS0_14default_configENS1_32segmented_reduce_config_selectorIN3c108BFloat16EEEZNS1_21segmented_reduce_implIS3_PKS6_PS6_PKiS6_N6hipcub16HIPCUB_304000_NS6detail27convert_result_type_wrapperISA_SB_N2at6native12_GLOBAL__N_19CustomMaxEEEEE10hipError_tPvRmT0_T1_jT2_SS_T4_T3_P12ihipStream_tbEUlT_E_NS1_11comp_targetILNS1_3genE4ELNS1_11target_archE910ELNS1_3gpuE8ELNS1_3repE0EEENS1_30default_config_static_selectorELNS0_4arch9wavefront6targetE0EEEvSR_,"axG",@progbits,_ZN7rocprim17ROCPRIM_400000_NS6detail17trampoline_kernelINS0_14default_configENS1_32segmented_reduce_config_selectorIN3c108BFloat16EEEZNS1_21segmented_reduce_implIS3_PKS6_PS6_PKiS6_N6hipcub16HIPCUB_304000_NS6detail27convert_result_type_wrapperISA_SB_N2at6native12_GLOBAL__N_19CustomMaxEEEEE10hipError_tPvRmT0_T1_jT2_SS_T4_T3_P12ihipStream_tbEUlT_E_NS1_11comp_targetILNS1_3genE4ELNS1_11target_archE910ELNS1_3gpuE8ELNS1_3repE0EEENS1_30default_config_static_selectorELNS0_4arch9wavefront6targetE0EEEvSR_,comdat
.Lfunc_end114:
	.size	_ZN7rocprim17ROCPRIM_400000_NS6detail17trampoline_kernelINS0_14default_configENS1_32segmented_reduce_config_selectorIN3c108BFloat16EEEZNS1_21segmented_reduce_implIS3_PKS6_PS6_PKiS6_N6hipcub16HIPCUB_304000_NS6detail27convert_result_type_wrapperISA_SB_N2at6native12_GLOBAL__N_19CustomMaxEEEEE10hipError_tPvRmT0_T1_jT2_SS_T4_T3_P12ihipStream_tbEUlT_E_NS1_11comp_targetILNS1_3genE4ELNS1_11target_archE910ELNS1_3gpuE8ELNS1_3repE0EEENS1_30default_config_static_selectorELNS0_4arch9wavefront6targetE0EEEvSR_, .Lfunc_end114-_ZN7rocprim17ROCPRIM_400000_NS6detail17trampoline_kernelINS0_14default_configENS1_32segmented_reduce_config_selectorIN3c108BFloat16EEEZNS1_21segmented_reduce_implIS3_PKS6_PS6_PKiS6_N6hipcub16HIPCUB_304000_NS6detail27convert_result_type_wrapperISA_SB_N2at6native12_GLOBAL__N_19CustomMaxEEEEE10hipError_tPvRmT0_T1_jT2_SS_T4_T3_P12ihipStream_tbEUlT_E_NS1_11comp_targetILNS1_3genE4ELNS1_11target_archE910ELNS1_3gpuE8ELNS1_3repE0EEENS1_30default_config_static_selectorELNS0_4arch9wavefront6targetE0EEEvSR_
                                        ; -- End function
	.set _ZN7rocprim17ROCPRIM_400000_NS6detail17trampoline_kernelINS0_14default_configENS1_32segmented_reduce_config_selectorIN3c108BFloat16EEEZNS1_21segmented_reduce_implIS3_PKS6_PS6_PKiS6_N6hipcub16HIPCUB_304000_NS6detail27convert_result_type_wrapperISA_SB_N2at6native12_GLOBAL__N_19CustomMaxEEEEE10hipError_tPvRmT0_T1_jT2_SS_T4_T3_P12ihipStream_tbEUlT_E_NS1_11comp_targetILNS1_3genE4ELNS1_11target_archE910ELNS1_3gpuE8ELNS1_3repE0EEENS1_30default_config_static_selectorELNS0_4arch9wavefront6targetE0EEEvSR_.num_vgpr, 0
	.set _ZN7rocprim17ROCPRIM_400000_NS6detail17trampoline_kernelINS0_14default_configENS1_32segmented_reduce_config_selectorIN3c108BFloat16EEEZNS1_21segmented_reduce_implIS3_PKS6_PS6_PKiS6_N6hipcub16HIPCUB_304000_NS6detail27convert_result_type_wrapperISA_SB_N2at6native12_GLOBAL__N_19CustomMaxEEEEE10hipError_tPvRmT0_T1_jT2_SS_T4_T3_P12ihipStream_tbEUlT_E_NS1_11comp_targetILNS1_3genE4ELNS1_11target_archE910ELNS1_3gpuE8ELNS1_3repE0EEENS1_30default_config_static_selectorELNS0_4arch9wavefront6targetE0EEEvSR_.num_agpr, 0
	.set _ZN7rocprim17ROCPRIM_400000_NS6detail17trampoline_kernelINS0_14default_configENS1_32segmented_reduce_config_selectorIN3c108BFloat16EEEZNS1_21segmented_reduce_implIS3_PKS6_PS6_PKiS6_N6hipcub16HIPCUB_304000_NS6detail27convert_result_type_wrapperISA_SB_N2at6native12_GLOBAL__N_19CustomMaxEEEEE10hipError_tPvRmT0_T1_jT2_SS_T4_T3_P12ihipStream_tbEUlT_E_NS1_11comp_targetILNS1_3genE4ELNS1_11target_archE910ELNS1_3gpuE8ELNS1_3repE0EEENS1_30default_config_static_selectorELNS0_4arch9wavefront6targetE0EEEvSR_.numbered_sgpr, 0
	.set _ZN7rocprim17ROCPRIM_400000_NS6detail17trampoline_kernelINS0_14default_configENS1_32segmented_reduce_config_selectorIN3c108BFloat16EEEZNS1_21segmented_reduce_implIS3_PKS6_PS6_PKiS6_N6hipcub16HIPCUB_304000_NS6detail27convert_result_type_wrapperISA_SB_N2at6native12_GLOBAL__N_19CustomMaxEEEEE10hipError_tPvRmT0_T1_jT2_SS_T4_T3_P12ihipStream_tbEUlT_E_NS1_11comp_targetILNS1_3genE4ELNS1_11target_archE910ELNS1_3gpuE8ELNS1_3repE0EEENS1_30default_config_static_selectorELNS0_4arch9wavefront6targetE0EEEvSR_.num_named_barrier, 0
	.set _ZN7rocprim17ROCPRIM_400000_NS6detail17trampoline_kernelINS0_14default_configENS1_32segmented_reduce_config_selectorIN3c108BFloat16EEEZNS1_21segmented_reduce_implIS3_PKS6_PS6_PKiS6_N6hipcub16HIPCUB_304000_NS6detail27convert_result_type_wrapperISA_SB_N2at6native12_GLOBAL__N_19CustomMaxEEEEE10hipError_tPvRmT0_T1_jT2_SS_T4_T3_P12ihipStream_tbEUlT_E_NS1_11comp_targetILNS1_3genE4ELNS1_11target_archE910ELNS1_3gpuE8ELNS1_3repE0EEENS1_30default_config_static_selectorELNS0_4arch9wavefront6targetE0EEEvSR_.private_seg_size, 0
	.set _ZN7rocprim17ROCPRIM_400000_NS6detail17trampoline_kernelINS0_14default_configENS1_32segmented_reduce_config_selectorIN3c108BFloat16EEEZNS1_21segmented_reduce_implIS3_PKS6_PS6_PKiS6_N6hipcub16HIPCUB_304000_NS6detail27convert_result_type_wrapperISA_SB_N2at6native12_GLOBAL__N_19CustomMaxEEEEE10hipError_tPvRmT0_T1_jT2_SS_T4_T3_P12ihipStream_tbEUlT_E_NS1_11comp_targetILNS1_3genE4ELNS1_11target_archE910ELNS1_3gpuE8ELNS1_3repE0EEENS1_30default_config_static_selectorELNS0_4arch9wavefront6targetE0EEEvSR_.uses_vcc, 0
	.set _ZN7rocprim17ROCPRIM_400000_NS6detail17trampoline_kernelINS0_14default_configENS1_32segmented_reduce_config_selectorIN3c108BFloat16EEEZNS1_21segmented_reduce_implIS3_PKS6_PS6_PKiS6_N6hipcub16HIPCUB_304000_NS6detail27convert_result_type_wrapperISA_SB_N2at6native12_GLOBAL__N_19CustomMaxEEEEE10hipError_tPvRmT0_T1_jT2_SS_T4_T3_P12ihipStream_tbEUlT_E_NS1_11comp_targetILNS1_3genE4ELNS1_11target_archE910ELNS1_3gpuE8ELNS1_3repE0EEENS1_30default_config_static_selectorELNS0_4arch9wavefront6targetE0EEEvSR_.uses_flat_scratch, 0
	.set _ZN7rocprim17ROCPRIM_400000_NS6detail17trampoline_kernelINS0_14default_configENS1_32segmented_reduce_config_selectorIN3c108BFloat16EEEZNS1_21segmented_reduce_implIS3_PKS6_PS6_PKiS6_N6hipcub16HIPCUB_304000_NS6detail27convert_result_type_wrapperISA_SB_N2at6native12_GLOBAL__N_19CustomMaxEEEEE10hipError_tPvRmT0_T1_jT2_SS_T4_T3_P12ihipStream_tbEUlT_E_NS1_11comp_targetILNS1_3genE4ELNS1_11target_archE910ELNS1_3gpuE8ELNS1_3repE0EEENS1_30default_config_static_selectorELNS0_4arch9wavefront6targetE0EEEvSR_.has_dyn_sized_stack, 0
	.set _ZN7rocprim17ROCPRIM_400000_NS6detail17trampoline_kernelINS0_14default_configENS1_32segmented_reduce_config_selectorIN3c108BFloat16EEEZNS1_21segmented_reduce_implIS3_PKS6_PS6_PKiS6_N6hipcub16HIPCUB_304000_NS6detail27convert_result_type_wrapperISA_SB_N2at6native12_GLOBAL__N_19CustomMaxEEEEE10hipError_tPvRmT0_T1_jT2_SS_T4_T3_P12ihipStream_tbEUlT_E_NS1_11comp_targetILNS1_3genE4ELNS1_11target_archE910ELNS1_3gpuE8ELNS1_3repE0EEENS1_30default_config_static_selectorELNS0_4arch9wavefront6targetE0EEEvSR_.has_recursion, 0
	.set _ZN7rocprim17ROCPRIM_400000_NS6detail17trampoline_kernelINS0_14default_configENS1_32segmented_reduce_config_selectorIN3c108BFloat16EEEZNS1_21segmented_reduce_implIS3_PKS6_PS6_PKiS6_N6hipcub16HIPCUB_304000_NS6detail27convert_result_type_wrapperISA_SB_N2at6native12_GLOBAL__N_19CustomMaxEEEEE10hipError_tPvRmT0_T1_jT2_SS_T4_T3_P12ihipStream_tbEUlT_E_NS1_11comp_targetILNS1_3genE4ELNS1_11target_archE910ELNS1_3gpuE8ELNS1_3repE0EEENS1_30default_config_static_selectorELNS0_4arch9wavefront6targetE0EEEvSR_.has_indirect_call, 0
	.section	.AMDGPU.csdata,"",@progbits
; Kernel info:
; codeLenInByte = 0
; TotalNumSgprs: 0
; NumVgprs: 0
; ScratchSize: 0
; MemoryBound: 0
; FloatMode: 240
; IeeeMode: 1
; LDSByteSize: 0 bytes/workgroup (compile time only)
; SGPRBlocks: 0
; VGPRBlocks: 0
; NumSGPRsForWavesPerEU: 1
; NumVGPRsForWavesPerEU: 1
; Occupancy: 16
; WaveLimiterHint : 0
; COMPUTE_PGM_RSRC2:SCRATCH_EN: 0
; COMPUTE_PGM_RSRC2:USER_SGPR: 6
; COMPUTE_PGM_RSRC2:TRAP_HANDLER: 0
; COMPUTE_PGM_RSRC2:TGID_X_EN: 1
; COMPUTE_PGM_RSRC2:TGID_Y_EN: 0
; COMPUTE_PGM_RSRC2:TGID_Z_EN: 0
; COMPUTE_PGM_RSRC2:TIDIG_COMP_CNT: 0
	.section	.text._ZN7rocprim17ROCPRIM_400000_NS6detail17trampoline_kernelINS0_14default_configENS1_32segmented_reduce_config_selectorIN3c108BFloat16EEEZNS1_21segmented_reduce_implIS3_PKS6_PS6_PKiS6_N6hipcub16HIPCUB_304000_NS6detail27convert_result_type_wrapperISA_SB_N2at6native12_GLOBAL__N_19CustomMaxEEEEE10hipError_tPvRmT0_T1_jT2_SS_T4_T3_P12ihipStream_tbEUlT_E_NS1_11comp_targetILNS1_3genE3ELNS1_11target_archE908ELNS1_3gpuE7ELNS1_3repE0EEENS1_30default_config_static_selectorELNS0_4arch9wavefront6targetE0EEEvSR_,"axG",@progbits,_ZN7rocprim17ROCPRIM_400000_NS6detail17trampoline_kernelINS0_14default_configENS1_32segmented_reduce_config_selectorIN3c108BFloat16EEEZNS1_21segmented_reduce_implIS3_PKS6_PS6_PKiS6_N6hipcub16HIPCUB_304000_NS6detail27convert_result_type_wrapperISA_SB_N2at6native12_GLOBAL__N_19CustomMaxEEEEE10hipError_tPvRmT0_T1_jT2_SS_T4_T3_P12ihipStream_tbEUlT_E_NS1_11comp_targetILNS1_3genE3ELNS1_11target_archE908ELNS1_3gpuE7ELNS1_3repE0EEENS1_30default_config_static_selectorELNS0_4arch9wavefront6targetE0EEEvSR_,comdat
	.globl	_ZN7rocprim17ROCPRIM_400000_NS6detail17trampoline_kernelINS0_14default_configENS1_32segmented_reduce_config_selectorIN3c108BFloat16EEEZNS1_21segmented_reduce_implIS3_PKS6_PS6_PKiS6_N6hipcub16HIPCUB_304000_NS6detail27convert_result_type_wrapperISA_SB_N2at6native12_GLOBAL__N_19CustomMaxEEEEE10hipError_tPvRmT0_T1_jT2_SS_T4_T3_P12ihipStream_tbEUlT_E_NS1_11comp_targetILNS1_3genE3ELNS1_11target_archE908ELNS1_3gpuE7ELNS1_3repE0EEENS1_30default_config_static_selectorELNS0_4arch9wavefront6targetE0EEEvSR_ ; -- Begin function _ZN7rocprim17ROCPRIM_400000_NS6detail17trampoline_kernelINS0_14default_configENS1_32segmented_reduce_config_selectorIN3c108BFloat16EEEZNS1_21segmented_reduce_implIS3_PKS6_PS6_PKiS6_N6hipcub16HIPCUB_304000_NS6detail27convert_result_type_wrapperISA_SB_N2at6native12_GLOBAL__N_19CustomMaxEEEEE10hipError_tPvRmT0_T1_jT2_SS_T4_T3_P12ihipStream_tbEUlT_E_NS1_11comp_targetILNS1_3genE3ELNS1_11target_archE908ELNS1_3gpuE7ELNS1_3repE0EEENS1_30default_config_static_selectorELNS0_4arch9wavefront6targetE0EEEvSR_
	.p2align	8
	.type	_ZN7rocprim17ROCPRIM_400000_NS6detail17trampoline_kernelINS0_14default_configENS1_32segmented_reduce_config_selectorIN3c108BFloat16EEEZNS1_21segmented_reduce_implIS3_PKS6_PS6_PKiS6_N6hipcub16HIPCUB_304000_NS6detail27convert_result_type_wrapperISA_SB_N2at6native12_GLOBAL__N_19CustomMaxEEEEE10hipError_tPvRmT0_T1_jT2_SS_T4_T3_P12ihipStream_tbEUlT_E_NS1_11comp_targetILNS1_3genE3ELNS1_11target_archE908ELNS1_3gpuE7ELNS1_3repE0EEENS1_30default_config_static_selectorELNS0_4arch9wavefront6targetE0EEEvSR_,@function
_ZN7rocprim17ROCPRIM_400000_NS6detail17trampoline_kernelINS0_14default_configENS1_32segmented_reduce_config_selectorIN3c108BFloat16EEEZNS1_21segmented_reduce_implIS3_PKS6_PS6_PKiS6_N6hipcub16HIPCUB_304000_NS6detail27convert_result_type_wrapperISA_SB_N2at6native12_GLOBAL__N_19CustomMaxEEEEE10hipError_tPvRmT0_T1_jT2_SS_T4_T3_P12ihipStream_tbEUlT_E_NS1_11comp_targetILNS1_3genE3ELNS1_11target_archE908ELNS1_3gpuE7ELNS1_3repE0EEENS1_30default_config_static_selectorELNS0_4arch9wavefront6targetE0EEEvSR_: ; @_ZN7rocprim17ROCPRIM_400000_NS6detail17trampoline_kernelINS0_14default_configENS1_32segmented_reduce_config_selectorIN3c108BFloat16EEEZNS1_21segmented_reduce_implIS3_PKS6_PS6_PKiS6_N6hipcub16HIPCUB_304000_NS6detail27convert_result_type_wrapperISA_SB_N2at6native12_GLOBAL__N_19CustomMaxEEEEE10hipError_tPvRmT0_T1_jT2_SS_T4_T3_P12ihipStream_tbEUlT_E_NS1_11comp_targetILNS1_3genE3ELNS1_11target_archE908ELNS1_3gpuE7ELNS1_3repE0EEENS1_30default_config_static_selectorELNS0_4arch9wavefront6targetE0EEEvSR_
; %bb.0:
	.section	.rodata,"a",@progbits
	.p2align	6, 0x0
	.amdhsa_kernel _ZN7rocprim17ROCPRIM_400000_NS6detail17trampoline_kernelINS0_14default_configENS1_32segmented_reduce_config_selectorIN3c108BFloat16EEEZNS1_21segmented_reduce_implIS3_PKS6_PS6_PKiS6_N6hipcub16HIPCUB_304000_NS6detail27convert_result_type_wrapperISA_SB_N2at6native12_GLOBAL__N_19CustomMaxEEEEE10hipError_tPvRmT0_T1_jT2_SS_T4_T3_P12ihipStream_tbEUlT_E_NS1_11comp_targetILNS1_3genE3ELNS1_11target_archE908ELNS1_3gpuE7ELNS1_3repE0EEENS1_30default_config_static_selectorELNS0_4arch9wavefront6targetE0EEEvSR_
		.amdhsa_group_segment_fixed_size 0
		.amdhsa_private_segment_fixed_size 0
		.amdhsa_kernarg_size 48
		.amdhsa_user_sgpr_count 6
		.amdhsa_user_sgpr_private_segment_buffer 1
		.amdhsa_user_sgpr_dispatch_ptr 0
		.amdhsa_user_sgpr_queue_ptr 0
		.amdhsa_user_sgpr_kernarg_segment_ptr 1
		.amdhsa_user_sgpr_dispatch_id 0
		.amdhsa_user_sgpr_flat_scratch_init 0
		.amdhsa_user_sgpr_private_segment_size 0
		.amdhsa_wavefront_size32 1
		.amdhsa_uses_dynamic_stack 0
		.amdhsa_system_sgpr_private_segment_wavefront_offset 0
		.amdhsa_system_sgpr_workgroup_id_x 1
		.amdhsa_system_sgpr_workgroup_id_y 0
		.amdhsa_system_sgpr_workgroup_id_z 0
		.amdhsa_system_sgpr_workgroup_info 0
		.amdhsa_system_vgpr_workitem_id 0
		.amdhsa_next_free_vgpr 1
		.amdhsa_next_free_sgpr 1
		.amdhsa_reserve_vcc 0
		.amdhsa_reserve_flat_scratch 0
		.amdhsa_float_round_mode_32 0
		.amdhsa_float_round_mode_16_64 0
		.amdhsa_float_denorm_mode_32 3
		.amdhsa_float_denorm_mode_16_64 3
		.amdhsa_dx10_clamp 1
		.amdhsa_ieee_mode 1
		.amdhsa_fp16_overflow 0
		.amdhsa_workgroup_processor_mode 1
		.amdhsa_memory_ordered 1
		.amdhsa_forward_progress 1
		.amdhsa_shared_vgpr_count 0
		.amdhsa_exception_fp_ieee_invalid_op 0
		.amdhsa_exception_fp_denorm_src 0
		.amdhsa_exception_fp_ieee_div_zero 0
		.amdhsa_exception_fp_ieee_overflow 0
		.amdhsa_exception_fp_ieee_underflow 0
		.amdhsa_exception_fp_ieee_inexact 0
		.amdhsa_exception_int_div_zero 0
	.end_amdhsa_kernel
	.section	.text._ZN7rocprim17ROCPRIM_400000_NS6detail17trampoline_kernelINS0_14default_configENS1_32segmented_reduce_config_selectorIN3c108BFloat16EEEZNS1_21segmented_reduce_implIS3_PKS6_PS6_PKiS6_N6hipcub16HIPCUB_304000_NS6detail27convert_result_type_wrapperISA_SB_N2at6native12_GLOBAL__N_19CustomMaxEEEEE10hipError_tPvRmT0_T1_jT2_SS_T4_T3_P12ihipStream_tbEUlT_E_NS1_11comp_targetILNS1_3genE3ELNS1_11target_archE908ELNS1_3gpuE7ELNS1_3repE0EEENS1_30default_config_static_selectorELNS0_4arch9wavefront6targetE0EEEvSR_,"axG",@progbits,_ZN7rocprim17ROCPRIM_400000_NS6detail17trampoline_kernelINS0_14default_configENS1_32segmented_reduce_config_selectorIN3c108BFloat16EEEZNS1_21segmented_reduce_implIS3_PKS6_PS6_PKiS6_N6hipcub16HIPCUB_304000_NS6detail27convert_result_type_wrapperISA_SB_N2at6native12_GLOBAL__N_19CustomMaxEEEEE10hipError_tPvRmT0_T1_jT2_SS_T4_T3_P12ihipStream_tbEUlT_E_NS1_11comp_targetILNS1_3genE3ELNS1_11target_archE908ELNS1_3gpuE7ELNS1_3repE0EEENS1_30default_config_static_selectorELNS0_4arch9wavefront6targetE0EEEvSR_,comdat
.Lfunc_end115:
	.size	_ZN7rocprim17ROCPRIM_400000_NS6detail17trampoline_kernelINS0_14default_configENS1_32segmented_reduce_config_selectorIN3c108BFloat16EEEZNS1_21segmented_reduce_implIS3_PKS6_PS6_PKiS6_N6hipcub16HIPCUB_304000_NS6detail27convert_result_type_wrapperISA_SB_N2at6native12_GLOBAL__N_19CustomMaxEEEEE10hipError_tPvRmT0_T1_jT2_SS_T4_T3_P12ihipStream_tbEUlT_E_NS1_11comp_targetILNS1_3genE3ELNS1_11target_archE908ELNS1_3gpuE7ELNS1_3repE0EEENS1_30default_config_static_selectorELNS0_4arch9wavefront6targetE0EEEvSR_, .Lfunc_end115-_ZN7rocprim17ROCPRIM_400000_NS6detail17trampoline_kernelINS0_14default_configENS1_32segmented_reduce_config_selectorIN3c108BFloat16EEEZNS1_21segmented_reduce_implIS3_PKS6_PS6_PKiS6_N6hipcub16HIPCUB_304000_NS6detail27convert_result_type_wrapperISA_SB_N2at6native12_GLOBAL__N_19CustomMaxEEEEE10hipError_tPvRmT0_T1_jT2_SS_T4_T3_P12ihipStream_tbEUlT_E_NS1_11comp_targetILNS1_3genE3ELNS1_11target_archE908ELNS1_3gpuE7ELNS1_3repE0EEENS1_30default_config_static_selectorELNS0_4arch9wavefront6targetE0EEEvSR_
                                        ; -- End function
	.set _ZN7rocprim17ROCPRIM_400000_NS6detail17trampoline_kernelINS0_14default_configENS1_32segmented_reduce_config_selectorIN3c108BFloat16EEEZNS1_21segmented_reduce_implIS3_PKS6_PS6_PKiS6_N6hipcub16HIPCUB_304000_NS6detail27convert_result_type_wrapperISA_SB_N2at6native12_GLOBAL__N_19CustomMaxEEEEE10hipError_tPvRmT0_T1_jT2_SS_T4_T3_P12ihipStream_tbEUlT_E_NS1_11comp_targetILNS1_3genE3ELNS1_11target_archE908ELNS1_3gpuE7ELNS1_3repE0EEENS1_30default_config_static_selectorELNS0_4arch9wavefront6targetE0EEEvSR_.num_vgpr, 0
	.set _ZN7rocprim17ROCPRIM_400000_NS6detail17trampoline_kernelINS0_14default_configENS1_32segmented_reduce_config_selectorIN3c108BFloat16EEEZNS1_21segmented_reduce_implIS3_PKS6_PS6_PKiS6_N6hipcub16HIPCUB_304000_NS6detail27convert_result_type_wrapperISA_SB_N2at6native12_GLOBAL__N_19CustomMaxEEEEE10hipError_tPvRmT0_T1_jT2_SS_T4_T3_P12ihipStream_tbEUlT_E_NS1_11comp_targetILNS1_3genE3ELNS1_11target_archE908ELNS1_3gpuE7ELNS1_3repE0EEENS1_30default_config_static_selectorELNS0_4arch9wavefront6targetE0EEEvSR_.num_agpr, 0
	.set _ZN7rocprim17ROCPRIM_400000_NS6detail17trampoline_kernelINS0_14default_configENS1_32segmented_reduce_config_selectorIN3c108BFloat16EEEZNS1_21segmented_reduce_implIS3_PKS6_PS6_PKiS6_N6hipcub16HIPCUB_304000_NS6detail27convert_result_type_wrapperISA_SB_N2at6native12_GLOBAL__N_19CustomMaxEEEEE10hipError_tPvRmT0_T1_jT2_SS_T4_T3_P12ihipStream_tbEUlT_E_NS1_11comp_targetILNS1_3genE3ELNS1_11target_archE908ELNS1_3gpuE7ELNS1_3repE0EEENS1_30default_config_static_selectorELNS0_4arch9wavefront6targetE0EEEvSR_.numbered_sgpr, 0
	.set _ZN7rocprim17ROCPRIM_400000_NS6detail17trampoline_kernelINS0_14default_configENS1_32segmented_reduce_config_selectorIN3c108BFloat16EEEZNS1_21segmented_reduce_implIS3_PKS6_PS6_PKiS6_N6hipcub16HIPCUB_304000_NS6detail27convert_result_type_wrapperISA_SB_N2at6native12_GLOBAL__N_19CustomMaxEEEEE10hipError_tPvRmT0_T1_jT2_SS_T4_T3_P12ihipStream_tbEUlT_E_NS1_11comp_targetILNS1_3genE3ELNS1_11target_archE908ELNS1_3gpuE7ELNS1_3repE0EEENS1_30default_config_static_selectorELNS0_4arch9wavefront6targetE0EEEvSR_.num_named_barrier, 0
	.set _ZN7rocprim17ROCPRIM_400000_NS6detail17trampoline_kernelINS0_14default_configENS1_32segmented_reduce_config_selectorIN3c108BFloat16EEEZNS1_21segmented_reduce_implIS3_PKS6_PS6_PKiS6_N6hipcub16HIPCUB_304000_NS6detail27convert_result_type_wrapperISA_SB_N2at6native12_GLOBAL__N_19CustomMaxEEEEE10hipError_tPvRmT0_T1_jT2_SS_T4_T3_P12ihipStream_tbEUlT_E_NS1_11comp_targetILNS1_3genE3ELNS1_11target_archE908ELNS1_3gpuE7ELNS1_3repE0EEENS1_30default_config_static_selectorELNS0_4arch9wavefront6targetE0EEEvSR_.private_seg_size, 0
	.set _ZN7rocprim17ROCPRIM_400000_NS6detail17trampoline_kernelINS0_14default_configENS1_32segmented_reduce_config_selectorIN3c108BFloat16EEEZNS1_21segmented_reduce_implIS3_PKS6_PS6_PKiS6_N6hipcub16HIPCUB_304000_NS6detail27convert_result_type_wrapperISA_SB_N2at6native12_GLOBAL__N_19CustomMaxEEEEE10hipError_tPvRmT0_T1_jT2_SS_T4_T3_P12ihipStream_tbEUlT_E_NS1_11comp_targetILNS1_3genE3ELNS1_11target_archE908ELNS1_3gpuE7ELNS1_3repE0EEENS1_30default_config_static_selectorELNS0_4arch9wavefront6targetE0EEEvSR_.uses_vcc, 0
	.set _ZN7rocprim17ROCPRIM_400000_NS6detail17trampoline_kernelINS0_14default_configENS1_32segmented_reduce_config_selectorIN3c108BFloat16EEEZNS1_21segmented_reduce_implIS3_PKS6_PS6_PKiS6_N6hipcub16HIPCUB_304000_NS6detail27convert_result_type_wrapperISA_SB_N2at6native12_GLOBAL__N_19CustomMaxEEEEE10hipError_tPvRmT0_T1_jT2_SS_T4_T3_P12ihipStream_tbEUlT_E_NS1_11comp_targetILNS1_3genE3ELNS1_11target_archE908ELNS1_3gpuE7ELNS1_3repE0EEENS1_30default_config_static_selectorELNS0_4arch9wavefront6targetE0EEEvSR_.uses_flat_scratch, 0
	.set _ZN7rocprim17ROCPRIM_400000_NS6detail17trampoline_kernelINS0_14default_configENS1_32segmented_reduce_config_selectorIN3c108BFloat16EEEZNS1_21segmented_reduce_implIS3_PKS6_PS6_PKiS6_N6hipcub16HIPCUB_304000_NS6detail27convert_result_type_wrapperISA_SB_N2at6native12_GLOBAL__N_19CustomMaxEEEEE10hipError_tPvRmT0_T1_jT2_SS_T4_T3_P12ihipStream_tbEUlT_E_NS1_11comp_targetILNS1_3genE3ELNS1_11target_archE908ELNS1_3gpuE7ELNS1_3repE0EEENS1_30default_config_static_selectorELNS0_4arch9wavefront6targetE0EEEvSR_.has_dyn_sized_stack, 0
	.set _ZN7rocprim17ROCPRIM_400000_NS6detail17trampoline_kernelINS0_14default_configENS1_32segmented_reduce_config_selectorIN3c108BFloat16EEEZNS1_21segmented_reduce_implIS3_PKS6_PS6_PKiS6_N6hipcub16HIPCUB_304000_NS6detail27convert_result_type_wrapperISA_SB_N2at6native12_GLOBAL__N_19CustomMaxEEEEE10hipError_tPvRmT0_T1_jT2_SS_T4_T3_P12ihipStream_tbEUlT_E_NS1_11comp_targetILNS1_3genE3ELNS1_11target_archE908ELNS1_3gpuE7ELNS1_3repE0EEENS1_30default_config_static_selectorELNS0_4arch9wavefront6targetE0EEEvSR_.has_recursion, 0
	.set _ZN7rocprim17ROCPRIM_400000_NS6detail17trampoline_kernelINS0_14default_configENS1_32segmented_reduce_config_selectorIN3c108BFloat16EEEZNS1_21segmented_reduce_implIS3_PKS6_PS6_PKiS6_N6hipcub16HIPCUB_304000_NS6detail27convert_result_type_wrapperISA_SB_N2at6native12_GLOBAL__N_19CustomMaxEEEEE10hipError_tPvRmT0_T1_jT2_SS_T4_T3_P12ihipStream_tbEUlT_E_NS1_11comp_targetILNS1_3genE3ELNS1_11target_archE908ELNS1_3gpuE7ELNS1_3repE0EEENS1_30default_config_static_selectorELNS0_4arch9wavefront6targetE0EEEvSR_.has_indirect_call, 0
	.section	.AMDGPU.csdata,"",@progbits
; Kernel info:
; codeLenInByte = 0
; TotalNumSgprs: 0
; NumVgprs: 0
; ScratchSize: 0
; MemoryBound: 0
; FloatMode: 240
; IeeeMode: 1
; LDSByteSize: 0 bytes/workgroup (compile time only)
; SGPRBlocks: 0
; VGPRBlocks: 0
; NumSGPRsForWavesPerEU: 1
; NumVGPRsForWavesPerEU: 1
; Occupancy: 16
; WaveLimiterHint : 0
; COMPUTE_PGM_RSRC2:SCRATCH_EN: 0
; COMPUTE_PGM_RSRC2:USER_SGPR: 6
; COMPUTE_PGM_RSRC2:TRAP_HANDLER: 0
; COMPUTE_PGM_RSRC2:TGID_X_EN: 1
; COMPUTE_PGM_RSRC2:TGID_Y_EN: 0
; COMPUTE_PGM_RSRC2:TGID_Z_EN: 0
; COMPUTE_PGM_RSRC2:TIDIG_COMP_CNT: 0
	.section	.text._ZN7rocprim17ROCPRIM_400000_NS6detail17trampoline_kernelINS0_14default_configENS1_32segmented_reduce_config_selectorIN3c108BFloat16EEEZNS1_21segmented_reduce_implIS3_PKS6_PS6_PKiS6_N6hipcub16HIPCUB_304000_NS6detail27convert_result_type_wrapperISA_SB_N2at6native12_GLOBAL__N_19CustomMaxEEEEE10hipError_tPvRmT0_T1_jT2_SS_T4_T3_P12ihipStream_tbEUlT_E_NS1_11comp_targetILNS1_3genE2ELNS1_11target_archE906ELNS1_3gpuE6ELNS1_3repE0EEENS1_30default_config_static_selectorELNS0_4arch9wavefront6targetE0EEEvSR_,"axG",@progbits,_ZN7rocprim17ROCPRIM_400000_NS6detail17trampoline_kernelINS0_14default_configENS1_32segmented_reduce_config_selectorIN3c108BFloat16EEEZNS1_21segmented_reduce_implIS3_PKS6_PS6_PKiS6_N6hipcub16HIPCUB_304000_NS6detail27convert_result_type_wrapperISA_SB_N2at6native12_GLOBAL__N_19CustomMaxEEEEE10hipError_tPvRmT0_T1_jT2_SS_T4_T3_P12ihipStream_tbEUlT_E_NS1_11comp_targetILNS1_3genE2ELNS1_11target_archE906ELNS1_3gpuE6ELNS1_3repE0EEENS1_30default_config_static_selectorELNS0_4arch9wavefront6targetE0EEEvSR_,comdat
	.globl	_ZN7rocprim17ROCPRIM_400000_NS6detail17trampoline_kernelINS0_14default_configENS1_32segmented_reduce_config_selectorIN3c108BFloat16EEEZNS1_21segmented_reduce_implIS3_PKS6_PS6_PKiS6_N6hipcub16HIPCUB_304000_NS6detail27convert_result_type_wrapperISA_SB_N2at6native12_GLOBAL__N_19CustomMaxEEEEE10hipError_tPvRmT0_T1_jT2_SS_T4_T3_P12ihipStream_tbEUlT_E_NS1_11comp_targetILNS1_3genE2ELNS1_11target_archE906ELNS1_3gpuE6ELNS1_3repE0EEENS1_30default_config_static_selectorELNS0_4arch9wavefront6targetE0EEEvSR_ ; -- Begin function _ZN7rocprim17ROCPRIM_400000_NS6detail17trampoline_kernelINS0_14default_configENS1_32segmented_reduce_config_selectorIN3c108BFloat16EEEZNS1_21segmented_reduce_implIS3_PKS6_PS6_PKiS6_N6hipcub16HIPCUB_304000_NS6detail27convert_result_type_wrapperISA_SB_N2at6native12_GLOBAL__N_19CustomMaxEEEEE10hipError_tPvRmT0_T1_jT2_SS_T4_T3_P12ihipStream_tbEUlT_E_NS1_11comp_targetILNS1_3genE2ELNS1_11target_archE906ELNS1_3gpuE6ELNS1_3repE0EEENS1_30default_config_static_selectorELNS0_4arch9wavefront6targetE0EEEvSR_
	.p2align	8
	.type	_ZN7rocprim17ROCPRIM_400000_NS6detail17trampoline_kernelINS0_14default_configENS1_32segmented_reduce_config_selectorIN3c108BFloat16EEEZNS1_21segmented_reduce_implIS3_PKS6_PS6_PKiS6_N6hipcub16HIPCUB_304000_NS6detail27convert_result_type_wrapperISA_SB_N2at6native12_GLOBAL__N_19CustomMaxEEEEE10hipError_tPvRmT0_T1_jT2_SS_T4_T3_P12ihipStream_tbEUlT_E_NS1_11comp_targetILNS1_3genE2ELNS1_11target_archE906ELNS1_3gpuE6ELNS1_3repE0EEENS1_30default_config_static_selectorELNS0_4arch9wavefront6targetE0EEEvSR_,@function
_ZN7rocprim17ROCPRIM_400000_NS6detail17trampoline_kernelINS0_14default_configENS1_32segmented_reduce_config_selectorIN3c108BFloat16EEEZNS1_21segmented_reduce_implIS3_PKS6_PS6_PKiS6_N6hipcub16HIPCUB_304000_NS6detail27convert_result_type_wrapperISA_SB_N2at6native12_GLOBAL__N_19CustomMaxEEEEE10hipError_tPvRmT0_T1_jT2_SS_T4_T3_P12ihipStream_tbEUlT_E_NS1_11comp_targetILNS1_3genE2ELNS1_11target_archE906ELNS1_3gpuE6ELNS1_3repE0EEENS1_30default_config_static_selectorELNS0_4arch9wavefront6targetE0EEEvSR_: ; @_ZN7rocprim17ROCPRIM_400000_NS6detail17trampoline_kernelINS0_14default_configENS1_32segmented_reduce_config_selectorIN3c108BFloat16EEEZNS1_21segmented_reduce_implIS3_PKS6_PS6_PKiS6_N6hipcub16HIPCUB_304000_NS6detail27convert_result_type_wrapperISA_SB_N2at6native12_GLOBAL__N_19CustomMaxEEEEE10hipError_tPvRmT0_T1_jT2_SS_T4_T3_P12ihipStream_tbEUlT_E_NS1_11comp_targetILNS1_3genE2ELNS1_11target_archE906ELNS1_3gpuE6ELNS1_3repE0EEENS1_30default_config_static_selectorELNS0_4arch9wavefront6targetE0EEEvSR_
; %bb.0:
	.section	.rodata,"a",@progbits
	.p2align	6, 0x0
	.amdhsa_kernel _ZN7rocprim17ROCPRIM_400000_NS6detail17trampoline_kernelINS0_14default_configENS1_32segmented_reduce_config_selectorIN3c108BFloat16EEEZNS1_21segmented_reduce_implIS3_PKS6_PS6_PKiS6_N6hipcub16HIPCUB_304000_NS6detail27convert_result_type_wrapperISA_SB_N2at6native12_GLOBAL__N_19CustomMaxEEEEE10hipError_tPvRmT0_T1_jT2_SS_T4_T3_P12ihipStream_tbEUlT_E_NS1_11comp_targetILNS1_3genE2ELNS1_11target_archE906ELNS1_3gpuE6ELNS1_3repE0EEENS1_30default_config_static_selectorELNS0_4arch9wavefront6targetE0EEEvSR_
		.amdhsa_group_segment_fixed_size 0
		.amdhsa_private_segment_fixed_size 0
		.amdhsa_kernarg_size 48
		.amdhsa_user_sgpr_count 6
		.amdhsa_user_sgpr_private_segment_buffer 1
		.amdhsa_user_sgpr_dispatch_ptr 0
		.amdhsa_user_sgpr_queue_ptr 0
		.amdhsa_user_sgpr_kernarg_segment_ptr 1
		.amdhsa_user_sgpr_dispatch_id 0
		.amdhsa_user_sgpr_flat_scratch_init 0
		.amdhsa_user_sgpr_private_segment_size 0
		.amdhsa_wavefront_size32 1
		.amdhsa_uses_dynamic_stack 0
		.amdhsa_system_sgpr_private_segment_wavefront_offset 0
		.amdhsa_system_sgpr_workgroup_id_x 1
		.amdhsa_system_sgpr_workgroup_id_y 0
		.amdhsa_system_sgpr_workgroup_id_z 0
		.amdhsa_system_sgpr_workgroup_info 0
		.amdhsa_system_vgpr_workitem_id 0
		.amdhsa_next_free_vgpr 1
		.amdhsa_next_free_sgpr 1
		.amdhsa_reserve_vcc 0
		.amdhsa_reserve_flat_scratch 0
		.amdhsa_float_round_mode_32 0
		.amdhsa_float_round_mode_16_64 0
		.amdhsa_float_denorm_mode_32 3
		.amdhsa_float_denorm_mode_16_64 3
		.amdhsa_dx10_clamp 1
		.amdhsa_ieee_mode 1
		.amdhsa_fp16_overflow 0
		.amdhsa_workgroup_processor_mode 1
		.amdhsa_memory_ordered 1
		.amdhsa_forward_progress 1
		.amdhsa_shared_vgpr_count 0
		.amdhsa_exception_fp_ieee_invalid_op 0
		.amdhsa_exception_fp_denorm_src 0
		.amdhsa_exception_fp_ieee_div_zero 0
		.amdhsa_exception_fp_ieee_overflow 0
		.amdhsa_exception_fp_ieee_underflow 0
		.amdhsa_exception_fp_ieee_inexact 0
		.amdhsa_exception_int_div_zero 0
	.end_amdhsa_kernel
	.section	.text._ZN7rocprim17ROCPRIM_400000_NS6detail17trampoline_kernelINS0_14default_configENS1_32segmented_reduce_config_selectorIN3c108BFloat16EEEZNS1_21segmented_reduce_implIS3_PKS6_PS6_PKiS6_N6hipcub16HIPCUB_304000_NS6detail27convert_result_type_wrapperISA_SB_N2at6native12_GLOBAL__N_19CustomMaxEEEEE10hipError_tPvRmT0_T1_jT2_SS_T4_T3_P12ihipStream_tbEUlT_E_NS1_11comp_targetILNS1_3genE2ELNS1_11target_archE906ELNS1_3gpuE6ELNS1_3repE0EEENS1_30default_config_static_selectorELNS0_4arch9wavefront6targetE0EEEvSR_,"axG",@progbits,_ZN7rocprim17ROCPRIM_400000_NS6detail17trampoline_kernelINS0_14default_configENS1_32segmented_reduce_config_selectorIN3c108BFloat16EEEZNS1_21segmented_reduce_implIS3_PKS6_PS6_PKiS6_N6hipcub16HIPCUB_304000_NS6detail27convert_result_type_wrapperISA_SB_N2at6native12_GLOBAL__N_19CustomMaxEEEEE10hipError_tPvRmT0_T1_jT2_SS_T4_T3_P12ihipStream_tbEUlT_E_NS1_11comp_targetILNS1_3genE2ELNS1_11target_archE906ELNS1_3gpuE6ELNS1_3repE0EEENS1_30default_config_static_selectorELNS0_4arch9wavefront6targetE0EEEvSR_,comdat
.Lfunc_end116:
	.size	_ZN7rocprim17ROCPRIM_400000_NS6detail17trampoline_kernelINS0_14default_configENS1_32segmented_reduce_config_selectorIN3c108BFloat16EEEZNS1_21segmented_reduce_implIS3_PKS6_PS6_PKiS6_N6hipcub16HIPCUB_304000_NS6detail27convert_result_type_wrapperISA_SB_N2at6native12_GLOBAL__N_19CustomMaxEEEEE10hipError_tPvRmT0_T1_jT2_SS_T4_T3_P12ihipStream_tbEUlT_E_NS1_11comp_targetILNS1_3genE2ELNS1_11target_archE906ELNS1_3gpuE6ELNS1_3repE0EEENS1_30default_config_static_selectorELNS0_4arch9wavefront6targetE0EEEvSR_, .Lfunc_end116-_ZN7rocprim17ROCPRIM_400000_NS6detail17trampoline_kernelINS0_14default_configENS1_32segmented_reduce_config_selectorIN3c108BFloat16EEEZNS1_21segmented_reduce_implIS3_PKS6_PS6_PKiS6_N6hipcub16HIPCUB_304000_NS6detail27convert_result_type_wrapperISA_SB_N2at6native12_GLOBAL__N_19CustomMaxEEEEE10hipError_tPvRmT0_T1_jT2_SS_T4_T3_P12ihipStream_tbEUlT_E_NS1_11comp_targetILNS1_3genE2ELNS1_11target_archE906ELNS1_3gpuE6ELNS1_3repE0EEENS1_30default_config_static_selectorELNS0_4arch9wavefront6targetE0EEEvSR_
                                        ; -- End function
	.set _ZN7rocprim17ROCPRIM_400000_NS6detail17trampoline_kernelINS0_14default_configENS1_32segmented_reduce_config_selectorIN3c108BFloat16EEEZNS1_21segmented_reduce_implIS3_PKS6_PS6_PKiS6_N6hipcub16HIPCUB_304000_NS6detail27convert_result_type_wrapperISA_SB_N2at6native12_GLOBAL__N_19CustomMaxEEEEE10hipError_tPvRmT0_T1_jT2_SS_T4_T3_P12ihipStream_tbEUlT_E_NS1_11comp_targetILNS1_3genE2ELNS1_11target_archE906ELNS1_3gpuE6ELNS1_3repE0EEENS1_30default_config_static_selectorELNS0_4arch9wavefront6targetE0EEEvSR_.num_vgpr, 0
	.set _ZN7rocprim17ROCPRIM_400000_NS6detail17trampoline_kernelINS0_14default_configENS1_32segmented_reduce_config_selectorIN3c108BFloat16EEEZNS1_21segmented_reduce_implIS3_PKS6_PS6_PKiS6_N6hipcub16HIPCUB_304000_NS6detail27convert_result_type_wrapperISA_SB_N2at6native12_GLOBAL__N_19CustomMaxEEEEE10hipError_tPvRmT0_T1_jT2_SS_T4_T3_P12ihipStream_tbEUlT_E_NS1_11comp_targetILNS1_3genE2ELNS1_11target_archE906ELNS1_3gpuE6ELNS1_3repE0EEENS1_30default_config_static_selectorELNS0_4arch9wavefront6targetE0EEEvSR_.num_agpr, 0
	.set _ZN7rocprim17ROCPRIM_400000_NS6detail17trampoline_kernelINS0_14default_configENS1_32segmented_reduce_config_selectorIN3c108BFloat16EEEZNS1_21segmented_reduce_implIS3_PKS6_PS6_PKiS6_N6hipcub16HIPCUB_304000_NS6detail27convert_result_type_wrapperISA_SB_N2at6native12_GLOBAL__N_19CustomMaxEEEEE10hipError_tPvRmT0_T1_jT2_SS_T4_T3_P12ihipStream_tbEUlT_E_NS1_11comp_targetILNS1_3genE2ELNS1_11target_archE906ELNS1_3gpuE6ELNS1_3repE0EEENS1_30default_config_static_selectorELNS0_4arch9wavefront6targetE0EEEvSR_.numbered_sgpr, 0
	.set _ZN7rocprim17ROCPRIM_400000_NS6detail17trampoline_kernelINS0_14default_configENS1_32segmented_reduce_config_selectorIN3c108BFloat16EEEZNS1_21segmented_reduce_implIS3_PKS6_PS6_PKiS6_N6hipcub16HIPCUB_304000_NS6detail27convert_result_type_wrapperISA_SB_N2at6native12_GLOBAL__N_19CustomMaxEEEEE10hipError_tPvRmT0_T1_jT2_SS_T4_T3_P12ihipStream_tbEUlT_E_NS1_11comp_targetILNS1_3genE2ELNS1_11target_archE906ELNS1_3gpuE6ELNS1_3repE0EEENS1_30default_config_static_selectorELNS0_4arch9wavefront6targetE0EEEvSR_.num_named_barrier, 0
	.set _ZN7rocprim17ROCPRIM_400000_NS6detail17trampoline_kernelINS0_14default_configENS1_32segmented_reduce_config_selectorIN3c108BFloat16EEEZNS1_21segmented_reduce_implIS3_PKS6_PS6_PKiS6_N6hipcub16HIPCUB_304000_NS6detail27convert_result_type_wrapperISA_SB_N2at6native12_GLOBAL__N_19CustomMaxEEEEE10hipError_tPvRmT0_T1_jT2_SS_T4_T3_P12ihipStream_tbEUlT_E_NS1_11comp_targetILNS1_3genE2ELNS1_11target_archE906ELNS1_3gpuE6ELNS1_3repE0EEENS1_30default_config_static_selectorELNS0_4arch9wavefront6targetE0EEEvSR_.private_seg_size, 0
	.set _ZN7rocprim17ROCPRIM_400000_NS6detail17trampoline_kernelINS0_14default_configENS1_32segmented_reduce_config_selectorIN3c108BFloat16EEEZNS1_21segmented_reduce_implIS3_PKS6_PS6_PKiS6_N6hipcub16HIPCUB_304000_NS6detail27convert_result_type_wrapperISA_SB_N2at6native12_GLOBAL__N_19CustomMaxEEEEE10hipError_tPvRmT0_T1_jT2_SS_T4_T3_P12ihipStream_tbEUlT_E_NS1_11comp_targetILNS1_3genE2ELNS1_11target_archE906ELNS1_3gpuE6ELNS1_3repE0EEENS1_30default_config_static_selectorELNS0_4arch9wavefront6targetE0EEEvSR_.uses_vcc, 0
	.set _ZN7rocprim17ROCPRIM_400000_NS6detail17trampoline_kernelINS0_14default_configENS1_32segmented_reduce_config_selectorIN3c108BFloat16EEEZNS1_21segmented_reduce_implIS3_PKS6_PS6_PKiS6_N6hipcub16HIPCUB_304000_NS6detail27convert_result_type_wrapperISA_SB_N2at6native12_GLOBAL__N_19CustomMaxEEEEE10hipError_tPvRmT0_T1_jT2_SS_T4_T3_P12ihipStream_tbEUlT_E_NS1_11comp_targetILNS1_3genE2ELNS1_11target_archE906ELNS1_3gpuE6ELNS1_3repE0EEENS1_30default_config_static_selectorELNS0_4arch9wavefront6targetE0EEEvSR_.uses_flat_scratch, 0
	.set _ZN7rocprim17ROCPRIM_400000_NS6detail17trampoline_kernelINS0_14default_configENS1_32segmented_reduce_config_selectorIN3c108BFloat16EEEZNS1_21segmented_reduce_implIS3_PKS6_PS6_PKiS6_N6hipcub16HIPCUB_304000_NS6detail27convert_result_type_wrapperISA_SB_N2at6native12_GLOBAL__N_19CustomMaxEEEEE10hipError_tPvRmT0_T1_jT2_SS_T4_T3_P12ihipStream_tbEUlT_E_NS1_11comp_targetILNS1_3genE2ELNS1_11target_archE906ELNS1_3gpuE6ELNS1_3repE0EEENS1_30default_config_static_selectorELNS0_4arch9wavefront6targetE0EEEvSR_.has_dyn_sized_stack, 0
	.set _ZN7rocprim17ROCPRIM_400000_NS6detail17trampoline_kernelINS0_14default_configENS1_32segmented_reduce_config_selectorIN3c108BFloat16EEEZNS1_21segmented_reduce_implIS3_PKS6_PS6_PKiS6_N6hipcub16HIPCUB_304000_NS6detail27convert_result_type_wrapperISA_SB_N2at6native12_GLOBAL__N_19CustomMaxEEEEE10hipError_tPvRmT0_T1_jT2_SS_T4_T3_P12ihipStream_tbEUlT_E_NS1_11comp_targetILNS1_3genE2ELNS1_11target_archE906ELNS1_3gpuE6ELNS1_3repE0EEENS1_30default_config_static_selectorELNS0_4arch9wavefront6targetE0EEEvSR_.has_recursion, 0
	.set _ZN7rocprim17ROCPRIM_400000_NS6detail17trampoline_kernelINS0_14default_configENS1_32segmented_reduce_config_selectorIN3c108BFloat16EEEZNS1_21segmented_reduce_implIS3_PKS6_PS6_PKiS6_N6hipcub16HIPCUB_304000_NS6detail27convert_result_type_wrapperISA_SB_N2at6native12_GLOBAL__N_19CustomMaxEEEEE10hipError_tPvRmT0_T1_jT2_SS_T4_T3_P12ihipStream_tbEUlT_E_NS1_11comp_targetILNS1_3genE2ELNS1_11target_archE906ELNS1_3gpuE6ELNS1_3repE0EEENS1_30default_config_static_selectorELNS0_4arch9wavefront6targetE0EEEvSR_.has_indirect_call, 0
	.section	.AMDGPU.csdata,"",@progbits
; Kernel info:
; codeLenInByte = 0
; TotalNumSgprs: 0
; NumVgprs: 0
; ScratchSize: 0
; MemoryBound: 0
; FloatMode: 240
; IeeeMode: 1
; LDSByteSize: 0 bytes/workgroup (compile time only)
; SGPRBlocks: 0
; VGPRBlocks: 0
; NumSGPRsForWavesPerEU: 1
; NumVGPRsForWavesPerEU: 1
; Occupancy: 16
; WaveLimiterHint : 0
; COMPUTE_PGM_RSRC2:SCRATCH_EN: 0
; COMPUTE_PGM_RSRC2:USER_SGPR: 6
; COMPUTE_PGM_RSRC2:TRAP_HANDLER: 0
; COMPUTE_PGM_RSRC2:TGID_X_EN: 1
; COMPUTE_PGM_RSRC2:TGID_Y_EN: 0
; COMPUTE_PGM_RSRC2:TGID_Z_EN: 0
; COMPUTE_PGM_RSRC2:TIDIG_COMP_CNT: 0
	.section	.text._ZN7rocprim17ROCPRIM_400000_NS6detail17trampoline_kernelINS0_14default_configENS1_32segmented_reduce_config_selectorIN3c108BFloat16EEEZNS1_21segmented_reduce_implIS3_PKS6_PS6_PKiS6_N6hipcub16HIPCUB_304000_NS6detail27convert_result_type_wrapperISA_SB_N2at6native12_GLOBAL__N_19CustomMaxEEEEE10hipError_tPvRmT0_T1_jT2_SS_T4_T3_P12ihipStream_tbEUlT_E_NS1_11comp_targetILNS1_3genE9ELNS1_11target_archE1100ELNS1_3gpuE3ELNS1_3repE0EEENS1_30default_config_static_selectorELNS0_4arch9wavefront6targetE0EEEvSR_,"axG",@progbits,_ZN7rocprim17ROCPRIM_400000_NS6detail17trampoline_kernelINS0_14default_configENS1_32segmented_reduce_config_selectorIN3c108BFloat16EEEZNS1_21segmented_reduce_implIS3_PKS6_PS6_PKiS6_N6hipcub16HIPCUB_304000_NS6detail27convert_result_type_wrapperISA_SB_N2at6native12_GLOBAL__N_19CustomMaxEEEEE10hipError_tPvRmT0_T1_jT2_SS_T4_T3_P12ihipStream_tbEUlT_E_NS1_11comp_targetILNS1_3genE9ELNS1_11target_archE1100ELNS1_3gpuE3ELNS1_3repE0EEENS1_30default_config_static_selectorELNS0_4arch9wavefront6targetE0EEEvSR_,comdat
	.globl	_ZN7rocprim17ROCPRIM_400000_NS6detail17trampoline_kernelINS0_14default_configENS1_32segmented_reduce_config_selectorIN3c108BFloat16EEEZNS1_21segmented_reduce_implIS3_PKS6_PS6_PKiS6_N6hipcub16HIPCUB_304000_NS6detail27convert_result_type_wrapperISA_SB_N2at6native12_GLOBAL__N_19CustomMaxEEEEE10hipError_tPvRmT0_T1_jT2_SS_T4_T3_P12ihipStream_tbEUlT_E_NS1_11comp_targetILNS1_3genE9ELNS1_11target_archE1100ELNS1_3gpuE3ELNS1_3repE0EEENS1_30default_config_static_selectorELNS0_4arch9wavefront6targetE0EEEvSR_ ; -- Begin function _ZN7rocprim17ROCPRIM_400000_NS6detail17trampoline_kernelINS0_14default_configENS1_32segmented_reduce_config_selectorIN3c108BFloat16EEEZNS1_21segmented_reduce_implIS3_PKS6_PS6_PKiS6_N6hipcub16HIPCUB_304000_NS6detail27convert_result_type_wrapperISA_SB_N2at6native12_GLOBAL__N_19CustomMaxEEEEE10hipError_tPvRmT0_T1_jT2_SS_T4_T3_P12ihipStream_tbEUlT_E_NS1_11comp_targetILNS1_3genE9ELNS1_11target_archE1100ELNS1_3gpuE3ELNS1_3repE0EEENS1_30default_config_static_selectorELNS0_4arch9wavefront6targetE0EEEvSR_
	.p2align	8
	.type	_ZN7rocprim17ROCPRIM_400000_NS6detail17trampoline_kernelINS0_14default_configENS1_32segmented_reduce_config_selectorIN3c108BFloat16EEEZNS1_21segmented_reduce_implIS3_PKS6_PS6_PKiS6_N6hipcub16HIPCUB_304000_NS6detail27convert_result_type_wrapperISA_SB_N2at6native12_GLOBAL__N_19CustomMaxEEEEE10hipError_tPvRmT0_T1_jT2_SS_T4_T3_P12ihipStream_tbEUlT_E_NS1_11comp_targetILNS1_3genE9ELNS1_11target_archE1100ELNS1_3gpuE3ELNS1_3repE0EEENS1_30default_config_static_selectorELNS0_4arch9wavefront6targetE0EEEvSR_,@function
_ZN7rocprim17ROCPRIM_400000_NS6detail17trampoline_kernelINS0_14default_configENS1_32segmented_reduce_config_selectorIN3c108BFloat16EEEZNS1_21segmented_reduce_implIS3_PKS6_PS6_PKiS6_N6hipcub16HIPCUB_304000_NS6detail27convert_result_type_wrapperISA_SB_N2at6native12_GLOBAL__N_19CustomMaxEEEEE10hipError_tPvRmT0_T1_jT2_SS_T4_T3_P12ihipStream_tbEUlT_E_NS1_11comp_targetILNS1_3genE9ELNS1_11target_archE1100ELNS1_3gpuE3ELNS1_3repE0EEENS1_30default_config_static_selectorELNS0_4arch9wavefront6targetE0EEEvSR_: ; @_ZN7rocprim17ROCPRIM_400000_NS6detail17trampoline_kernelINS0_14default_configENS1_32segmented_reduce_config_selectorIN3c108BFloat16EEEZNS1_21segmented_reduce_implIS3_PKS6_PS6_PKiS6_N6hipcub16HIPCUB_304000_NS6detail27convert_result_type_wrapperISA_SB_N2at6native12_GLOBAL__N_19CustomMaxEEEEE10hipError_tPvRmT0_T1_jT2_SS_T4_T3_P12ihipStream_tbEUlT_E_NS1_11comp_targetILNS1_3genE9ELNS1_11target_archE1100ELNS1_3gpuE3ELNS1_3repE0EEENS1_30default_config_static_selectorELNS0_4arch9wavefront6targetE0EEEvSR_
; %bb.0:
	.section	.rodata,"a",@progbits
	.p2align	6, 0x0
	.amdhsa_kernel _ZN7rocprim17ROCPRIM_400000_NS6detail17trampoline_kernelINS0_14default_configENS1_32segmented_reduce_config_selectorIN3c108BFloat16EEEZNS1_21segmented_reduce_implIS3_PKS6_PS6_PKiS6_N6hipcub16HIPCUB_304000_NS6detail27convert_result_type_wrapperISA_SB_N2at6native12_GLOBAL__N_19CustomMaxEEEEE10hipError_tPvRmT0_T1_jT2_SS_T4_T3_P12ihipStream_tbEUlT_E_NS1_11comp_targetILNS1_3genE9ELNS1_11target_archE1100ELNS1_3gpuE3ELNS1_3repE0EEENS1_30default_config_static_selectorELNS0_4arch9wavefront6targetE0EEEvSR_
		.amdhsa_group_segment_fixed_size 0
		.amdhsa_private_segment_fixed_size 0
		.amdhsa_kernarg_size 48
		.amdhsa_user_sgpr_count 6
		.amdhsa_user_sgpr_private_segment_buffer 1
		.amdhsa_user_sgpr_dispatch_ptr 0
		.amdhsa_user_sgpr_queue_ptr 0
		.amdhsa_user_sgpr_kernarg_segment_ptr 1
		.amdhsa_user_sgpr_dispatch_id 0
		.amdhsa_user_sgpr_flat_scratch_init 0
		.amdhsa_user_sgpr_private_segment_size 0
		.amdhsa_wavefront_size32 1
		.amdhsa_uses_dynamic_stack 0
		.amdhsa_system_sgpr_private_segment_wavefront_offset 0
		.amdhsa_system_sgpr_workgroup_id_x 1
		.amdhsa_system_sgpr_workgroup_id_y 0
		.amdhsa_system_sgpr_workgroup_id_z 0
		.amdhsa_system_sgpr_workgroup_info 0
		.amdhsa_system_vgpr_workitem_id 0
		.amdhsa_next_free_vgpr 1
		.amdhsa_next_free_sgpr 1
		.amdhsa_reserve_vcc 0
		.amdhsa_reserve_flat_scratch 0
		.amdhsa_float_round_mode_32 0
		.amdhsa_float_round_mode_16_64 0
		.amdhsa_float_denorm_mode_32 3
		.amdhsa_float_denorm_mode_16_64 3
		.amdhsa_dx10_clamp 1
		.amdhsa_ieee_mode 1
		.amdhsa_fp16_overflow 0
		.amdhsa_workgroup_processor_mode 1
		.amdhsa_memory_ordered 1
		.amdhsa_forward_progress 1
		.amdhsa_shared_vgpr_count 0
		.amdhsa_exception_fp_ieee_invalid_op 0
		.amdhsa_exception_fp_denorm_src 0
		.amdhsa_exception_fp_ieee_div_zero 0
		.amdhsa_exception_fp_ieee_overflow 0
		.amdhsa_exception_fp_ieee_underflow 0
		.amdhsa_exception_fp_ieee_inexact 0
		.amdhsa_exception_int_div_zero 0
	.end_amdhsa_kernel
	.section	.text._ZN7rocprim17ROCPRIM_400000_NS6detail17trampoline_kernelINS0_14default_configENS1_32segmented_reduce_config_selectorIN3c108BFloat16EEEZNS1_21segmented_reduce_implIS3_PKS6_PS6_PKiS6_N6hipcub16HIPCUB_304000_NS6detail27convert_result_type_wrapperISA_SB_N2at6native12_GLOBAL__N_19CustomMaxEEEEE10hipError_tPvRmT0_T1_jT2_SS_T4_T3_P12ihipStream_tbEUlT_E_NS1_11comp_targetILNS1_3genE9ELNS1_11target_archE1100ELNS1_3gpuE3ELNS1_3repE0EEENS1_30default_config_static_selectorELNS0_4arch9wavefront6targetE0EEEvSR_,"axG",@progbits,_ZN7rocprim17ROCPRIM_400000_NS6detail17trampoline_kernelINS0_14default_configENS1_32segmented_reduce_config_selectorIN3c108BFloat16EEEZNS1_21segmented_reduce_implIS3_PKS6_PS6_PKiS6_N6hipcub16HIPCUB_304000_NS6detail27convert_result_type_wrapperISA_SB_N2at6native12_GLOBAL__N_19CustomMaxEEEEE10hipError_tPvRmT0_T1_jT2_SS_T4_T3_P12ihipStream_tbEUlT_E_NS1_11comp_targetILNS1_3genE9ELNS1_11target_archE1100ELNS1_3gpuE3ELNS1_3repE0EEENS1_30default_config_static_selectorELNS0_4arch9wavefront6targetE0EEEvSR_,comdat
.Lfunc_end117:
	.size	_ZN7rocprim17ROCPRIM_400000_NS6detail17trampoline_kernelINS0_14default_configENS1_32segmented_reduce_config_selectorIN3c108BFloat16EEEZNS1_21segmented_reduce_implIS3_PKS6_PS6_PKiS6_N6hipcub16HIPCUB_304000_NS6detail27convert_result_type_wrapperISA_SB_N2at6native12_GLOBAL__N_19CustomMaxEEEEE10hipError_tPvRmT0_T1_jT2_SS_T4_T3_P12ihipStream_tbEUlT_E_NS1_11comp_targetILNS1_3genE9ELNS1_11target_archE1100ELNS1_3gpuE3ELNS1_3repE0EEENS1_30default_config_static_selectorELNS0_4arch9wavefront6targetE0EEEvSR_, .Lfunc_end117-_ZN7rocprim17ROCPRIM_400000_NS6detail17trampoline_kernelINS0_14default_configENS1_32segmented_reduce_config_selectorIN3c108BFloat16EEEZNS1_21segmented_reduce_implIS3_PKS6_PS6_PKiS6_N6hipcub16HIPCUB_304000_NS6detail27convert_result_type_wrapperISA_SB_N2at6native12_GLOBAL__N_19CustomMaxEEEEE10hipError_tPvRmT0_T1_jT2_SS_T4_T3_P12ihipStream_tbEUlT_E_NS1_11comp_targetILNS1_3genE9ELNS1_11target_archE1100ELNS1_3gpuE3ELNS1_3repE0EEENS1_30default_config_static_selectorELNS0_4arch9wavefront6targetE0EEEvSR_
                                        ; -- End function
	.set _ZN7rocprim17ROCPRIM_400000_NS6detail17trampoline_kernelINS0_14default_configENS1_32segmented_reduce_config_selectorIN3c108BFloat16EEEZNS1_21segmented_reduce_implIS3_PKS6_PS6_PKiS6_N6hipcub16HIPCUB_304000_NS6detail27convert_result_type_wrapperISA_SB_N2at6native12_GLOBAL__N_19CustomMaxEEEEE10hipError_tPvRmT0_T1_jT2_SS_T4_T3_P12ihipStream_tbEUlT_E_NS1_11comp_targetILNS1_3genE9ELNS1_11target_archE1100ELNS1_3gpuE3ELNS1_3repE0EEENS1_30default_config_static_selectorELNS0_4arch9wavefront6targetE0EEEvSR_.num_vgpr, 0
	.set _ZN7rocprim17ROCPRIM_400000_NS6detail17trampoline_kernelINS0_14default_configENS1_32segmented_reduce_config_selectorIN3c108BFloat16EEEZNS1_21segmented_reduce_implIS3_PKS6_PS6_PKiS6_N6hipcub16HIPCUB_304000_NS6detail27convert_result_type_wrapperISA_SB_N2at6native12_GLOBAL__N_19CustomMaxEEEEE10hipError_tPvRmT0_T1_jT2_SS_T4_T3_P12ihipStream_tbEUlT_E_NS1_11comp_targetILNS1_3genE9ELNS1_11target_archE1100ELNS1_3gpuE3ELNS1_3repE0EEENS1_30default_config_static_selectorELNS0_4arch9wavefront6targetE0EEEvSR_.num_agpr, 0
	.set _ZN7rocprim17ROCPRIM_400000_NS6detail17trampoline_kernelINS0_14default_configENS1_32segmented_reduce_config_selectorIN3c108BFloat16EEEZNS1_21segmented_reduce_implIS3_PKS6_PS6_PKiS6_N6hipcub16HIPCUB_304000_NS6detail27convert_result_type_wrapperISA_SB_N2at6native12_GLOBAL__N_19CustomMaxEEEEE10hipError_tPvRmT0_T1_jT2_SS_T4_T3_P12ihipStream_tbEUlT_E_NS1_11comp_targetILNS1_3genE9ELNS1_11target_archE1100ELNS1_3gpuE3ELNS1_3repE0EEENS1_30default_config_static_selectorELNS0_4arch9wavefront6targetE0EEEvSR_.numbered_sgpr, 0
	.set _ZN7rocprim17ROCPRIM_400000_NS6detail17trampoline_kernelINS0_14default_configENS1_32segmented_reduce_config_selectorIN3c108BFloat16EEEZNS1_21segmented_reduce_implIS3_PKS6_PS6_PKiS6_N6hipcub16HIPCUB_304000_NS6detail27convert_result_type_wrapperISA_SB_N2at6native12_GLOBAL__N_19CustomMaxEEEEE10hipError_tPvRmT0_T1_jT2_SS_T4_T3_P12ihipStream_tbEUlT_E_NS1_11comp_targetILNS1_3genE9ELNS1_11target_archE1100ELNS1_3gpuE3ELNS1_3repE0EEENS1_30default_config_static_selectorELNS0_4arch9wavefront6targetE0EEEvSR_.num_named_barrier, 0
	.set _ZN7rocprim17ROCPRIM_400000_NS6detail17trampoline_kernelINS0_14default_configENS1_32segmented_reduce_config_selectorIN3c108BFloat16EEEZNS1_21segmented_reduce_implIS3_PKS6_PS6_PKiS6_N6hipcub16HIPCUB_304000_NS6detail27convert_result_type_wrapperISA_SB_N2at6native12_GLOBAL__N_19CustomMaxEEEEE10hipError_tPvRmT0_T1_jT2_SS_T4_T3_P12ihipStream_tbEUlT_E_NS1_11comp_targetILNS1_3genE9ELNS1_11target_archE1100ELNS1_3gpuE3ELNS1_3repE0EEENS1_30default_config_static_selectorELNS0_4arch9wavefront6targetE0EEEvSR_.private_seg_size, 0
	.set _ZN7rocprim17ROCPRIM_400000_NS6detail17trampoline_kernelINS0_14default_configENS1_32segmented_reduce_config_selectorIN3c108BFloat16EEEZNS1_21segmented_reduce_implIS3_PKS6_PS6_PKiS6_N6hipcub16HIPCUB_304000_NS6detail27convert_result_type_wrapperISA_SB_N2at6native12_GLOBAL__N_19CustomMaxEEEEE10hipError_tPvRmT0_T1_jT2_SS_T4_T3_P12ihipStream_tbEUlT_E_NS1_11comp_targetILNS1_3genE9ELNS1_11target_archE1100ELNS1_3gpuE3ELNS1_3repE0EEENS1_30default_config_static_selectorELNS0_4arch9wavefront6targetE0EEEvSR_.uses_vcc, 0
	.set _ZN7rocprim17ROCPRIM_400000_NS6detail17trampoline_kernelINS0_14default_configENS1_32segmented_reduce_config_selectorIN3c108BFloat16EEEZNS1_21segmented_reduce_implIS3_PKS6_PS6_PKiS6_N6hipcub16HIPCUB_304000_NS6detail27convert_result_type_wrapperISA_SB_N2at6native12_GLOBAL__N_19CustomMaxEEEEE10hipError_tPvRmT0_T1_jT2_SS_T4_T3_P12ihipStream_tbEUlT_E_NS1_11comp_targetILNS1_3genE9ELNS1_11target_archE1100ELNS1_3gpuE3ELNS1_3repE0EEENS1_30default_config_static_selectorELNS0_4arch9wavefront6targetE0EEEvSR_.uses_flat_scratch, 0
	.set _ZN7rocprim17ROCPRIM_400000_NS6detail17trampoline_kernelINS0_14default_configENS1_32segmented_reduce_config_selectorIN3c108BFloat16EEEZNS1_21segmented_reduce_implIS3_PKS6_PS6_PKiS6_N6hipcub16HIPCUB_304000_NS6detail27convert_result_type_wrapperISA_SB_N2at6native12_GLOBAL__N_19CustomMaxEEEEE10hipError_tPvRmT0_T1_jT2_SS_T4_T3_P12ihipStream_tbEUlT_E_NS1_11comp_targetILNS1_3genE9ELNS1_11target_archE1100ELNS1_3gpuE3ELNS1_3repE0EEENS1_30default_config_static_selectorELNS0_4arch9wavefront6targetE0EEEvSR_.has_dyn_sized_stack, 0
	.set _ZN7rocprim17ROCPRIM_400000_NS6detail17trampoline_kernelINS0_14default_configENS1_32segmented_reduce_config_selectorIN3c108BFloat16EEEZNS1_21segmented_reduce_implIS3_PKS6_PS6_PKiS6_N6hipcub16HIPCUB_304000_NS6detail27convert_result_type_wrapperISA_SB_N2at6native12_GLOBAL__N_19CustomMaxEEEEE10hipError_tPvRmT0_T1_jT2_SS_T4_T3_P12ihipStream_tbEUlT_E_NS1_11comp_targetILNS1_3genE9ELNS1_11target_archE1100ELNS1_3gpuE3ELNS1_3repE0EEENS1_30default_config_static_selectorELNS0_4arch9wavefront6targetE0EEEvSR_.has_recursion, 0
	.set _ZN7rocprim17ROCPRIM_400000_NS6detail17trampoline_kernelINS0_14default_configENS1_32segmented_reduce_config_selectorIN3c108BFloat16EEEZNS1_21segmented_reduce_implIS3_PKS6_PS6_PKiS6_N6hipcub16HIPCUB_304000_NS6detail27convert_result_type_wrapperISA_SB_N2at6native12_GLOBAL__N_19CustomMaxEEEEE10hipError_tPvRmT0_T1_jT2_SS_T4_T3_P12ihipStream_tbEUlT_E_NS1_11comp_targetILNS1_3genE9ELNS1_11target_archE1100ELNS1_3gpuE3ELNS1_3repE0EEENS1_30default_config_static_selectorELNS0_4arch9wavefront6targetE0EEEvSR_.has_indirect_call, 0
	.section	.AMDGPU.csdata,"",@progbits
; Kernel info:
; codeLenInByte = 0
; TotalNumSgprs: 0
; NumVgprs: 0
; ScratchSize: 0
; MemoryBound: 0
; FloatMode: 240
; IeeeMode: 1
; LDSByteSize: 0 bytes/workgroup (compile time only)
; SGPRBlocks: 0
; VGPRBlocks: 0
; NumSGPRsForWavesPerEU: 1
; NumVGPRsForWavesPerEU: 1
; Occupancy: 16
; WaveLimiterHint : 0
; COMPUTE_PGM_RSRC2:SCRATCH_EN: 0
; COMPUTE_PGM_RSRC2:USER_SGPR: 6
; COMPUTE_PGM_RSRC2:TRAP_HANDLER: 0
; COMPUTE_PGM_RSRC2:TGID_X_EN: 1
; COMPUTE_PGM_RSRC2:TGID_Y_EN: 0
; COMPUTE_PGM_RSRC2:TGID_Z_EN: 0
; COMPUTE_PGM_RSRC2:TIDIG_COMP_CNT: 0
	.section	.text._ZN7rocprim17ROCPRIM_400000_NS6detail17trampoline_kernelINS0_14default_configENS1_32segmented_reduce_config_selectorIN3c108BFloat16EEEZNS1_21segmented_reduce_implIS3_PKS6_PS6_PKiS6_N6hipcub16HIPCUB_304000_NS6detail27convert_result_type_wrapperISA_SB_N2at6native12_GLOBAL__N_19CustomMaxEEEEE10hipError_tPvRmT0_T1_jT2_SS_T4_T3_P12ihipStream_tbEUlT_E_NS1_11comp_targetILNS1_3genE8ELNS1_11target_archE1030ELNS1_3gpuE2ELNS1_3repE0EEENS1_30default_config_static_selectorELNS0_4arch9wavefront6targetE0EEEvSR_,"axG",@progbits,_ZN7rocprim17ROCPRIM_400000_NS6detail17trampoline_kernelINS0_14default_configENS1_32segmented_reduce_config_selectorIN3c108BFloat16EEEZNS1_21segmented_reduce_implIS3_PKS6_PS6_PKiS6_N6hipcub16HIPCUB_304000_NS6detail27convert_result_type_wrapperISA_SB_N2at6native12_GLOBAL__N_19CustomMaxEEEEE10hipError_tPvRmT0_T1_jT2_SS_T4_T3_P12ihipStream_tbEUlT_E_NS1_11comp_targetILNS1_3genE8ELNS1_11target_archE1030ELNS1_3gpuE2ELNS1_3repE0EEENS1_30default_config_static_selectorELNS0_4arch9wavefront6targetE0EEEvSR_,comdat
	.globl	_ZN7rocprim17ROCPRIM_400000_NS6detail17trampoline_kernelINS0_14default_configENS1_32segmented_reduce_config_selectorIN3c108BFloat16EEEZNS1_21segmented_reduce_implIS3_PKS6_PS6_PKiS6_N6hipcub16HIPCUB_304000_NS6detail27convert_result_type_wrapperISA_SB_N2at6native12_GLOBAL__N_19CustomMaxEEEEE10hipError_tPvRmT0_T1_jT2_SS_T4_T3_P12ihipStream_tbEUlT_E_NS1_11comp_targetILNS1_3genE8ELNS1_11target_archE1030ELNS1_3gpuE2ELNS1_3repE0EEENS1_30default_config_static_selectorELNS0_4arch9wavefront6targetE0EEEvSR_ ; -- Begin function _ZN7rocprim17ROCPRIM_400000_NS6detail17trampoline_kernelINS0_14default_configENS1_32segmented_reduce_config_selectorIN3c108BFloat16EEEZNS1_21segmented_reduce_implIS3_PKS6_PS6_PKiS6_N6hipcub16HIPCUB_304000_NS6detail27convert_result_type_wrapperISA_SB_N2at6native12_GLOBAL__N_19CustomMaxEEEEE10hipError_tPvRmT0_T1_jT2_SS_T4_T3_P12ihipStream_tbEUlT_E_NS1_11comp_targetILNS1_3genE8ELNS1_11target_archE1030ELNS1_3gpuE2ELNS1_3repE0EEENS1_30default_config_static_selectorELNS0_4arch9wavefront6targetE0EEEvSR_
	.p2align	8
	.type	_ZN7rocprim17ROCPRIM_400000_NS6detail17trampoline_kernelINS0_14default_configENS1_32segmented_reduce_config_selectorIN3c108BFloat16EEEZNS1_21segmented_reduce_implIS3_PKS6_PS6_PKiS6_N6hipcub16HIPCUB_304000_NS6detail27convert_result_type_wrapperISA_SB_N2at6native12_GLOBAL__N_19CustomMaxEEEEE10hipError_tPvRmT0_T1_jT2_SS_T4_T3_P12ihipStream_tbEUlT_E_NS1_11comp_targetILNS1_3genE8ELNS1_11target_archE1030ELNS1_3gpuE2ELNS1_3repE0EEENS1_30default_config_static_selectorELNS0_4arch9wavefront6targetE0EEEvSR_,@function
_ZN7rocprim17ROCPRIM_400000_NS6detail17trampoline_kernelINS0_14default_configENS1_32segmented_reduce_config_selectorIN3c108BFloat16EEEZNS1_21segmented_reduce_implIS3_PKS6_PS6_PKiS6_N6hipcub16HIPCUB_304000_NS6detail27convert_result_type_wrapperISA_SB_N2at6native12_GLOBAL__N_19CustomMaxEEEEE10hipError_tPvRmT0_T1_jT2_SS_T4_T3_P12ihipStream_tbEUlT_E_NS1_11comp_targetILNS1_3genE8ELNS1_11target_archE1030ELNS1_3gpuE2ELNS1_3repE0EEENS1_30default_config_static_selectorELNS0_4arch9wavefront6targetE0EEEvSR_: ; @_ZN7rocprim17ROCPRIM_400000_NS6detail17trampoline_kernelINS0_14default_configENS1_32segmented_reduce_config_selectorIN3c108BFloat16EEEZNS1_21segmented_reduce_implIS3_PKS6_PS6_PKiS6_N6hipcub16HIPCUB_304000_NS6detail27convert_result_type_wrapperISA_SB_N2at6native12_GLOBAL__N_19CustomMaxEEEEE10hipError_tPvRmT0_T1_jT2_SS_T4_T3_P12ihipStream_tbEUlT_E_NS1_11comp_targetILNS1_3genE8ELNS1_11target_archE1030ELNS1_3gpuE2ELNS1_3repE0EEENS1_30default_config_static_selectorELNS0_4arch9wavefront6targetE0EEEvSR_
; %bb.0:
	s_clause 0x2
	s_load_dwordx8 s[12:19], s[4:5], 0x0
	s_load_dword s8, s[4:5], 0x28
	s_load_dwordx2 s[0:1], s[4:5], 0x20
	s_mov_b32 s7, 0
	v_cmp_eq_u32_e32 vcc_lo, 0, v0
	s_mov_b32 s20, s7
	s_waitcnt lgkmcnt(0)
	s_lshl_b64 s[2:3], s[16:17], 2
	s_lshr_b32 s9, s8, 16
	s_add_u32 s4, s18, s2
	s_addc_u32 s5, s19, s3
	s_add_u32 s8, s0, s2
	s_addc_u32 s10, s1, s3
	s_lshl_b64 s[0:1], s[6:7], 2
	s_add_u32 s2, s4, s0
	s_addc_u32 s3, s5, s1
	s_add_u32 s0, s8, s0
	s_addc_u32 s1, s10, s1
	s_load_dword s10, s[2:3], 0x0
	s_load_dword s21, s[0:1], 0x0
	s_mov_b32 s0, -1
	s_waitcnt lgkmcnt(0)
	s_cmp_gt_i32 s21, s10
	s_cbranch_scc1 .LBB118_2
; %bb.1:
	s_mov_b32 s0, 0
	s_and_b32 s20, vcc_lo, exec_lo
.LBB118_2:
	s_andn2_b32 vcc_lo, exec_lo, s0
	s_cbranch_vccnz .LBB118_67
; %bb.3:
	s_add_i32 s0, s10, 0x800
	s_cmp_le_i32 s0, s21
	s_cbranch_scc0 .LBB118_68
; %bb.4:
	s_ashr_i32 s11, s10, 31
	v_lshlrev_b32_e32 v10, 1, v0
	s_lshl_b64 s[2:3], s[10:11], 1
	s_add_u32 s2, s12, s2
	s_addc_u32 s3, s13, s3
	v_add_co_u32 v1, s1, s2, v10
	v_add_co_ci_u32_e64 v2, null, s3, 0, s1
	global_load_ushort v9, v10, s[2:3]
	v_add_co_u32 v11, vcc_lo, 0x800, v1
	v_add_co_ci_u32_e64 v12, null, 0, v2, vcc_lo
	s_clause 0x6
	global_load_ushort v8, v10, s[2:3] offset:512
	global_load_ushort v7, v10, s[2:3] offset:1024
	;; [unrolled: 1-line block ×3, first 2 shown]
	global_load_ushort v5, v[11:12], off
	global_load_ushort v3, v[11:12], off offset:512
	global_load_ushort v2, v[11:12], off offset:1024
	global_load_ushort v1, v[11:12], off offset:1536
	s_mov_b32 s1, exec_lo
	s_waitcnt vmcnt(7)
	v_lshlrev_b32_e32 v11, 16, v9
	v_mov_b32_e32 v4, v9
	v_cmpx_o_f32_e32 v11, v11
	s_cbranch_execz .LBB118_8
; %bb.5:
	s_waitcnt vmcnt(6)
	v_lshlrev_b32_e32 v12, 16, v8
	v_mov_b32_e32 v4, v8
	s_mov_b32 s2, exec_lo
	v_cmpx_o_f32_e32 v12, v12
; %bb.6:
	v_cmp_lt_f32_e32 vcc_lo, v11, v12
	v_cndmask_b32_e32 v4, v9, v8, vcc_lo
	v_lshlrev_b32_e32 v12, 16, v4
; %bb.7:
	s_or_b32 exec_lo, exec_lo, s2
	v_mov_b32_e32 v11, v12
.LBB118_8:
	s_or_b32 exec_lo, exec_lo, s1
	s_mov_b32 s1, exec_lo
	v_cmpx_o_f32_e32 v11, v11
	s_cbranch_execz .LBB118_12
; %bb.9:
	s_waitcnt vmcnt(5)
	v_lshlrev_b32_e32 v12, 16, v7
	v_mov_b32_e32 v13, v7
	s_mov_b32 s2, exec_lo
	v_cmpx_o_f32_e32 v12, v12
; %bb.10:
	v_cmp_lt_f32_e32 vcc_lo, v11, v12
	v_cndmask_b32_e32 v13, v4, v7, vcc_lo
	v_lshlrev_b32_e32 v12, 16, v13
; %bb.11:
	s_or_b32 exec_lo, exec_lo, s2
	v_mov_b32_e32 v11, v12
	v_mov_b32_e32 v4, v13
.LBB118_12:
	s_or_b32 exec_lo, exec_lo, s1
	s_mov_b32 s1, exec_lo
	v_cmpx_o_f32_e32 v11, v11
	s_cbranch_execz .LBB118_16
; %bb.13:
	s_waitcnt vmcnt(4)
	v_lshlrev_b32_e32 v12, 16, v6
	v_mov_b32_e32 v13, v6
	s_mov_b32 s2, exec_lo
	v_cmpx_o_f32_e32 v12, v12
; %bb.14:
	v_cmp_lt_f32_e32 vcc_lo, v11, v12
	v_cndmask_b32_e32 v13, v4, v6, vcc_lo
	v_lshlrev_b32_e32 v12, 16, v13
; %bb.15:
	s_or_b32 exec_lo, exec_lo, s2
	v_mov_b32_e32 v11, v12
	v_mov_b32_e32 v4, v13
.LBB118_16:
	;; [unrolled: 19-line block ×5, first 2 shown]
	s_or_b32 exec_lo, exec_lo, s1
	s_mov_b32 s1, exec_lo
	v_cmpx_o_f32_e32 v11, v11
	s_cbranch_execz .LBB118_32
; %bb.29:
	s_waitcnt vmcnt(0)
	v_lshlrev_b32_e32 v13, 16, v1
	v_mov_b32_e32 v12, v1
	s_mov_b32 s2, exec_lo
	v_cmpx_o_f32_e32 v13, v13
; %bb.30:
	v_cmp_lt_f32_e32 vcc_lo, v11, v13
	v_cndmask_b32_e32 v12, v4, v1, vcc_lo
; %bb.31:
	s_or_b32 exec_lo, exec_lo, s2
	v_mov_b32_e32 v4, v12
.LBB118_32:
	s_or_b32 exec_lo, exec_lo, s1
	s_add_i32 s1, s10, 0x1000
	s_cmp_ge_i32 s1, s21
	s_cbranch_scc1 .LBB118_69
; %bb.33:
	v_add_co_u32 v11, s1, s12, v10
	v_add_co_ci_u32_e64 v12, null, s13, 0, s1
	s_branch .LBB118_36
.LBB118_34:                             ;   in Loop: Header=BB118_36 Depth=1
	s_or_b32 exec_lo, exec_lo, s2
	v_mov_b32_e32 v4, v14
.LBB118_35:                             ;   in Loop: Header=BB118_36 Depth=1
	s_or_b32 exec_lo, exec_lo, s1
	s_add_i32 s1, s0, 0x1000
	s_addk_i32 s0, 0x800
	s_cmp_lt_i32 s1, s21
	s_cbranch_scc0 .LBB118_69
.LBB118_36:                             ; =>This Inner Loop Header: Depth=1
	s_ashr_i32 s1, s0, 31
	s_lshl_b64 s[2:3], s[0:1], 1
	s_mov_b32 s1, exec_lo
	s_waitcnt vmcnt(0)
	v_add_co_u32 v1, vcc_lo, v11, s2
	v_add_co_ci_u32_e64 v2, null, s3, v12, vcc_lo
	v_add_co_u32 v13, vcc_lo, 0x800, v1
	v_add_co_ci_u32_e64 v14, null, 0, v2, vcc_lo
	s_clause 0x7
	global_load_ushort v9, v[1:2], off
	global_load_ushort v8, v[1:2], off offset:512
	global_load_ushort v7, v[1:2], off offset:1024
	;; [unrolled: 1-line block ×3, first 2 shown]
	global_load_ushort v5, v[13:14], off
	global_load_ushort v3, v[13:14], off offset:512
	global_load_ushort v2, v[13:14], off offset:1024
	;; [unrolled: 1-line block ×3, first 2 shown]
	v_lshlrev_b32_e32 v13, 16, v4
	v_cmpx_o_f32_e32 v13, v13
	s_cbranch_execz .LBB118_40
; %bb.37:                               ;   in Loop: Header=BB118_36 Depth=1
	s_waitcnt vmcnt(7)
	v_lshlrev_b32_e32 v14, 16, v9
	v_mov_b32_e32 v15, v9
	s_mov_b32 s2, exec_lo
	v_cmpx_o_f32_e32 v14, v14
; %bb.38:                               ;   in Loop: Header=BB118_36 Depth=1
	v_cmp_lt_f32_e32 vcc_lo, v13, v14
	v_cndmask_b32_e32 v15, v4, v9, vcc_lo
	v_lshlrev_b32_e32 v14, 16, v15
; %bb.39:                               ;   in Loop: Header=BB118_36 Depth=1
	s_or_b32 exec_lo, exec_lo, s2
	v_mov_b32_e32 v13, v14
	v_mov_b32_e32 v4, v15
.LBB118_40:                             ;   in Loop: Header=BB118_36 Depth=1
	s_or_b32 exec_lo, exec_lo, s1
	s_mov_b32 s1, exec_lo
	v_cmpx_o_f32_e32 v13, v13
	s_cbranch_execz .LBB118_44
; %bb.41:                               ;   in Loop: Header=BB118_36 Depth=1
	s_waitcnt vmcnt(6)
	v_lshlrev_b32_e32 v14, 16, v8
	v_mov_b32_e32 v15, v8
	s_mov_b32 s2, exec_lo
	v_cmpx_o_f32_e32 v14, v14
; %bb.42:                               ;   in Loop: Header=BB118_36 Depth=1
	v_cmp_lt_f32_e32 vcc_lo, v13, v14
	v_cndmask_b32_e32 v15, v4, v8, vcc_lo
	v_lshlrev_b32_e32 v14, 16, v15
; %bb.43:                               ;   in Loop: Header=BB118_36 Depth=1
	s_or_b32 exec_lo, exec_lo, s2
	v_mov_b32_e32 v13, v14
	v_mov_b32_e32 v4, v15
.LBB118_44:                             ;   in Loop: Header=BB118_36 Depth=1
	s_or_b32 exec_lo, exec_lo, s1
	s_mov_b32 s1, exec_lo
	v_cmpx_o_f32_e32 v13, v13
	s_cbranch_execz .LBB118_48
; %bb.45:                               ;   in Loop: Header=BB118_36 Depth=1
	s_waitcnt vmcnt(5)
	v_lshlrev_b32_e32 v14, 16, v7
	v_mov_b32_e32 v15, v7
	s_mov_b32 s2, exec_lo
	v_cmpx_o_f32_e32 v14, v14
; %bb.46:                               ;   in Loop: Header=BB118_36 Depth=1
	v_cmp_lt_f32_e32 vcc_lo, v13, v14
	v_cndmask_b32_e32 v15, v4, v7, vcc_lo
	v_lshlrev_b32_e32 v14, 16, v15
; %bb.47:                               ;   in Loop: Header=BB118_36 Depth=1
	s_or_b32 exec_lo, exec_lo, s2
	v_mov_b32_e32 v13, v14
	v_mov_b32_e32 v4, v15
.LBB118_48:                             ;   in Loop: Header=BB118_36 Depth=1
	s_or_b32 exec_lo, exec_lo, s1
	s_mov_b32 s1, exec_lo
	v_cmpx_o_f32_e32 v13, v13
	s_cbranch_execz .LBB118_52
; %bb.49:                               ;   in Loop: Header=BB118_36 Depth=1
	s_waitcnt vmcnt(4)
	v_lshlrev_b32_e32 v14, 16, v6
	v_mov_b32_e32 v15, v6
	s_mov_b32 s2, exec_lo
	v_cmpx_o_f32_e32 v14, v14
; %bb.50:                               ;   in Loop: Header=BB118_36 Depth=1
	v_cmp_lt_f32_e32 vcc_lo, v13, v14
	v_cndmask_b32_e32 v15, v4, v6, vcc_lo
	v_lshlrev_b32_e32 v14, 16, v15
; %bb.51:                               ;   in Loop: Header=BB118_36 Depth=1
	s_or_b32 exec_lo, exec_lo, s2
	v_mov_b32_e32 v13, v14
	v_mov_b32_e32 v4, v15
.LBB118_52:                             ;   in Loop: Header=BB118_36 Depth=1
	s_or_b32 exec_lo, exec_lo, s1
	s_mov_b32 s1, exec_lo
	v_cmpx_o_f32_e32 v13, v13
	s_cbranch_execz .LBB118_56
; %bb.53:                               ;   in Loop: Header=BB118_36 Depth=1
	s_waitcnt vmcnt(3)
	v_lshlrev_b32_e32 v14, 16, v5
	v_mov_b32_e32 v15, v5
	s_mov_b32 s2, exec_lo
	v_cmpx_o_f32_e32 v14, v14
; %bb.54:                               ;   in Loop: Header=BB118_36 Depth=1
	v_cmp_lt_f32_e32 vcc_lo, v13, v14
	v_cndmask_b32_e32 v15, v4, v5, vcc_lo
	v_lshlrev_b32_e32 v14, 16, v15
; %bb.55:                               ;   in Loop: Header=BB118_36 Depth=1
	s_or_b32 exec_lo, exec_lo, s2
	v_mov_b32_e32 v13, v14
	v_mov_b32_e32 v4, v15
.LBB118_56:                             ;   in Loop: Header=BB118_36 Depth=1
	s_or_b32 exec_lo, exec_lo, s1
	s_mov_b32 s1, exec_lo
	v_cmpx_o_f32_e32 v13, v13
	s_cbranch_execz .LBB118_60
; %bb.57:                               ;   in Loop: Header=BB118_36 Depth=1
	s_waitcnt vmcnt(2)
	v_lshlrev_b32_e32 v14, 16, v3
	v_mov_b32_e32 v15, v3
	s_mov_b32 s2, exec_lo
	v_cmpx_o_f32_e32 v14, v14
; %bb.58:                               ;   in Loop: Header=BB118_36 Depth=1
	v_cmp_lt_f32_e32 vcc_lo, v13, v14
	v_cndmask_b32_e32 v15, v4, v3, vcc_lo
	v_lshlrev_b32_e32 v14, 16, v15
; %bb.59:                               ;   in Loop: Header=BB118_36 Depth=1
	s_or_b32 exec_lo, exec_lo, s2
	v_mov_b32_e32 v13, v14
	v_mov_b32_e32 v4, v15
.LBB118_60:                             ;   in Loop: Header=BB118_36 Depth=1
	s_or_b32 exec_lo, exec_lo, s1
	s_mov_b32 s1, exec_lo
	v_cmpx_o_f32_e32 v13, v13
	s_cbranch_execz .LBB118_64
; %bb.61:                               ;   in Loop: Header=BB118_36 Depth=1
	s_waitcnt vmcnt(1)
	v_lshlrev_b32_e32 v14, 16, v2
	v_mov_b32_e32 v15, v2
	s_mov_b32 s2, exec_lo
	v_cmpx_o_f32_e32 v14, v14
; %bb.62:                               ;   in Loop: Header=BB118_36 Depth=1
	v_cmp_lt_f32_e32 vcc_lo, v13, v14
	v_cndmask_b32_e32 v15, v4, v2, vcc_lo
	v_lshlrev_b32_e32 v14, 16, v15
; %bb.63:                               ;   in Loop: Header=BB118_36 Depth=1
	s_or_b32 exec_lo, exec_lo, s2
	v_mov_b32_e32 v13, v14
	v_mov_b32_e32 v4, v15
.LBB118_64:                             ;   in Loop: Header=BB118_36 Depth=1
	s_or_b32 exec_lo, exec_lo, s1
	s_mov_b32 s1, exec_lo
	v_cmpx_o_f32_e32 v13, v13
	s_cbranch_execz .LBB118_35
; %bb.65:                               ;   in Loop: Header=BB118_36 Depth=1
	s_waitcnt vmcnt(0)
	v_lshlrev_b32_e32 v15, 16, v1
	v_mov_b32_e32 v14, v1
	s_mov_b32 s2, exec_lo
	v_cmpx_o_f32_e32 v15, v15
	s_cbranch_execz .LBB118_34
; %bb.66:                               ;   in Loop: Header=BB118_36 Depth=1
	v_cmp_lt_f32_e32 vcc_lo, v13, v15
	v_cndmask_b32_e32 v14, v4, v1, vcc_lo
	s_branch .LBB118_34
.LBB118_67:
	v_mov_b32_e32 v1, s9
	s_and_saveexec_b32 s0, s20
	s_cbranch_execnz .LBB118_279
	s_branch .LBB118_280
.LBB118_68:
                                        ; implicit-def: $vgpr2
	s_cbranch_execnz .LBB118_170
	s_branch .LBB118_272
.LBB118_69:
	s_ashr_i32 s1, s0, 31
	s_sub_i32 s11, s21, s0
	s_lshl_b64 s[0:1], s[0:1], 1
	v_cmp_gt_u32_e64 s8, s11, v0
	s_add_u32 s18, s12, s0
	s_addc_u32 s19, s13, s1
	s_and_saveexec_b32 s0, s8
	s_cbranch_execz .LBB118_71
; %bb.70:
	global_load_ushort v9, v10, s[18:19]
.LBB118_71:
	s_or_b32 exec_lo, exec_lo, s0
	v_or_b32_e32 v11, 0x100, v0
	v_cmp_gt_u32_e64 s5, s11, v11
	s_and_saveexec_b32 s0, s5
	s_cbranch_execz .LBB118_73
; %bb.72:
	global_load_ushort v8, v10, s[18:19] offset:512
.LBB118_73:
	s_or_b32 exec_lo, exec_lo, s0
	v_or_b32_e32 v11, 0x200, v0
	v_cmp_gt_u32_e64 s4, s11, v11
	s_and_saveexec_b32 s0, s4
	s_cbranch_execz .LBB118_75
; %bb.74:
	global_load_ushort v7, v10, s[18:19] offset:1024
.LBB118_75:
	;; [unrolled: 8-line block ×3, first 2 shown]
	s_or_b32 exec_lo, exec_lo, s0
	v_or_b32_e32 v10, 0x400, v0
	v_cmp_gt_u32_e64 s2, s11, v10
	s_and_saveexec_b32 s0, s2
	s_cbranch_execz .LBB118_79
; %bb.78:
	s_waitcnt vmcnt(3)
	v_lshlrev_b32_e32 v5, 1, v10
	global_load_ushort v5, v5, s[18:19]
.LBB118_79:
	s_or_b32 exec_lo, exec_lo, s0
	v_or_b32_e32 v10, 0x500, v0
	v_cmp_gt_u32_e64 s1, s11, v10
	s_and_saveexec_b32 s0, s1
	s_cbranch_execz .LBB118_81
; %bb.80:
	s_waitcnt vmcnt(2)
	v_lshlrev_b32_e32 v3, 1, v10
	global_load_ushort v3, v3, s[18:19]
.LBB118_81:
	;; [unrolled: 10-line block ×3, first 2 shown]
	s_or_b32 exec_lo, exec_lo, s22
	v_or_b32_e32 v10, 0x700, v0
	v_cmp_gt_u32_e32 vcc_lo, s11, v10
	s_and_saveexec_b32 s11, vcc_lo
	s_cbranch_execnz .LBB118_92
; %bb.84:
	s_or_b32 exec_lo, exec_lo, s11
	s_and_saveexec_b32 s11, s8
	s_cbranch_execnz .LBB118_93
.LBB118_85:
	s_or_b32 exec_lo, exec_lo, s11
	s_and_saveexec_b32 s8, s5
	s_cbranch_execnz .LBB118_98
.LBB118_86:
	s_or_b32 exec_lo, exec_lo, s8
	s_and_saveexec_b32 s5, s4
	s_cbranch_execnz .LBB118_103
.LBB118_87:
	s_or_b32 exec_lo, exec_lo, s5
	s_and_saveexec_b32 s4, s3
	s_cbranch_execnz .LBB118_108
.LBB118_88:
	s_or_b32 exec_lo, exec_lo, s4
	s_and_saveexec_b32 s3, s2
	s_cbranch_execnz .LBB118_113
.LBB118_89:
	s_or_b32 exec_lo, exec_lo, s3
	s_and_saveexec_b32 s2, s1
	s_cbranch_execnz .LBB118_118
.LBB118_90:
	s_or_b32 exec_lo, exec_lo, s2
	s_and_saveexec_b32 s1, s0
	s_cbranch_execnz .LBB118_123
.LBB118_91:
	s_or_b32 exec_lo, exec_lo, s1
	s_and_saveexec_b32 s0, vcc_lo
	s_cbranch_execnz .LBB118_128
	s_branch .LBB118_133
.LBB118_92:
	s_waitcnt vmcnt(0)
	v_lshlrev_b32_e32 v1, 1, v10
	global_load_ushort v1, v1, s[18:19]
	s_or_b32 exec_lo, exec_lo, s11
	s_and_saveexec_b32 s11, s8
	s_cbranch_execz .LBB118_85
.LBB118_93:
	v_lshlrev_b32_e32 v10, 16, v4
	s_mov_b32 s18, exec_lo
	v_cmpx_o_f32_e32 v10, v10
	s_cbranch_execz .LBB118_97
; %bb.94:
	s_waitcnt vmcnt(0)
	v_lshlrev_b32_e32 v11, 16, v9
	s_mov_b32 s19, exec_lo
	v_cmpx_o_f32_e32 v11, v11
; %bb.95:
	v_cmp_lt_f32_e64 s8, v10, v11
	v_cndmask_b32_e64 v9, v4, v9, s8
; %bb.96:
	s_or_b32 exec_lo, exec_lo, s19
	v_mov_b32_e32 v4, v9
.LBB118_97:
	s_or_b32 exec_lo, exec_lo, s18
	s_or_b32 exec_lo, exec_lo, s11
	s_and_saveexec_b32 s8, s5
	s_cbranch_execz .LBB118_86
.LBB118_98:
	s_waitcnt vmcnt(0)
	v_lshlrev_b32_e32 v9, 16, v4
	s_mov_b32 s11, exec_lo
	v_cmpx_o_f32_e32 v9, v9
	s_cbranch_execz .LBB118_102
; %bb.99:
	v_lshlrev_b32_e32 v10, 16, v8
	s_mov_b32 s18, exec_lo
	v_cmpx_o_f32_e32 v10, v10
; %bb.100:
	v_cmp_lt_f32_e64 s5, v9, v10
	v_cndmask_b32_e64 v8, v4, v8, s5
; %bb.101:
	s_or_b32 exec_lo, exec_lo, s18
	v_mov_b32_e32 v4, v8
.LBB118_102:
	s_or_b32 exec_lo, exec_lo, s11
	s_or_b32 exec_lo, exec_lo, s8
	s_and_saveexec_b32 s5, s4
	s_cbranch_execz .LBB118_87
.LBB118_103:
	s_waitcnt vmcnt(0)
	v_lshlrev_b32_e32 v8, 16, v4
	s_mov_b32 s8, exec_lo
	v_cmpx_o_f32_e32 v8, v8
	s_cbranch_execz .LBB118_107
; %bb.104:
	v_lshlrev_b32_e32 v9, 16, v7
	s_mov_b32 s11, exec_lo
	v_cmpx_o_f32_e32 v9, v9
; %bb.105:
	v_cmp_lt_f32_e64 s4, v8, v9
	v_cndmask_b32_e64 v7, v4, v7, s4
; %bb.106:
	s_or_b32 exec_lo, exec_lo, s11
	v_mov_b32_e32 v4, v7
.LBB118_107:
	s_or_b32 exec_lo, exec_lo, s8
	s_or_b32 exec_lo, exec_lo, s5
	s_and_saveexec_b32 s4, s3
	s_cbranch_execz .LBB118_88
.LBB118_108:
	s_waitcnt vmcnt(0)
	v_lshlrev_b32_e32 v7, 16, v4
	s_mov_b32 s5, exec_lo
	v_cmpx_o_f32_e32 v7, v7
	s_cbranch_execz .LBB118_112
; %bb.109:
	v_lshlrev_b32_e32 v8, 16, v6
	s_mov_b32 s8, exec_lo
	v_cmpx_o_f32_e32 v8, v8
; %bb.110:
	v_cmp_lt_f32_e64 s3, v7, v8
	v_cndmask_b32_e64 v6, v4, v6, s3
; %bb.111:
	s_or_b32 exec_lo, exec_lo, s8
	v_mov_b32_e32 v4, v6
.LBB118_112:
	s_or_b32 exec_lo, exec_lo, s5
	s_or_b32 exec_lo, exec_lo, s4
	s_and_saveexec_b32 s3, s2
	s_cbranch_execz .LBB118_89
.LBB118_113:
	s_waitcnt vmcnt(0)
	v_lshlrev_b32_e32 v6, 16, v4
	s_mov_b32 s4, exec_lo
	v_cmpx_o_f32_e32 v6, v6
	s_cbranch_execz .LBB118_117
; %bb.114:
	v_lshlrev_b32_e32 v7, 16, v5
	s_mov_b32 s5, exec_lo
	v_cmpx_o_f32_e32 v7, v7
; %bb.115:
	v_cmp_lt_f32_e64 s2, v6, v7
	v_cndmask_b32_e64 v5, v4, v5, s2
; %bb.116:
	s_or_b32 exec_lo, exec_lo, s5
	v_mov_b32_e32 v4, v5
.LBB118_117:
	s_or_b32 exec_lo, exec_lo, s4
	s_or_b32 exec_lo, exec_lo, s3
	s_and_saveexec_b32 s2, s1
	s_cbranch_execz .LBB118_90
.LBB118_118:
	s_waitcnt vmcnt(0)
	v_lshlrev_b32_e32 v5, 16, v4
	s_mov_b32 s3, exec_lo
	v_cmpx_o_f32_e32 v5, v5
	s_cbranch_execz .LBB118_122
; %bb.119:
	v_lshlrev_b32_e32 v6, 16, v3
	s_mov_b32 s4, exec_lo
	v_cmpx_o_f32_e32 v6, v6
; %bb.120:
	v_cmp_lt_f32_e64 s1, v5, v6
	v_cndmask_b32_e64 v3, v4, v3, s1
; %bb.121:
	s_or_b32 exec_lo, exec_lo, s4
	v_mov_b32_e32 v4, v3
.LBB118_122:
	s_or_b32 exec_lo, exec_lo, s3
	s_or_b32 exec_lo, exec_lo, s2
	s_and_saveexec_b32 s1, s0
	s_cbranch_execz .LBB118_91
.LBB118_123:
	s_waitcnt vmcnt(0)
	v_lshlrev_b32_e32 v3, 16, v4
	s_mov_b32 s2, exec_lo
	v_cmpx_o_f32_e32 v3, v3
	s_cbranch_execz .LBB118_127
; %bb.124:
	v_lshlrev_b32_e32 v5, 16, v2
	s_mov_b32 s3, exec_lo
	v_cmpx_o_f32_e32 v5, v5
; %bb.125:
	v_cmp_lt_f32_e64 s0, v3, v5
	v_cndmask_b32_e64 v2, v4, v2, s0
; %bb.126:
	s_or_b32 exec_lo, exec_lo, s3
	v_mov_b32_e32 v4, v2
.LBB118_127:
	s_or_b32 exec_lo, exec_lo, s2
	s_or_b32 exec_lo, exec_lo, s1
	s_and_saveexec_b32 s0, vcc_lo
	s_cbranch_execz .LBB118_133
.LBB118_128:
	s_waitcnt vmcnt(0)
	v_lshlrev_b32_e32 v2, 16, v4
	s_mov_b32 s1, exec_lo
	v_cmpx_o_f32_e32 v2, v2
	s_cbranch_execz .LBB118_132
; %bb.129:
	v_lshlrev_b32_e32 v3, 16, v1
	s_mov_b32 s2, exec_lo
	v_cmpx_o_f32_e32 v3, v3
; %bb.130:
	v_cmp_lt_f32_e32 vcc_lo, v2, v3
	v_cndmask_b32_e32 v1, v4, v1, vcc_lo
; %bb.131:
	s_or_b32 exec_lo, exec_lo, s2
	v_mov_b32_e32 v4, v1
.LBB118_132:
	s_or_b32 exec_lo, exec_lo, s1
.LBB118_133:
	s_or_b32 exec_lo, exec_lo, s0
	s_waitcnt vmcnt(0)
	v_and_b32_e32 v3, 0xffff, v4
	s_mov_b32 s0, exec_lo
	v_mov_b32_dpp v1, v3 quad_perm:[1,0,3,2] row_mask:0xf bank_mask:0xf
	v_lshlrev_b32_e32 v2, 16, v1
	v_cmpx_o_f32_e32 v2, v2
	s_xor_b32 s0, exec_lo, s0
	s_cbranch_execz .LBB118_137
; %bb.134:
	v_lshlrev_b32_e32 v3, 16, v3
	s_mov_b32 s1, exec_lo
	v_cmpx_o_f32_e32 v3, v3
; %bb.135:
	v_cmp_lt_f32_e32 vcc_lo, v2, v3
	v_cndmask_b32_e32 v4, v1, v4, vcc_lo
; %bb.136:
	s_or_b32 exec_lo, exec_lo, s1
	v_mov_b32_e32 v1, v4
.LBB118_137:
	s_or_b32 exec_lo, exec_lo, s0
	v_and_b32_e32 v4, 0xffff, v1
	s_mov_b32 s0, exec_lo
	v_mov_b32_dpp v2, v4 quad_perm:[2,3,0,1] row_mask:0xf bank_mask:0xf
	v_lshlrev_b32_e32 v3, 16, v2
	v_cmpx_o_f32_e32 v3, v3
	s_cbranch_execz .LBB118_141
; %bb.138:
	v_lshlrev_b32_e32 v4, 16, v4
	s_mov_b32 s1, exec_lo
	v_cmpx_o_f32_e32 v4, v4
; %bb.139:
	v_cmp_lt_f32_e32 vcc_lo, v3, v4
	v_cndmask_b32_e32 v1, v2, v1, vcc_lo
; %bb.140:
	s_or_b32 exec_lo, exec_lo, s1
	v_mov_b32_e32 v2, v1
.LBB118_141:
	s_or_b32 exec_lo, exec_lo, s0
	v_and_b32_e32 v4, 0xffff, v2
	s_mov_b32 s0, exec_lo
	v_mov_b32_dpp v1, v4 row_ror:4 row_mask:0xf bank_mask:0xf
	v_lshlrev_b32_e32 v3, 16, v1
	v_cmpx_o_f32_e32 v3, v3
	s_cbranch_execz .LBB118_145
; %bb.142:
	v_lshlrev_b32_e32 v4, 16, v4
	s_mov_b32 s1, exec_lo
	v_cmpx_o_f32_e32 v4, v4
; %bb.143:
	v_cmp_lt_f32_e32 vcc_lo, v3, v4
	v_cndmask_b32_e32 v2, v1, v2, vcc_lo
; %bb.144:
	s_or_b32 exec_lo, exec_lo, s1
	v_mov_b32_e32 v1, v2
.LBB118_145:
	s_or_b32 exec_lo, exec_lo, s0
	v_and_b32_e32 v4, 0xffff, v1
	s_mov_b32 s0, exec_lo
	v_mov_b32_dpp v2, v4 row_ror:8 row_mask:0xf bank_mask:0xf
	v_lshlrev_b32_e32 v3, 16, v2
	v_cmpx_o_f32_e32 v3, v3
	s_cbranch_execz .LBB118_149
; %bb.146:
	v_lshlrev_b32_e32 v4, 16, v4
	s_mov_b32 s1, exec_lo
	v_cmpx_o_f32_e32 v4, v4
; %bb.147:
	v_cmp_lt_f32_e32 vcc_lo, v3, v4
	v_cndmask_b32_e32 v1, v2, v1, vcc_lo
; %bb.148:
	s_or_b32 exec_lo, exec_lo, s1
	v_mov_b32_e32 v2, v1
.LBB118_149:
	s_or_b32 exec_lo, exec_lo, s0
	v_and_b32_e32 v4, 0xffff, v2
	s_mov_b32 s0, exec_lo
	ds_swizzle_b32 v1, v4 offset:swizzle(BROADCAST,32,15)
	s_waitcnt lgkmcnt(0)
	v_lshlrev_b32_e32 v3, 16, v1
	v_cmpx_o_f32_e32 v3, v3
	s_cbranch_execz .LBB118_153
; %bb.150:
	v_lshlrev_b32_e32 v4, 16, v4
	s_mov_b32 s1, exec_lo
	v_cmpx_o_f32_e32 v4, v4
; %bb.151:
	v_cmp_lt_f32_e32 vcc_lo, v3, v4
	v_cndmask_b32_e32 v2, v1, v2, vcc_lo
; %bb.152:
	s_or_b32 exec_lo, exec_lo, s1
	v_mov_b32_e32 v1, v2
.LBB118_153:
	s_or_b32 exec_lo, exec_lo, s0
	v_and_b32_e32 v1, 0xffff, v1
	v_mov_b32_e32 v2, 0
	s_mov_b32 s0, exec_lo
	ds_bpermute_b32 v2, v2, v1 offset:124
	v_mbcnt_lo_u32_b32 v1, -1, 0
	v_cmpx_eq_u32_e32 0, v1
	s_cbranch_execz .LBB118_155
; %bb.154:
	v_lshrrev_b32_e32 v3, 4, v0
	v_and_b32_e32 v3, 14, v3
	s_waitcnt lgkmcnt(0)
	ds_write_b16 v3, v2
.LBB118_155:
	s_or_b32 exec_lo, exec_lo, s0
	s_mov_b32 s0, exec_lo
	s_waitcnt lgkmcnt(0)
	s_barrier
	buffer_gl0_inv
	v_cmpx_gt_u32_e32 32, v0
	s_cbranch_execz .LBB118_169
; %bb.156:
	v_and_b32_e32 v3, 7, v1
	s_mov_b32 s1, exec_lo
	v_lshlrev_b32_e32 v2, 1, v3
	v_cmp_ne_u32_e32 vcc_lo, 7, v3
	ds_read_u16 v2, v2
	v_add_co_ci_u32_e64 v4, null, 0, v1, vcc_lo
	v_lshlrev_b32_e32 v4, 2, v4
	s_waitcnt lgkmcnt(0)
	v_and_b32_e32 v5, 0xffff, v2
	ds_bpermute_b32 v4, v4, v5
	v_lshlrev_b32_e32 v5, 16, v2
	v_cmpx_o_f32_e32 v5, v5
	s_cbranch_execz .LBB118_160
; %bb.157:
	s_waitcnt lgkmcnt(0)
	v_lshlrev_b32_e32 v6, 16, v4
	s_mov_b32 s2, exec_lo
	v_cmpx_o_f32_e32 v6, v6
; %bb.158:
	v_cmp_lt_f32_e32 vcc_lo, v5, v6
	v_cndmask_b32_e32 v4, v2, v4, vcc_lo
; %bb.159:
	s_or_b32 exec_lo, exec_lo, s2
	v_mov_b32_e32 v2, v4
.LBB118_160:
	s_or_b32 exec_lo, exec_lo, s1
	v_cmp_gt_u32_e32 vcc_lo, 6, v3
	s_waitcnt lgkmcnt(0)
	v_and_b32_e32 v4, 0xffff, v2
	s_mov_b32 s1, exec_lo
	v_cndmask_b32_e64 v3, 0, 2, vcc_lo
	v_add_lshl_u32 v3, v3, v1, 2
	v_lshlrev_b32_e32 v1, 2, v1
	ds_bpermute_b32 v3, v3, v4
	v_lshlrev_b32_e32 v4, 16, v2
	v_cmpx_o_f32_e32 v4, v4
	s_cbranch_execz .LBB118_164
; %bb.161:
	s_waitcnt lgkmcnt(0)
	v_lshlrev_b32_e32 v5, 16, v3
	s_mov_b32 s2, exec_lo
	v_cmpx_o_f32_e32 v5, v5
; %bb.162:
	v_cmp_lt_f32_e32 vcc_lo, v4, v5
	v_cndmask_b32_e32 v3, v2, v3, vcc_lo
; %bb.163:
	s_or_b32 exec_lo, exec_lo, s2
	v_mov_b32_e32 v2, v3
.LBB118_164:
	s_or_b32 exec_lo, exec_lo, s1
	v_or_b32_e32 v1, 16, v1
	s_waitcnt lgkmcnt(0)
	v_and_b32_e32 v3, 0xffff, v2
	s_mov_b32 s1, exec_lo
	ds_bpermute_b32 v1, v1, v3
	v_lshlrev_b32_e32 v3, 16, v2
	v_cmpx_o_f32_e32 v3, v3
	s_cbranch_execz .LBB118_168
; %bb.165:
	s_waitcnt lgkmcnt(0)
	v_lshlrev_b32_e32 v4, 16, v1
	s_mov_b32 s2, exec_lo
	v_cmpx_o_f32_e32 v4, v4
; %bb.166:
	v_cmp_lt_f32_e32 vcc_lo, v3, v4
	v_cndmask_b32_e32 v1, v2, v1, vcc_lo
; %bb.167:
	s_or_b32 exec_lo, exec_lo, s2
	v_mov_b32_e32 v2, v1
.LBB118_168:
	s_or_b32 exec_lo, exec_lo, s1
.LBB118_169:
	s_or_b32 exec_lo, exec_lo, s0
	s_branch .LBB118_272
.LBB118_170:
	s_sub_i32 s0, s21, s10
	s_mov_b32 s1, exec_lo
                                        ; implicit-def: $vgpr4
	v_cmpx_gt_u32_e64 s0, v0
	s_cbranch_execz .LBB118_180
; %bb.171:
	s_waitcnt lgkmcnt(0)
	v_add_nc_u32_e32 v1, s10, v0
	s_mov_b32 s2, exec_lo
	v_ashrrev_i32_e32 v2, 31, v1
	v_lshlrev_b64 v[2:3], 1, v[1:2]
	v_add_nc_u32_e32 v1, 0x100, v1
	v_add_co_u32 v2, vcc_lo, s12, v2
	v_add_co_ci_u32_e64 v3, null, s13, v3, vcc_lo
	global_load_ushort v4, v[2:3], off
	v_cmpx_gt_i32_e64 s21, v1
	s_cbranch_execz .LBB118_179
; %bb.172:
	s_mov_b32 s3, 0
	s_inst_prefetch 0x1
	s_branch .LBB118_175
	.p2align	6
.LBB118_173:                            ;   in Loop: Header=BB118_175 Depth=1
	s_or_b32 exec_lo, exec_lo, s5
	v_mov_b32_e32 v4, v2
.LBB118_174:                            ;   in Loop: Header=BB118_175 Depth=1
	s_or_b32 exec_lo, exec_lo, s4
	v_add_nc_u32_e32 v1, 0x100, v1
	v_cmp_le_i32_e32 vcc_lo, s21, v1
	s_or_b32 s3, vcc_lo, s3
	s_andn2_b32 exec_lo, exec_lo, s3
	s_cbranch_execz .LBB118_178
.LBB118_175:                            ; =>This Inner Loop Header: Depth=1
	s_waitcnt vmcnt(0)
	v_lshlrev_b32_e32 v3, 16, v4
	s_mov_b32 s4, exec_lo
	v_cmpx_o_f32_e32 v3, v3
	s_cbranch_execz .LBB118_174
; %bb.176:                              ;   in Loop: Header=BB118_175 Depth=1
	v_ashrrev_i32_e32 v2, 31, v1
	s_mov_b32 s5, exec_lo
	v_lshlrev_b64 v[5:6], 1, v[1:2]
	v_add_co_u32 v5, vcc_lo, s12, v5
	v_add_co_ci_u32_e64 v6, null, s13, v6, vcc_lo
	global_load_ushort v2, v[5:6], off
	s_waitcnt vmcnt(0)
	v_lshlrev_b32_e32 v5, 16, v2
	v_cmpx_o_f32_e32 v5, v5
	s_cbranch_execz .LBB118_173
; %bb.177:                              ;   in Loop: Header=BB118_175 Depth=1
	v_cmp_lt_f32_e32 vcc_lo, v3, v5
	v_cndmask_b32_e32 v2, v4, v2, vcc_lo
	s_branch .LBB118_173
.LBB118_178:
	s_inst_prefetch 0x2
	s_or_b32 exec_lo, exec_lo, s3
.LBB118_179:
	s_or_b32 exec_lo, exec_lo, s2
.LBB118_180:
	s_or_b32 exec_lo, exec_lo, s1
	v_lshrrev_b32_e32 v3, 5, v0
	s_waitcnt lgkmcnt(0)
	v_mbcnt_lo_u32_b32 v1, -1, 0
	s_waitcnt vmcnt(0)
	v_and_b32_e32 v5, 0xffff, v4
	s_cmpk_lt_u32 s0, 0x100
	s_mov_b32 s1, -1
                                        ; implicit-def: $vgpr2
	s_cbranch_scc0 .LBB118_234
; %bb.181:
	v_cmp_ne_u32_e32 vcc_lo, 31, v1
	v_mov_b32_e32 v8, v5
	v_add_co_ci_u32_e64 v2, null, 0, v1, vcc_lo
	v_lshlrev_b32_e32 v2, 2, v2
	ds_bpermute_b32 v7, v2, v5
	v_and_b32_e32 v2, 0xe0, v0
	v_sub_nc_u32_e64 v6, s0, v2 clamp
	v_add_nc_u32_e32 v2, 1, v1
	v_cmp_lt_u32_e32 vcc_lo, v2, v6
	v_mov_b32_e32 v2, v4
	s_and_saveexec_b32 s1, vcc_lo
	s_cbranch_execz .LBB118_187
; %bb.182:
	v_lshlrev_b32_e32 v8, 16, v5
	v_mov_b32_e32 v2, v4
	s_mov_b32 s2, exec_lo
	v_cmpx_o_f32_e32 v8, v8
	s_cbranch_execz .LBB118_186
; %bb.183:
	s_waitcnt lgkmcnt(0)
	v_lshlrev_b32_e32 v2, 16, v7
	s_mov_b32 s3, exec_lo
	v_cmpx_o_f32_e32 v2, v2
; %bb.184:
	v_cmp_lt_f32_e32 vcc_lo, v8, v2
	v_cndmask_b32_e32 v7, v4, v7, vcc_lo
; %bb.185:
	s_or_b32 exec_lo, exec_lo, s3
	v_mov_b32_e32 v2, v7
.LBB118_186:
	s_or_b32 exec_lo, exec_lo, s2
	v_and_b32_e32 v8, 0xffff, v2
.LBB118_187:
	s_or_b32 exec_lo, exec_lo, s1
	v_cmp_gt_u32_e32 vcc_lo, 30, v1
	v_add_nc_u32_e32 v9, 2, v1
	s_mov_b32 s1, exec_lo
	s_waitcnt lgkmcnt(0)
	v_cndmask_b32_e64 v7, 0, 2, vcc_lo
	v_add_lshl_u32 v7, v7, v1, 2
	ds_bpermute_b32 v7, v7, v8
	v_cmpx_lt_u32_e64 v9, v6
	s_cbranch_execz .LBB118_193
; %bb.188:
	v_lshlrev_b32_e32 v8, 16, v8
	s_mov_b32 s2, exec_lo
	v_cmpx_o_f32_e32 v8, v8
	s_cbranch_execz .LBB118_192
; %bb.189:
	s_waitcnt lgkmcnt(0)
	v_lshlrev_b32_e32 v9, 16, v7
	s_mov_b32 s3, exec_lo
	v_cmpx_o_f32_e32 v9, v9
; %bb.190:
	v_cmp_lt_f32_e32 vcc_lo, v8, v9
	v_cndmask_b32_e32 v7, v2, v7, vcc_lo
; %bb.191:
	s_or_b32 exec_lo, exec_lo, s3
	v_mov_b32_e32 v2, v7
.LBB118_192:
	s_or_b32 exec_lo, exec_lo, s2
	v_and_b32_e32 v8, 0xffff, v2
.LBB118_193:
	s_or_b32 exec_lo, exec_lo, s1
	v_cmp_gt_u32_e32 vcc_lo, 28, v1
	v_add_nc_u32_e32 v9, 4, v1
	s_mov_b32 s1, exec_lo
	s_waitcnt lgkmcnt(0)
	v_cndmask_b32_e64 v7, 0, 4, vcc_lo
	v_add_lshl_u32 v7, v7, v1, 2
	ds_bpermute_b32 v7, v7, v8
	v_cmpx_lt_u32_e64 v9, v6
	s_cbranch_execz .LBB118_199
; %bb.194:
	v_lshlrev_b32_e32 v8, 16, v8
	s_mov_b32 s2, exec_lo
	v_cmpx_o_f32_e32 v8, v8
	s_cbranch_execz .LBB118_198
; %bb.195:
	s_waitcnt lgkmcnt(0)
	v_lshlrev_b32_e32 v9, 16, v7
	s_mov_b32 s3, exec_lo
	v_cmpx_o_f32_e32 v9, v9
; %bb.196:
	v_cmp_lt_f32_e32 vcc_lo, v8, v9
	v_cndmask_b32_e32 v7, v2, v7, vcc_lo
; %bb.197:
	s_or_b32 exec_lo, exec_lo, s3
	v_mov_b32_e32 v2, v7
.LBB118_198:
	s_or_b32 exec_lo, exec_lo, s2
	v_and_b32_e32 v8, 0xffff, v2
.LBB118_199:
	;; [unrolled: 30-line block ×3, first 2 shown]
	s_or_b32 exec_lo, exec_lo, s1
	s_waitcnt lgkmcnt(0)
	v_lshlrev_b32_e32 v7, 2, v1
	v_add_nc_u32_e32 v10, 16, v1
	s_mov_b32 s1, exec_lo
	v_or_b32_e32 v9, 64, v7
	ds_bpermute_b32 v9, v9, v8
	v_cmpx_lt_u32_e64 v10, v6
	s_cbranch_execz .LBB118_211
; %bb.206:
	v_lshlrev_b32_e32 v6, 16, v8
	s_mov_b32 s2, exec_lo
	v_cmpx_o_f32_e32 v6, v6
	s_cbranch_execz .LBB118_210
; %bb.207:
	s_waitcnt lgkmcnt(0)
	v_lshlrev_b32_e32 v8, 16, v9
	s_mov_b32 s3, exec_lo
	v_cmpx_o_f32_e32 v8, v8
; %bb.208:
	v_cmp_lt_f32_e32 vcc_lo, v6, v8
	v_cndmask_b32_e32 v9, v2, v9, vcc_lo
; %bb.209:
	s_or_b32 exec_lo, exec_lo, s3
	v_mov_b32_e32 v2, v9
.LBB118_210:
	s_or_b32 exec_lo, exec_lo, s2
.LBB118_211:
	s_or_b32 exec_lo, exec_lo, s1
	s_mov_b32 s1, exec_lo
	v_cmpx_eq_u32_e32 0, v1
; %bb.212:
	v_lshlrev_b32_e32 v6, 1, v3
	ds_write_b16 v6, v2
; %bb.213:
	s_or_b32 exec_lo, exec_lo, s1
	s_mov_b32 s1, exec_lo
	s_waitcnt lgkmcnt(0)
	s_barrier
	buffer_gl0_inv
	v_cmpx_gt_u32_e32 8, v0
	s_cbranch_execz .LBB118_233
; %bb.214:
	v_lshlrev_b32_e32 v2, 1, v1
	v_and_b32_e32 v6, 7, v1
	s_add_i32 s0, s0, 31
	s_mov_b32 s2, exec_lo
	s_lshr_b32 s0, s0, 5
	ds_read_u16 v2, v2
	v_cmp_ne_u32_e32 vcc_lo, 7, v6
	v_add_nc_u32_e32 v10, 1, v6
	v_add_co_ci_u32_e64 v8, null, 0, v1, vcc_lo
	v_lshlrev_b32_e32 v9, 2, v8
	s_waitcnt lgkmcnt(0)
	v_and_b32_e32 v8, 0xffff, v2
	ds_bpermute_b32 v9, v9, v8
	v_cmpx_gt_u32_e64 s0, v10
	s_cbranch_execz .LBB118_220
; %bb.215:
	v_lshlrev_b32_e32 v8, 16, v8
	s_mov_b32 s3, exec_lo
	v_cmpx_o_f32_e32 v8, v8
	s_cbranch_execz .LBB118_219
; %bb.216:
	s_waitcnt lgkmcnt(0)
	v_lshlrev_b32_e32 v10, 16, v9
	s_mov_b32 s4, exec_lo
	v_cmpx_o_f32_e32 v10, v10
; %bb.217:
	v_cmp_lt_f32_e32 vcc_lo, v8, v10
	v_cndmask_b32_e32 v9, v2, v9, vcc_lo
; %bb.218:
	s_or_b32 exec_lo, exec_lo, s4
	v_mov_b32_e32 v2, v9
.LBB118_219:
	s_or_b32 exec_lo, exec_lo, s3
	v_and_b32_e32 v8, 0xffff, v2
.LBB118_220:
	s_or_b32 exec_lo, exec_lo, s2
	v_cmp_gt_u32_e32 vcc_lo, 6, v6
	v_add_nc_u32_e32 v10, 2, v6
	s_mov_b32 s2, exec_lo
	s_waitcnt lgkmcnt(0)
	v_cndmask_b32_e64 v9, 0, 2, vcc_lo
	v_add_lshl_u32 v9, v9, v1, 2
	ds_bpermute_b32 v9, v9, v8
	v_cmpx_gt_u32_e64 s0, v10
	s_cbranch_execz .LBB118_226
; %bb.221:
	v_lshlrev_b32_e32 v8, 16, v8
	s_mov_b32 s3, exec_lo
	v_cmpx_o_f32_e32 v8, v8
	s_cbranch_execz .LBB118_225
; %bb.222:
	s_waitcnt lgkmcnt(0)
	v_lshlrev_b32_e32 v10, 16, v9
	s_mov_b32 s4, exec_lo
	v_cmpx_o_f32_e32 v10, v10
; %bb.223:
	v_cmp_lt_f32_e32 vcc_lo, v8, v10
	v_cndmask_b32_e32 v9, v2, v9, vcc_lo
; %bb.224:
	s_or_b32 exec_lo, exec_lo, s4
	v_mov_b32_e32 v2, v9
.LBB118_225:
	s_or_b32 exec_lo, exec_lo, s3
	v_and_b32_e32 v8, 0xffff, v2
.LBB118_226:
	s_or_b32 exec_lo, exec_lo, s2
	v_or_b32_e32 v7, 16, v7
	v_add_nc_u32_e32 v6, 4, v6
	ds_bpermute_b32 v7, v7, v8
	v_cmp_gt_u32_e32 vcc_lo, s0, v6
	s_and_saveexec_b32 s0, vcc_lo
	s_cbranch_execz .LBB118_232
; %bb.227:
	v_lshlrev_b32_e32 v6, 16, v8
	s_mov_b32 s2, exec_lo
	v_cmpx_o_f32_e32 v6, v6
	s_cbranch_execz .LBB118_231
; %bb.228:
	s_waitcnt lgkmcnt(0)
	v_lshlrev_b32_e32 v8, 16, v7
	s_mov_b32 s3, exec_lo
	v_cmpx_o_f32_e32 v8, v8
; %bb.229:
	v_cmp_lt_f32_e32 vcc_lo, v6, v8
	v_cndmask_b32_e32 v7, v2, v7, vcc_lo
; %bb.230:
	s_or_b32 exec_lo, exec_lo, s3
	v_mov_b32_e32 v2, v7
.LBB118_231:
	s_or_b32 exec_lo, exec_lo, s2
.LBB118_232:
	s_or_b32 exec_lo, exec_lo, s0
.LBB118_233:
	s_or_b32 exec_lo, exec_lo, s1
	s_mov_b32 s1, 0
.LBB118_234:
	s_and_b32 vcc_lo, exec_lo, s1
	s_cbranch_vccz .LBB118_272
; %bb.235:
	v_mov_b32_dpp v2, v5 quad_perm:[1,0,3,2] row_mask:0xf bank_mask:0xf
	s_mov_b32 s0, exec_lo
	v_lshlrev_b32_e32 v6, 16, v2
	v_cmpx_o_f32_e32 v6, v6
	s_cbranch_execz .LBB118_239
; %bb.236:
	v_lshlrev_b32_e32 v5, 16, v5
	s_mov_b32 s1, exec_lo
	v_cmpx_o_f32_e32 v5, v5
; %bb.237:
	v_cmp_lt_f32_e32 vcc_lo, v6, v5
	v_cndmask_b32_e32 v4, v2, v4, vcc_lo
; %bb.238:
	s_or_b32 exec_lo, exec_lo, s1
	v_mov_b32_e32 v2, v4
.LBB118_239:
	s_or_b32 exec_lo, exec_lo, s0
	v_and_b32_e32 v6, 0xffff, v2
	s_mov_b32 s0, exec_lo
	v_mov_b32_dpp v4, v6 quad_perm:[2,3,0,1] row_mask:0xf bank_mask:0xf
	v_lshlrev_b32_e32 v5, 16, v4
	v_cmpx_o_f32_e32 v5, v5
	s_cbranch_execz .LBB118_243
; %bb.240:
	v_lshlrev_b32_e32 v6, 16, v6
	s_mov_b32 s1, exec_lo
	v_cmpx_o_f32_e32 v6, v6
; %bb.241:
	v_cmp_lt_f32_e32 vcc_lo, v5, v6
	v_cndmask_b32_e32 v2, v4, v2, vcc_lo
; %bb.242:
	s_or_b32 exec_lo, exec_lo, s1
	v_mov_b32_e32 v4, v2
.LBB118_243:
	s_or_b32 exec_lo, exec_lo, s0
	v_and_b32_e32 v6, 0xffff, v4
	s_mov_b32 s0, exec_lo
	v_mov_b32_dpp v2, v6 row_ror:4 row_mask:0xf bank_mask:0xf
	v_lshlrev_b32_e32 v5, 16, v2
	v_cmpx_o_f32_e32 v5, v5
	s_cbranch_execz .LBB118_247
; %bb.244:
	v_lshlrev_b32_e32 v6, 16, v6
	s_mov_b32 s1, exec_lo
	v_cmpx_o_f32_e32 v6, v6
; %bb.245:
	v_cmp_lt_f32_e32 vcc_lo, v5, v6
	v_cndmask_b32_e32 v4, v2, v4, vcc_lo
; %bb.246:
	s_or_b32 exec_lo, exec_lo, s1
	v_mov_b32_e32 v2, v4
.LBB118_247:
	s_or_b32 exec_lo, exec_lo, s0
	v_and_b32_e32 v6, 0xffff, v2
	s_mov_b32 s0, exec_lo
	v_mov_b32_dpp v4, v6 row_ror:8 row_mask:0xf bank_mask:0xf
	v_lshlrev_b32_e32 v5, 16, v4
	v_cmpx_o_f32_e32 v5, v5
	s_cbranch_execz .LBB118_251
; %bb.248:
	v_lshlrev_b32_e32 v6, 16, v6
	s_mov_b32 s1, exec_lo
	v_cmpx_o_f32_e32 v6, v6
; %bb.249:
	v_cmp_lt_f32_e32 vcc_lo, v5, v6
	v_cndmask_b32_e32 v2, v4, v2, vcc_lo
; %bb.250:
	s_or_b32 exec_lo, exec_lo, s1
	v_mov_b32_e32 v4, v2
.LBB118_251:
	s_or_b32 exec_lo, exec_lo, s0
	v_and_b32_e32 v6, 0xffff, v4
	s_mov_b32 s0, exec_lo
	ds_swizzle_b32 v2, v6 offset:swizzle(BROADCAST,32,15)
	s_waitcnt lgkmcnt(0)
	v_lshlrev_b32_e32 v5, 16, v2
	v_cmpx_o_f32_e32 v5, v5
	s_cbranch_execz .LBB118_255
; %bb.252:
	v_lshlrev_b32_e32 v6, 16, v6
	s_mov_b32 s1, exec_lo
	v_cmpx_o_f32_e32 v6, v6
; %bb.253:
	v_cmp_lt_f32_e32 vcc_lo, v5, v6
	v_cndmask_b32_e32 v4, v2, v4, vcc_lo
; %bb.254:
	s_or_b32 exec_lo, exec_lo, s1
	v_mov_b32_e32 v2, v4
.LBB118_255:
	s_or_b32 exec_lo, exec_lo, s0
	v_and_b32_e32 v2, 0xffff, v2
	v_mov_b32_e32 v4, 0
	s_mov_b32 s0, exec_lo
	ds_bpermute_b32 v2, v4, v2 offset:124
	v_cmpx_eq_u32_e32 0, v1
	s_cbranch_execz .LBB118_257
; %bb.256:
	v_lshlrev_b32_e32 v3, 1, v3
	s_waitcnt lgkmcnt(0)
	ds_write_b16 v3, v2
.LBB118_257:
	s_or_b32 exec_lo, exec_lo, s0
	s_mov_b32 s0, exec_lo
	s_waitcnt lgkmcnt(0)
	s_barrier
	buffer_gl0_inv
	v_cmpx_gt_u32_e32 32, v0
	s_cbranch_execz .LBB118_271
; %bb.258:
	v_and_b32_e32 v3, 7, v1
	s_mov_b32 s1, exec_lo
	v_lshlrev_b32_e32 v2, 1, v3
	v_cmp_ne_u32_e32 vcc_lo, 7, v3
	ds_read_u16 v2, v2
	v_add_co_ci_u32_e64 v4, null, 0, v1, vcc_lo
	v_lshlrev_b32_e32 v4, 2, v4
	s_waitcnt lgkmcnt(0)
	v_and_b32_e32 v5, 0xffff, v2
	ds_bpermute_b32 v4, v4, v5
	v_lshlrev_b32_e32 v5, 16, v2
	v_cmpx_o_f32_e32 v5, v5
	s_cbranch_execz .LBB118_262
; %bb.259:
	s_waitcnt lgkmcnt(0)
	v_lshlrev_b32_e32 v6, 16, v4
	s_mov_b32 s2, exec_lo
	v_cmpx_o_f32_e32 v6, v6
; %bb.260:
	v_cmp_lt_f32_e32 vcc_lo, v5, v6
	v_cndmask_b32_e32 v4, v2, v4, vcc_lo
; %bb.261:
	s_or_b32 exec_lo, exec_lo, s2
	v_mov_b32_e32 v2, v4
.LBB118_262:
	s_or_b32 exec_lo, exec_lo, s1
	v_cmp_gt_u32_e32 vcc_lo, 6, v3
	s_waitcnt lgkmcnt(0)
	v_and_b32_e32 v4, 0xffff, v2
	s_mov_b32 s1, exec_lo
	v_cndmask_b32_e64 v3, 0, 2, vcc_lo
	v_add_lshl_u32 v3, v3, v1, 2
	v_lshlrev_b32_e32 v1, 2, v1
	ds_bpermute_b32 v3, v3, v4
	v_lshlrev_b32_e32 v4, 16, v2
	v_cmpx_o_f32_e32 v4, v4
	s_cbranch_execz .LBB118_266
; %bb.263:
	s_waitcnt lgkmcnt(0)
	v_lshlrev_b32_e32 v5, 16, v3
	s_mov_b32 s2, exec_lo
	v_cmpx_o_f32_e32 v5, v5
; %bb.264:
	v_cmp_lt_f32_e32 vcc_lo, v4, v5
	v_cndmask_b32_e32 v3, v2, v3, vcc_lo
; %bb.265:
	s_or_b32 exec_lo, exec_lo, s2
	v_mov_b32_e32 v2, v3
.LBB118_266:
	s_or_b32 exec_lo, exec_lo, s1
	v_or_b32_e32 v1, 16, v1
	s_waitcnt lgkmcnt(0)
	v_and_b32_e32 v3, 0xffff, v2
	s_mov_b32 s1, exec_lo
	ds_bpermute_b32 v1, v1, v3
	v_lshlrev_b32_e32 v3, 16, v2
	v_cmpx_o_f32_e32 v3, v3
	s_cbranch_execz .LBB118_270
; %bb.267:
	s_waitcnt lgkmcnt(0)
	v_lshlrev_b32_e32 v4, 16, v1
	s_mov_b32 s2, exec_lo
	v_cmpx_o_f32_e32 v4, v4
; %bb.268:
	v_cmp_lt_f32_e32 vcc_lo, v3, v4
	v_cndmask_b32_e32 v1, v2, v1, vcc_lo
; %bb.269:
	s_or_b32 exec_lo, exec_lo, s2
	v_mov_b32_e32 v2, v1
.LBB118_270:
	s_or_b32 exec_lo, exec_lo, s1
.LBB118_271:
	s_or_b32 exec_lo, exec_lo, s0
.LBB118_272:
	s_mov_b32 s0, exec_lo
                                        ; implicit-def: $vgpr1
	v_cmpx_eq_u32_e32 0, v0
	s_cbranch_execz .LBB118_278
; %bb.273:
	s_lshl_b32 s1, s9, 16
	s_waitcnt lgkmcnt(0)
	v_mov_b32_e32 v1, s9
	v_cmp_u_f32_e64 s2, s1, s1
	s_and_b32 vcc_lo, exec_lo, s2
	s_cbranch_vccnz .LBB118_277
; %bb.274:
	v_lshlrev_b32_e32 v0, 16, v2
	s_mov_b32 s2, exec_lo
	v_cmpx_o_f32_e32 v0, v0
; %bb.275:
	v_cmp_lt_f32_e32 vcc_lo, s1, v0
	v_cndmask_b32_e32 v2, s9, v2, vcc_lo
; %bb.276:
	s_or_b32 exec_lo, exec_lo, s2
	v_mov_b32_e32 v1, v2
.LBB118_277:
	s_or_b32 s20, s20, exec_lo
.LBB118_278:
	s_or_b32 exec_lo, exec_lo, s0
	s_and_saveexec_b32 s0, s20
	s_cbranch_execz .LBB118_280
.LBB118_279:
	s_lshl_b64 s[0:1], s[16:17], 1
	v_mov_b32_e32 v0, 0
	s_add_u32 s2, s14, s0
	s_addc_u32 s3, s15, s1
	s_lshl_b64 s[0:1], s[6:7], 1
	s_add_u32 s0, s2, s0
	s_addc_u32 s1, s3, s1
	s_waitcnt lgkmcnt(0)
	global_store_short v0, v1, s[0:1]
.LBB118_280:
	s_endpgm
	.section	.rodata,"a",@progbits
	.p2align	6, 0x0
	.amdhsa_kernel _ZN7rocprim17ROCPRIM_400000_NS6detail17trampoline_kernelINS0_14default_configENS1_32segmented_reduce_config_selectorIN3c108BFloat16EEEZNS1_21segmented_reduce_implIS3_PKS6_PS6_PKiS6_N6hipcub16HIPCUB_304000_NS6detail27convert_result_type_wrapperISA_SB_N2at6native12_GLOBAL__N_19CustomMaxEEEEE10hipError_tPvRmT0_T1_jT2_SS_T4_T3_P12ihipStream_tbEUlT_E_NS1_11comp_targetILNS1_3genE8ELNS1_11target_archE1030ELNS1_3gpuE2ELNS1_3repE0EEENS1_30default_config_static_selectorELNS0_4arch9wavefront6targetE0EEEvSR_
		.amdhsa_group_segment_fixed_size 16
		.amdhsa_private_segment_fixed_size 0
		.amdhsa_kernarg_size 48
		.amdhsa_user_sgpr_count 6
		.amdhsa_user_sgpr_private_segment_buffer 1
		.amdhsa_user_sgpr_dispatch_ptr 0
		.amdhsa_user_sgpr_queue_ptr 0
		.amdhsa_user_sgpr_kernarg_segment_ptr 1
		.amdhsa_user_sgpr_dispatch_id 0
		.amdhsa_user_sgpr_flat_scratch_init 0
		.amdhsa_user_sgpr_private_segment_size 0
		.amdhsa_wavefront_size32 1
		.amdhsa_uses_dynamic_stack 0
		.amdhsa_system_sgpr_private_segment_wavefront_offset 0
		.amdhsa_system_sgpr_workgroup_id_x 1
		.amdhsa_system_sgpr_workgroup_id_y 0
		.amdhsa_system_sgpr_workgroup_id_z 0
		.amdhsa_system_sgpr_workgroup_info 0
		.amdhsa_system_vgpr_workitem_id 0
		.amdhsa_next_free_vgpr 16
		.amdhsa_next_free_sgpr 23
		.amdhsa_reserve_vcc 1
		.amdhsa_reserve_flat_scratch 0
		.amdhsa_float_round_mode_32 0
		.amdhsa_float_round_mode_16_64 0
		.amdhsa_float_denorm_mode_32 3
		.amdhsa_float_denorm_mode_16_64 3
		.amdhsa_dx10_clamp 1
		.amdhsa_ieee_mode 1
		.amdhsa_fp16_overflow 0
		.amdhsa_workgroup_processor_mode 1
		.amdhsa_memory_ordered 1
		.amdhsa_forward_progress 1
		.amdhsa_shared_vgpr_count 0
		.amdhsa_exception_fp_ieee_invalid_op 0
		.amdhsa_exception_fp_denorm_src 0
		.amdhsa_exception_fp_ieee_div_zero 0
		.amdhsa_exception_fp_ieee_overflow 0
		.amdhsa_exception_fp_ieee_underflow 0
		.amdhsa_exception_fp_ieee_inexact 0
		.amdhsa_exception_int_div_zero 0
	.end_amdhsa_kernel
	.section	.text._ZN7rocprim17ROCPRIM_400000_NS6detail17trampoline_kernelINS0_14default_configENS1_32segmented_reduce_config_selectorIN3c108BFloat16EEEZNS1_21segmented_reduce_implIS3_PKS6_PS6_PKiS6_N6hipcub16HIPCUB_304000_NS6detail27convert_result_type_wrapperISA_SB_N2at6native12_GLOBAL__N_19CustomMaxEEEEE10hipError_tPvRmT0_T1_jT2_SS_T4_T3_P12ihipStream_tbEUlT_E_NS1_11comp_targetILNS1_3genE8ELNS1_11target_archE1030ELNS1_3gpuE2ELNS1_3repE0EEENS1_30default_config_static_selectorELNS0_4arch9wavefront6targetE0EEEvSR_,"axG",@progbits,_ZN7rocprim17ROCPRIM_400000_NS6detail17trampoline_kernelINS0_14default_configENS1_32segmented_reduce_config_selectorIN3c108BFloat16EEEZNS1_21segmented_reduce_implIS3_PKS6_PS6_PKiS6_N6hipcub16HIPCUB_304000_NS6detail27convert_result_type_wrapperISA_SB_N2at6native12_GLOBAL__N_19CustomMaxEEEEE10hipError_tPvRmT0_T1_jT2_SS_T4_T3_P12ihipStream_tbEUlT_E_NS1_11comp_targetILNS1_3genE8ELNS1_11target_archE1030ELNS1_3gpuE2ELNS1_3repE0EEENS1_30default_config_static_selectorELNS0_4arch9wavefront6targetE0EEEvSR_,comdat
.Lfunc_end118:
	.size	_ZN7rocprim17ROCPRIM_400000_NS6detail17trampoline_kernelINS0_14default_configENS1_32segmented_reduce_config_selectorIN3c108BFloat16EEEZNS1_21segmented_reduce_implIS3_PKS6_PS6_PKiS6_N6hipcub16HIPCUB_304000_NS6detail27convert_result_type_wrapperISA_SB_N2at6native12_GLOBAL__N_19CustomMaxEEEEE10hipError_tPvRmT0_T1_jT2_SS_T4_T3_P12ihipStream_tbEUlT_E_NS1_11comp_targetILNS1_3genE8ELNS1_11target_archE1030ELNS1_3gpuE2ELNS1_3repE0EEENS1_30default_config_static_selectorELNS0_4arch9wavefront6targetE0EEEvSR_, .Lfunc_end118-_ZN7rocprim17ROCPRIM_400000_NS6detail17trampoline_kernelINS0_14default_configENS1_32segmented_reduce_config_selectorIN3c108BFloat16EEEZNS1_21segmented_reduce_implIS3_PKS6_PS6_PKiS6_N6hipcub16HIPCUB_304000_NS6detail27convert_result_type_wrapperISA_SB_N2at6native12_GLOBAL__N_19CustomMaxEEEEE10hipError_tPvRmT0_T1_jT2_SS_T4_T3_P12ihipStream_tbEUlT_E_NS1_11comp_targetILNS1_3genE8ELNS1_11target_archE1030ELNS1_3gpuE2ELNS1_3repE0EEENS1_30default_config_static_selectorELNS0_4arch9wavefront6targetE0EEEvSR_
                                        ; -- End function
	.set _ZN7rocprim17ROCPRIM_400000_NS6detail17trampoline_kernelINS0_14default_configENS1_32segmented_reduce_config_selectorIN3c108BFloat16EEEZNS1_21segmented_reduce_implIS3_PKS6_PS6_PKiS6_N6hipcub16HIPCUB_304000_NS6detail27convert_result_type_wrapperISA_SB_N2at6native12_GLOBAL__N_19CustomMaxEEEEE10hipError_tPvRmT0_T1_jT2_SS_T4_T3_P12ihipStream_tbEUlT_E_NS1_11comp_targetILNS1_3genE8ELNS1_11target_archE1030ELNS1_3gpuE2ELNS1_3repE0EEENS1_30default_config_static_selectorELNS0_4arch9wavefront6targetE0EEEvSR_.num_vgpr, 16
	.set _ZN7rocprim17ROCPRIM_400000_NS6detail17trampoline_kernelINS0_14default_configENS1_32segmented_reduce_config_selectorIN3c108BFloat16EEEZNS1_21segmented_reduce_implIS3_PKS6_PS6_PKiS6_N6hipcub16HIPCUB_304000_NS6detail27convert_result_type_wrapperISA_SB_N2at6native12_GLOBAL__N_19CustomMaxEEEEE10hipError_tPvRmT0_T1_jT2_SS_T4_T3_P12ihipStream_tbEUlT_E_NS1_11comp_targetILNS1_3genE8ELNS1_11target_archE1030ELNS1_3gpuE2ELNS1_3repE0EEENS1_30default_config_static_selectorELNS0_4arch9wavefront6targetE0EEEvSR_.num_agpr, 0
	.set _ZN7rocprim17ROCPRIM_400000_NS6detail17trampoline_kernelINS0_14default_configENS1_32segmented_reduce_config_selectorIN3c108BFloat16EEEZNS1_21segmented_reduce_implIS3_PKS6_PS6_PKiS6_N6hipcub16HIPCUB_304000_NS6detail27convert_result_type_wrapperISA_SB_N2at6native12_GLOBAL__N_19CustomMaxEEEEE10hipError_tPvRmT0_T1_jT2_SS_T4_T3_P12ihipStream_tbEUlT_E_NS1_11comp_targetILNS1_3genE8ELNS1_11target_archE1030ELNS1_3gpuE2ELNS1_3repE0EEENS1_30default_config_static_selectorELNS0_4arch9wavefront6targetE0EEEvSR_.numbered_sgpr, 23
	.set _ZN7rocprim17ROCPRIM_400000_NS6detail17trampoline_kernelINS0_14default_configENS1_32segmented_reduce_config_selectorIN3c108BFloat16EEEZNS1_21segmented_reduce_implIS3_PKS6_PS6_PKiS6_N6hipcub16HIPCUB_304000_NS6detail27convert_result_type_wrapperISA_SB_N2at6native12_GLOBAL__N_19CustomMaxEEEEE10hipError_tPvRmT0_T1_jT2_SS_T4_T3_P12ihipStream_tbEUlT_E_NS1_11comp_targetILNS1_3genE8ELNS1_11target_archE1030ELNS1_3gpuE2ELNS1_3repE0EEENS1_30default_config_static_selectorELNS0_4arch9wavefront6targetE0EEEvSR_.num_named_barrier, 0
	.set _ZN7rocprim17ROCPRIM_400000_NS6detail17trampoline_kernelINS0_14default_configENS1_32segmented_reduce_config_selectorIN3c108BFloat16EEEZNS1_21segmented_reduce_implIS3_PKS6_PS6_PKiS6_N6hipcub16HIPCUB_304000_NS6detail27convert_result_type_wrapperISA_SB_N2at6native12_GLOBAL__N_19CustomMaxEEEEE10hipError_tPvRmT0_T1_jT2_SS_T4_T3_P12ihipStream_tbEUlT_E_NS1_11comp_targetILNS1_3genE8ELNS1_11target_archE1030ELNS1_3gpuE2ELNS1_3repE0EEENS1_30default_config_static_selectorELNS0_4arch9wavefront6targetE0EEEvSR_.private_seg_size, 0
	.set _ZN7rocprim17ROCPRIM_400000_NS6detail17trampoline_kernelINS0_14default_configENS1_32segmented_reduce_config_selectorIN3c108BFloat16EEEZNS1_21segmented_reduce_implIS3_PKS6_PS6_PKiS6_N6hipcub16HIPCUB_304000_NS6detail27convert_result_type_wrapperISA_SB_N2at6native12_GLOBAL__N_19CustomMaxEEEEE10hipError_tPvRmT0_T1_jT2_SS_T4_T3_P12ihipStream_tbEUlT_E_NS1_11comp_targetILNS1_3genE8ELNS1_11target_archE1030ELNS1_3gpuE2ELNS1_3repE0EEENS1_30default_config_static_selectorELNS0_4arch9wavefront6targetE0EEEvSR_.uses_vcc, 1
	.set _ZN7rocprim17ROCPRIM_400000_NS6detail17trampoline_kernelINS0_14default_configENS1_32segmented_reduce_config_selectorIN3c108BFloat16EEEZNS1_21segmented_reduce_implIS3_PKS6_PS6_PKiS6_N6hipcub16HIPCUB_304000_NS6detail27convert_result_type_wrapperISA_SB_N2at6native12_GLOBAL__N_19CustomMaxEEEEE10hipError_tPvRmT0_T1_jT2_SS_T4_T3_P12ihipStream_tbEUlT_E_NS1_11comp_targetILNS1_3genE8ELNS1_11target_archE1030ELNS1_3gpuE2ELNS1_3repE0EEENS1_30default_config_static_selectorELNS0_4arch9wavefront6targetE0EEEvSR_.uses_flat_scratch, 0
	.set _ZN7rocprim17ROCPRIM_400000_NS6detail17trampoline_kernelINS0_14default_configENS1_32segmented_reduce_config_selectorIN3c108BFloat16EEEZNS1_21segmented_reduce_implIS3_PKS6_PS6_PKiS6_N6hipcub16HIPCUB_304000_NS6detail27convert_result_type_wrapperISA_SB_N2at6native12_GLOBAL__N_19CustomMaxEEEEE10hipError_tPvRmT0_T1_jT2_SS_T4_T3_P12ihipStream_tbEUlT_E_NS1_11comp_targetILNS1_3genE8ELNS1_11target_archE1030ELNS1_3gpuE2ELNS1_3repE0EEENS1_30default_config_static_selectorELNS0_4arch9wavefront6targetE0EEEvSR_.has_dyn_sized_stack, 0
	.set _ZN7rocprim17ROCPRIM_400000_NS6detail17trampoline_kernelINS0_14default_configENS1_32segmented_reduce_config_selectorIN3c108BFloat16EEEZNS1_21segmented_reduce_implIS3_PKS6_PS6_PKiS6_N6hipcub16HIPCUB_304000_NS6detail27convert_result_type_wrapperISA_SB_N2at6native12_GLOBAL__N_19CustomMaxEEEEE10hipError_tPvRmT0_T1_jT2_SS_T4_T3_P12ihipStream_tbEUlT_E_NS1_11comp_targetILNS1_3genE8ELNS1_11target_archE1030ELNS1_3gpuE2ELNS1_3repE0EEENS1_30default_config_static_selectorELNS0_4arch9wavefront6targetE0EEEvSR_.has_recursion, 0
	.set _ZN7rocprim17ROCPRIM_400000_NS6detail17trampoline_kernelINS0_14default_configENS1_32segmented_reduce_config_selectorIN3c108BFloat16EEEZNS1_21segmented_reduce_implIS3_PKS6_PS6_PKiS6_N6hipcub16HIPCUB_304000_NS6detail27convert_result_type_wrapperISA_SB_N2at6native12_GLOBAL__N_19CustomMaxEEEEE10hipError_tPvRmT0_T1_jT2_SS_T4_T3_P12ihipStream_tbEUlT_E_NS1_11comp_targetILNS1_3genE8ELNS1_11target_archE1030ELNS1_3gpuE2ELNS1_3repE0EEENS1_30default_config_static_selectorELNS0_4arch9wavefront6targetE0EEEvSR_.has_indirect_call, 0
	.section	.AMDGPU.csdata,"",@progbits
; Kernel info:
; codeLenInByte = 5172
; TotalNumSgprs: 25
; NumVgprs: 16
; ScratchSize: 0
; MemoryBound: 0
; FloatMode: 240
; IeeeMode: 1
; LDSByteSize: 16 bytes/workgroup (compile time only)
; SGPRBlocks: 0
; VGPRBlocks: 1
; NumSGPRsForWavesPerEU: 25
; NumVGPRsForWavesPerEU: 16
; Occupancy: 16
; WaveLimiterHint : 1
; COMPUTE_PGM_RSRC2:SCRATCH_EN: 0
; COMPUTE_PGM_RSRC2:USER_SGPR: 6
; COMPUTE_PGM_RSRC2:TRAP_HANDLER: 0
; COMPUTE_PGM_RSRC2:TGID_X_EN: 1
; COMPUTE_PGM_RSRC2:TGID_Y_EN: 0
; COMPUTE_PGM_RSRC2:TGID_Z_EN: 0
; COMPUTE_PGM_RSRC2:TIDIG_COMP_CNT: 0
	.section	.text._ZN7rocprim17ROCPRIM_400000_NS6detail17trampoline_kernelINS0_14default_configENS1_32segmented_reduce_config_selectorIN3c108BFloat16EEEZNS1_21segmented_reduce_implIS3_PKS6_PS6_PKiS6_N6hipcub16HIPCUB_304000_NS6detail27convert_result_type_wrapperISA_SB_N2at6native12_GLOBAL__N_19CustomSumEEEEE10hipError_tPvRmT0_T1_jT2_SS_T4_T3_P12ihipStream_tbEUlT_E_NS1_11comp_targetILNS1_3genE0ELNS1_11target_archE4294967295ELNS1_3gpuE0ELNS1_3repE0EEENS1_30default_config_static_selectorELNS0_4arch9wavefront6targetE0EEEvSR_,"axG",@progbits,_ZN7rocprim17ROCPRIM_400000_NS6detail17trampoline_kernelINS0_14default_configENS1_32segmented_reduce_config_selectorIN3c108BFloat16EEEZNS1_21segmented_reduce_implIS3_PKS6_PS6_PKiS6_N6hipcub16HIPCUB_304000_NS6detail27convert_result_type_wrapperISA_SB_N2at6native12_GLOBAL__N_19CustomSumEEEEE10hipError_tPvRmT0_T1_jT2_SS_T4_T3_P12ihipStream_tbEUlT_E_NS1_11comp_targetILNS1_3genE0ELNS1_11target_archE4294967295ELNS1_3gpuE0ELNS1_3repE0EEENS1_30default_config_static_selectorELNS0_4arch9wavefront6targetE0EEEvSR_,comdat
	.globl	_ZN7rocprim17ROCPRIM_400000_NS6detail17trampoline_kernelINS0_14default_configENS1_32segmented_reduce_config_selectorIN3c108BFloat16EEEZNS1_21segmented_reduce_implIS3_PKS6_PS6_PKiS6_N6hipcub16HIPCUB_304000_NS6detail27convert_result_type_wrapperISA_SB_N2at6native12_GLOBAL__N_19CustomSumEEEEE10hipError_tPvRmT0_T1_jT2_SS_T4_T3_P12ihipStream_tbEUlT_E_NS1_11comp_targetILNS1_3genE0ELNS1_11target_archE4294967295ELNS1_3gpuE0ELNS1_3repE0EEENS1_30default_config_static_selectorELNS0_4arch9wavefront6targetE0EEEvSR_ ; -- Begin function _ZN7rocprim17ROCPRIM_400000_NS6detail17trampoline_kernelINS0_14default_configENS1_32segmented_reduce_config_selectorIN3c108BFloat16EEEZNS1_21segmented_reduce_implIS3_PKS6_PS6_PKiS6_N6hipcub16HIPCUB_304000_NS6detail27convert_result_type_wrapperISA_SB_N2at6native12_GLOBAL__N_19CustomSumEEEEE10hipError_tPvRmT0_T1_jT2_SS_T4_T3_P12ihipStream_tbEUlT_E_NS1_11comp_targetILNS1_3genE0ELNS1_11target_archE4294967295ELNS1_3gpuE0ELNS1_3repE0EEENS1_30default_config_static_selectorELNS0_4arch9wavefront6targetE0EEEvSR_
	.p2align	8
	.type	_ZN7rocprim17ROCPRIM_400000_NS6detail17trampoline_kernelINS0_14default_configENS1_32segmented_reduce_config_selectorIN3c108BFloat16EEEZNS1_21segmented_reduce_implIS3_PKS6_PS6_PKiS6_N6hipcub16HIPCUB_304000_NS6detail27convert_result_type_wrapperISA_SB_N2at6native12_GLOBAL__N_19CustomSumEEEEE10hipError_tPvRmT0_T1_jT2_SS_T4_T3_P12ihipStream_tbEUlT_E_NS1_11comp_targetILNS1_3genE0ELNS1_11target_archE4294967295ELNS1_3gpuE0ELNS1_3repE0EEENS1_30default_config_static_selectorELNS0_4arch9wavefront6targetE0EEEvSR_,@function
_ZN7rocprim17ROCPRIM_400000_NS6detail17trampoline_kernelINS0_14default_configENS1_32segmented_reduce_config_selectorIN3c108BFloat16EEEZNS1_21segmented_reduce_implIS3_PKS6_PS6_PKiS6_N6hipcub16HIPCUB_304000_NS6detail27convert_result_type_wrapperISA_SB_N2at6native12_GLOBAL__N_19CustomSumEEEEE10hipError_tPvRmT0_T1_jT2_SS_T4_T3_P12ihipStream_tbEUlT_E_NS1_11comp_targetILNS1_3genE0ELNS1_11target_archE4294967295ELNS1_3gpuE0ELNS1_3repE0EEENS1_30default_config_static_selectorELNS0_4arch9wavefront6targetE0EEEvSR_: ; @_ZN7rocprim17ROCPRIM_400000_NS6detail17trampoline_kernelINS0_14default_configENS1_32segmented_reduce_config_selectorIN3c108BFloat16EEEZNS1_21segmented_reduce_implIS3_PKS6_PS6_PKiS6_N6hipcub16HIPCUB_304000_NS6detail27convert_result_type_wrapperISA_SB_N2at6native12_GLOBAL__N_19CustomSumEEEEE10hipError_tPvRmT0_T1_jT2_SS_T4_T3_P12ihipStream_tbEUlT_E_NS1_11comp_targetILNS1_3genE0ELNS1_11target_archE4294967295ELNS1_3gpuE0ELNS1_3repE0EEENS1_30default_config_static_selectorELNS0_4arch9wavefront6targetE0EEEvSR_
; %bb.0:
	.section	.rodata,"a",@progbits
	.p2align	6, 0x0
	.amdhsa_kernel _ZN7rocprim17ROCPRIM_400000_NS6detail17trampoline_kernelINS0_14default_configENS1_32segmented_reduce_config_selectorIN3c108BFloat16EEEZNS1_21segmented_reduce_implIS3_PKS6_PS6_PKiS6_N6hipcub16HIPCUB_304000_NS6detail27convert_result_type_wrapperISA_SB_N2at6native12_GLOBAL__N_19CustomSumEEEEE10hipError_tPvRmT0_T1_jT2_SS_T4_T3_P12ihipStream_tbEUlT_E_NS1_11comp_targetILNS1_3genE0ELNS1_11target_archE4294967295ELNS1_3gpuE0ELNS1_3repE0EEENS1_30default_config_static_selectorELNS0_4arch9wavefront6targetE0EEEvSR_
		.amdhsa_group_segment_fixed_size 0
		.amdhsa_private_segment_fixed_size 0
		.amdhsa_kernarg_size 48
		.amdhsa_user_sgpr_count 6
		.amdhsa_user_sgpr_private_segment_buffer 1
		.amdhsa_user_sgpr_dispatch_ptr 0
		.amdhsa_user_sgpr_queue_ptr 0
		.amdhsa_user_sgpr_kernarg_segment_ptr 1
		.amdhsa_user_sgpr_dispatch_id 0
		.amdhsa_user_sgpr_flat_scratch_init 0
		.amdhsa_user_sgpr_private_segment_size 0
		.amdhsa_wavefront_size32 1
		.amdhsa_uses_dynamic_stack 0
		.amdhsa_system_sgpr_private_segment_wavefront_offset 0
		.amdhsa_system_sgpr_workgroup_id_x 1
		.amdhsa_system_sgpr_workgroup_id_y 0
		.amdhsa_system_sgpr_workgroup_id_z 0
		.amdhsa_system_sgpr_workgroup_info 0
		.amdhsa_system_vgpr_workitem_id 0
		.amdhsa_next_free_vgpr 1
		.amdhsa_next_free_sgpr 1
		.amdhsa_reserve_vcc 0
		.amdhsa_reserve_flat_scratch 0
		.amdhsa_float_round_mode_32 0
		.amdhsa_float_round_mode_16_64 0
		.amdhsa_float_denorm_mode_32 3
		.amdhsa_float_denorm_mode_16_64 3
		.amdhsa_dx10_clamp 1
		.amdhsa_ieee_mode 1
		.amdhsa_fp16_overflow 0
		.amdhsa_workgroup_processor_mode 1
		.amdhsa_memory_ordered 1
		.amdhsa_forward_progress 1
		.amdhsa_shared_vgpr_count 0
		.amdhsa_exception_fp_ieee_invalid_op 0
		.amdhsa_exception_fp_denorm_src 0
		.amdhsa_exception_fp_ieee_div_zero 0
		.amdhsa_exception_fp_ieee_overflow 0
		.amdhsa_exception_fp_ieee_underflow 0
		.amdhsa_exception_fp_ieee_inexact 0
		.amdhsa_exception_int_div_zero 0
	.end_amdhsa_kernel
	.section	.text._ZN7rocprim17ROCPRIM_400000_NS6detail17trampoline_kernelINS0_14default_configENS1_32segmented_reduce_config_selectorIN3c108BFloat16EEEZNS1_21segmented_reduce_implIS3_PKS6_PS6_PKiS6_N6hipcub16HIPCUB_304000_NS6detail27convert_result_type_wrapperISA_SB_N2at6native12_GLOBAL__N_19CustomSumEEEEE10hipError_tPvRmT0_T1_jT2_SS_T4_T3_P12ihipStream_tbEUlT_E_NS1_11comp_targetILNS1_3genE0ELNS1_11target_archE4294967295ELNS1_3gpuE0ELNS1_3repE0EEENS1_30default_config_static_selectorELNS0_4arch9wavefront6targetE0EEEvSR_,"axG",@progbits,_ZN7rocprim17ROCPRIM_400000_NS6detail17trampoline_kernelINS0_14default_configENS1_32segmented_reduce_config_selectorIN3c108BFloat16EEEZNS1_21segmented_reduce_implIS3_PKS6_PS6_PKiS6_N6hipcub16HIPCUB_304000_NS6detail27convert_result_type_wrapperISA_SB_N2at6native12_GLOBAL__N_19CustomSumEEEEE10hipError_tPvRmT0_T1_jT2_SS_T4_T3_P12ihipStream_tbEUlT_E_NS1_11comp_targetILNS1_3genE0ELNS1_11target_archE4294967295ELNS1_3gpuE0ELNS1_3repE0EEENS1_30default_config_static_selectorELNS0_4arch9wavefront6targetE0EEEvSR_,comdat
.Lfunc_end119:
	.size	_ZN7rocprim17ROCPRIM_400000_NS6detail17trampoline_kernelINS0_14default_configENS1_32segmented_reduce_config_selectorIN3c108BFloat16EEEZNS1_21segmented_reduce_implIS3_PKS6_PS6_PKiS6_N6hipcub16HIPCUB_304000_NS6detail27convert_result_type_wrapperISA_SB_N2at6native12_GLOBAL__N_19CustomSumEEEEE10hipError_tPvRmT0_T1_jT2_SS_T4_T3_P12ihipStream_tbEUlT_E_NS1_11comp_targetILNS1_3genE0ELNS1_11target_archE4294967295ELNS1_3gpuE0ELNS1_3repE0EEENS1_30default_config_static_selectorELNS0_4arch9wavefront6targetE0EEEvSR_, .Lfunc_end119-_ZN7rocprim17ROCPRIM_400000_NS6detail17trampoline_kernelINS0_14default_configENS1_32segmented_reduce_config_selectorIN3c108BFloat16EEEZNS1_21segmented_reduce_implIS3_PKS6_PS6_PKiS6_N6hipcub16HIPCUB_304000_NS6detail27convert_result_type_wrapperISA_SB_N2at6native12_GLOBAL__N_19CustomSumEEEEE10hipError_tPvRmT0_T1_jT2_SS_T4_T3_P12ihipStream_tbEUlT_E_NS1_11comp_targetILNS1_3genE0ELNS1_11target_archE4294967295ELNS1_3gpuE0ELNS1_3repE0EEENS1_30default_config_static_selectorELNS0_4arch9wavefront6targetE0EEEvSR_
                                        ; -- End function
	.set _ZN7rocprim17ROCPRIM_400000_NS6detail17trampoline_kernelINS0_14default_configENS1_32segmented_reduce_config_selectorIN3c108BFloat16EEEZNS1_21segmented_reduce_implIS3_PKS6_PS6_PKiS6_N6hipcub16HIPCUB_304000_NS6detail27convert_result_type_wrapperISA_SB_N2at6native12_GLOBAL__N_19CustomSumEEEEE10hipError_tPvRmT0_T1_jT2_SS_T4_T3_P12ihipStream_tbEUlT_E_NS1_11comp_targetILNS1_3genE0ELNS1_11target_archE4294967295ELNS1_3gpuE0ELNS1_3repE0EEENS1_30default_config_static_selectorELNS0_4arch9wavefront6targetE0EEEvSR_.num_vgpr, 0
	.set _ZN7rocprim17ROCPRIM_400000_NS6detail17trampoline_kernelINS0_14default_configENS1_32segmented_reduce_config_selectorIN3c108BFloat16EEEZNS1_21segmented_reduce_implIS3_PKS6_PS6_PKiS6_N6hipcub16HIPCUB_304000_NS6detail27convert_result_type_wrapperISA_SB_N2at6native12_GLOBAL__N_19CustomSumEEEEE10hipError_tPvRmT0_T1_jT2_SS_T4_T3_P12ihipStream_tbEUlT_E_NS1_11comp_targetILNS1_3genE0ELNS1_11target_archE4294967295ELNS1_3gpuE0ELNS1_3repE0EEENS1_30default_config_static_selectorELNS0_4arch9wavefront6targetE0EEEvSR_.num_agpr, 0
	.set _ZN7rocprim17ROCPRIM_400000_NS6detail17trampoline_kernelINS0_14default_configENS1_32segmented_reduce_config_selectorIN3c108BFloat16EEEZNS1_21segmented_reduce_implIS3_PKS6_PS6_PKiS6_N6hipcub16HIPCUB_304000_NS6detail27convert_result_type_wrapperISA_SB_N2at6native12_GLOBAL__N_19CustomSumEEEEE10hipError_tPvRmT0_T1_jT2_SS_T4_T3_P12ihipStream_tbEUlT_E_NS1_11comp_targetILNS1_3genE0ELNS1_11target_archE4294967295ELNS1_3gpuE0ELNS1_3repE0EEENS1_30default_config_static_selectorELNS0_4arch9wavefront6targetE0EEEvSR_.numbered_sgpr, 0
	.set _ZN7rocprim17ROCPRIM_400000_NS6detail17trampoline_kernelINS0_14default_configENS1_32segmented_reduce_config_selectorIN3c108BFloat16EEEZNS1_21segmented_reduce_implIS3_PKS6_PS6_PKiS6_N6hipcub16HIPCUB_304000_NS6detail27convert_result_type_wrapperISA_SB_N2at6native12_GLOBAL__N_19CustomSumEEEEE10hipError_tPvRmT0_T1_jT2_SS_T4_T3_P12ihipStream_tbEUlT_E_NS1_11comp_targetILNS1_3genE0ELNS1_11target_archE4294967295ELNS1_3gpuE0ELNS1_3repE0EEENS1_30default_config_static_selectorELNS0_4arch9wavefront6targetE0EEEvSR_.num_named_barrier, 0
	.set _ZN7rocprim17ROCPRIM_400000_NS6detail17trampoline_kernelINS0_14default_configENS1_32segmented_reduce_config_selectorIN3c108BFloat16EEEZNS1_21segmented_reduce_implIS3_PKS6_PS6_PKiS6_N6hipcub16HIPCUB_304000_NS6detail27convert_result_type_wrapperISA_SB_N2at6native12_GLOBAL__N_19CustomSumEEEEE10hipError_tPvRmT0_T1_jT2_SS_T4_T3_P12ihipStream_tbEUlT_E_NS1_11comp_targetILNS1_3genE0ELNS1_11target_archE4294967295ELNS1_3gpuE0ELNS1_3repE0EEENS1_30default_config_static_selectorELNS0_4arch9wavefront6targetE0EEEvSR_.private_seg_size, 0
	.set _ZN7rocprim17ROCPRIM_400000_NS6detail17trampoline_kernelINS0_14default_configENS1_32segmented_reduce_config_selectorIN3c108BFloat16EEEZNS1_21segmented_reduce_implIS3_PKS6_PS6_PKiS6_N6hipcub16HIPCUB_304000_NS6detail27convert_result_type_wrapperISA_SB_N2at6native12_GLOBAL__N_19CustomSumEEEEE10hipError_tPvRmT0_T1_jT2_SS_T4_T3_P12ihipStream_tbEUlT_E_NS1_11comp_targetILNS1_3genE0ELNS1_11target_archE4294967295ELNS1_3gpuE0ELNS1_3repE0EEENS1_30default_config_static_selectorELNS0_4arch9wavefront6targetE0EEEvSR_.uses_vcc, 0
	.set _ZN7rocprim17ROCPRIM_400000_NS6detail17trampoline_kernelINS0_14default_configENS1_32segmented_reduce_config_selectorIN3c108BFloat16EEEZNS1_21segmented_reduce_implIS3_PKS6_PS6_PKiS6_N6hipcub16HIPCUB_304000_NS6detail27convert_result_type_wrapperISA_SB_N2at6native12_GLOBAL__N_19CustomSumEEEEE10hipError_tPvRmT0_T1_jT2_SS_T4_T3_P12ihipStream_tbEUlT_E_NS1_11comp_targetILNS1_3genE0ELNS1_11target_archE4294967295ELNS1_3gpuE0ELNS1_3repE0EEENS1_30default_config_static_selectorELNS0_4arch9wavefront6targetE0EEEvSR_.uses_flat_scratch, 0
	.set _ZN7rocprim17ROCPRIM_400000_NS6detail17trampoline_kernelINS0_14default_configENS1_32segmented_reduce_config_selectorIN3c108BFloat16EEEZNS1_21segmented_reduce_implIS3_PKS6_PS6_PKiS6_N6hipcub16HIPCUB_304000_NS6detail27convert_result_type_wrapperISA_SB_N2at6native12_GLOBAL__N_19CustomSumEEEEE10hipError_tPvRmT0_T1_jT2_SS_T4_T3_P12ihipStream_tbEUlT_E_NS1_11comp_targetILNS1_3genE0ELNS1_11target_archE4294967295ELNS1_3gpuE0ELNS1_3repE0EEENS1_30default_config_static_selectorELNS0_4arch9wavefront6targetE0EEEvSR_.has_dyn_sized_stack, 0
	.set _ZN7rocprim17ROCPRIM_400000_NS6detail17trampoline_kernelINS0_14default_configENS1_32segmented_reduce_config_selectorIN3c108BFloat16EEEZNS1_21segmented_reduce_implIS3_PKS6_PS6_PKiS6_N6hipcub16HIPCUB_304000_NS6detail27convert_result_type_wrapperISA_SB_N2at6native12_GLOBAL__N_19CustomSumEEEEE10hipError_tPvRmT0_T1_jT2_SS_T4_T3_P12ihipStream_tbEUlT_E_NS1_11comp_targetILNS1_3genE0ELNS1_11target_archE4294967295ELNS1_3gpuE0ELNS1_3repE0EEENS1_30default_config_static_selectorELNS0_4arch9wavefront6targetE0EEEvSR_.has_recursion, 0
	.set _ZN7rocprim17ROCPRIM_400000_NS6detail17trampoline_kernelINS0_14default_configENS1_32segmented_reduce_config_selectorIN3c108BFloat16EEEZNS1_21segmented_reduce_implIS3_PKS6_PS6_PKiS6_N6hipcub16HIPCUB_304000_NS6detail27convert_result_type_wrapperISA_SB_N2at6native12_GLOBAL__N_19CustomSumEEEEE10hipError_tPvRmT0_T1_jT2_SS_T4_T3_P12ihipStream_tbEUlT_E_NS1_11comp_targetILNS1_3genE0ELNS1_11target_archE4294967295ELNS1_3gpuE0ELNS1_3repE0EEENS1_30default_config_static_selectorELNS0_4arch9wavefront6targetE0EEEvSR_.has_indirect_call, 0
	.section	.AMDGPU.csdata,"",@progbits
; Kernel info:
; codeLenInByte = 0
; TotalNumSgprs: 0
; NumVgprs: 0
; ScratchSize: 0
; MemoryBound: 0
; FloatMode: 240
; IeeeMode: 1
; LDSByteSize: 0 bytes/workgroup (compile time only)
; SGPRBlocks: 0
; VGPRBlocks: 0
; NumSGPRsForWavesPerEU: 1
; NumVGPRsForWavesPerEU: 1
; Occupancy: 16
; WaveLimiterHint : 0
; COMPUTE_PGM_RSRC2:SCRATCH_EN: 0
; COMPUTE_PGM_RSRC2:USER_SGPR: 6
; COMPUTE_PGM_RSRC2:TRAP_HANDLER: 0
; COMPUTE_PGM_RSRC2:TGID_X_EN: 1
; COMPUTE_PGM_RSRC2:TGID_Y_EN: 0
; COMPUTE_PGM_RSRC2:TGID_Z_EN: 0
; COMPUTE_PGM_RSRC2:TIDIG_COMP_CNT: 0
	.section	.text._ZN7rocprim17ROCPRIM_400000_NS6detail17trampoline_kernelINS0_14default_configENS1_32segmented_reduce_config_selectorIN3c108BFloat16EEEZNS1_21segmented_reduce_implIS3_PKS6_PS6_PKiS6_N6hipcub16HIPCUB_304000_NS6detail27convert_result_type_wrapperISA_SB_N2at6native12_GLOBAL__N_19CustomSumEEEEE10hipError_tPvRmT0_T1_jT2_SS_T4_T3_P12ihipStream_tbEUlT_E_NS1_11comp_targetILNS1_3genE5ELNS1_11target_archE942ELNS1_3gpuE9ELNS1_3repE0EEENS1_30default_config_static_selectorELNS0_4arch9wavefront6targetE0EEEvSR_,"axG",@progbits,_ZN7rocprim17ROCPRIM_400000_NS6detail17trampoline_kernelINS0_14default_configENS1_32segmented_reduce_config_selectorIN3c108BFloat16EEEZNS1_21segmented_reduce_implIS3_PKS6_PS6_PKiS6_N6hipcub16HIPCUB_304000_NS6detail27convert_result_type_wrapperISA_SB_N2at6native12_GLOBAL__N_19CustomSumEEEEE10hipError_tPvRmT0_T1_jT2_SS_T4_T3_P12ihipStream_tbEUlT_E_NS1_11comp_targetILNS1_3genE5ELNS1_11target_archE942ELNS1_3gpuE9ELNS1_3repE0EEENS1_30default_config_static_selectorELNS0_4arch9wavefront6targetE0EEEvSR_,comdat
	.globl	_ZN7rocprim17ROCPRIM_400000_NS6detail17trampoline_kernelINS0_14default_configENS1_32segmented_reduce_config_selectorIN3c108BFloat16EEEZNS1_21segmented_reduce_implIS3_PKS6_PS6_PKiS6_N6hipcub16HIPCUB_304000_NS6detail27convert_result_type_wrapperISA_SB_N2at6native12_GLOBAL__N_19CustomSumEEEEE10hipError_tPvRmT0_T1_jT2_SS_T4_T3_P12ihipStream_tbEUlT_E_NS1_11comp_targetILNS1_3genE5ELNS1_11target_archE942ELNS1_3gpuE9ELNS1_3repE0EEENS1_30default_config_static_selectorELNS0_4arch9wavefront6targetE0EEEvSR_ ; -- Begin function _ZN7rocprim17ROCPRIM_400000_NS6detail17trampoline_kernelINS0_14default_configENS1_32segmented_reduce_config_selectorIN3c108BFloat16EEEZNS1_21segmented_reduce_implIS3_PKS6_PS6_PKiS6_N6hipcub16HIPCUB_304000_NS6detail27convert_result_type_wrapperISA_SB_N2at6native12_GLOBAL__N_19CustomSumEEEEE10hipError_tPvRmT0_T1_jT2_SS_T4_T3_P12ihipStream_tbEUlT_E_NS1_11comp_targetILNS1_3genE5ELNS1_11target_archE942ELNS1_3gpuE9ELNS1_3repE0EEENS1_30default_config_static_selectorELNS0_4arch9wavefront6targetE0EEEvSR_
	.p2align	8
	.type	_ZN7rocprim17ROCPRIM_400000_NS6detail17trampoline_kernelINS0_14default_configENS1_32segmented_reduce_config_selectorIN3c108BFloat16EEEZNS1_21segmented_reduce_implIS3_PKS6_PS6_PKiS6_N6hipcub16HIPCUB_304000_NS6detail27convert_result_type_wrapperISA_SB_N2at6native12_GLOBAL__N_19CustomSumEEEEE10hipError_tPvRmT0_T1_jT2_SS_T4_T3_P12ihipStream_tbEUlT_E_NS1_11comp_targetILNS1_3genE5ELNS1_11target_archE942ELNS1_3gpuE9ELNS1_3repE0EEENS1_30default_config_static_selectorELNS0_4arch9wavefront6targetE0EEEvSR_,@function
_ZN7rocprim17ROCPRIM_400000_NS6detail17trampoline_kernelINS0_14default_configENS1_32segmented_reduce_config_selectorIN3c108BFloat16EEEZNS1_21segmented_reduce_implIS3_PKS6_PS6_PKiS6_N6hipcub16HIPCUB_304000_NS6detail27convert_result_type_wrapperISA_SB_N2at6native12_GLOBAL__N_19CustomSumEEEEE10hipError_tPvRmT0_T1_jT2_SS_T4_T3_P12ihipStream_tbEUlT_E_NS1_11comp_targetILNS1_3genE5ELNS1_11target_archE942ELNS1_3gpuE9ELNS1_3repE0EEENS1_30default_config_static_selectorELNS0_4arch9wavefront6targetE0EEEvSR_: ; @_ZN7rocprim17ROCPRIM_400000_NS6detail17trampoline_kernelINS0_14default_configENS1_32segmented_reduce_config_selectorIN3c108BFloat16EEEZNS1_21segmented_reduce_implIS3_PKS6_PS6_PKiS6_N6hipcub16HIPCUB_304000_NS6detail27convert_result_type_wrapperISA_SB_N2at6native12_GLOBAL__N_19CustomSumEEEEE10hipError_tPvRmT0_T1_jT2_SS_T4_T3_P12ihipStream_tbEUlT_E_NS1_11comp_targetILNS1_3genE5ELNS1_11target_archE942ELNS1_3gpuE9ELNS1_3repE0EEENS1_30default_config_static_selectorELNS0_4arch9wavefront6targetE0EEEvSR_
; %bb.0:
	.section	.rodata,"a",@progbits
	.p2align	6, 0x0
	.amdhsa_kernel _ZN7rocprim17ROCPRIM_400000_NS6detail17trampoline_kernelINS0_14default_configENS1_32segmented_reduce_config_selectorIN3c108BFloat16EEEZNS1_21segmented_reduce_implIS3_PKS6_PS6_PKiS6_N6hipcub16HIPCUB_304000_NS6detail27convert_result_type_wrapperISA_SB_N2at6native12_GLOBAL__N_19CustomSumEEEEE10hipError_tPvRmT0_T1_jT2_SS_T4_T3_P12ihipStream_tbEUlT_E_NS1_11comp_targetILNS1_3genE5ELNS1_11target_archE942ELNS1_3gpuE9ELNS1_3repE0EEENS1_30default_config_static_selectorELNS0_4arch9wavefront6targetE0EEEvSR_
		.amdhsa_group_segment_fixed_size 0
		.amdhsa_private_segment_fixed_size 0
		.amdhsa_kernarg_size 48
		.amdhsa_user_sgpr_count 6
		.amdhsa_user_sgpr_private_segment_buffer 1
		.amdhsa_user_sgpr_dispatch_ptr 0
		.amdhsa_user_sgpr_queue_ptr 0
		.amdhsa_user_sgpr_kernarg_segment_ptr 1
		.amdhsa_user_sgpr_dispatch_id 0
		.amdhsa_user_sgpr_flat_scratch_init 0
		.amdhsa_user_sgpr_private_segment_size 0
		.amdhsa_wavefront_size32 1
		.amdhsa_uses_dynamic_stack 0
		.amdhsa_system_sgpr_private_segment_wavefront_offset 0
		.amdhsa_system_sgpr_workgroup_id_x 1
		.amdhsa_system_sgpr_workgroup_id_y 0
		.amdhsa_system_sgpr_workgroup_id_z 0
		.amdhsa_system_sgpr_workgroup_info 0
		.amdhsa_system_vgpr_workitem_id 0
		.amdhsa_next_free_vgpr 1
		.amdhsa_next_free_sgpr 1
		.amdhsa_reserve_vcc 0
		.amdhsa_reserve_flat_scratch 0
		.amdhsa_float_round_mode_32 0
		.amdhsa_float_round_mode_16_64 0
		.amdhsa_float_denorm_mode_32 3
		.amdhsa_float_denorm_mode_16_64 3
		.amdhsa_dx10_clamp 1
		.amdhsa_ieee_mode 1
		.amdhsa_fp16_overflow 0
		.amdhsa_workgroup_processor_mode 1
		.amdhsa_memory_ordered 1
		.amdhsa_forward_progress 1
		.amdhsa_shared_vgpr_count 0
		.amdhsa_exception_fp_ieee_invalid_op 0
		.amdhsa_exception_fp_denorm_src 0
		.amdhsa_exception_fp_ieee_div_zero 0
		.amdhsa_exception_fp_ieee_overflow 0
		.amdhsa_exception_fp_ieee_underflow 0
		.amdhsa_exception_fp_ieee_inexact 0
		.amdhsa_exception_int_div_zero 0
	.end_amdhsa_kernel
	.section	.text._ZN7rocprim17ROCPRIM_400000_NS6detail17trampoline_kernelINS0_14default_configENS1_32segmented_reduce_config_selectorIN3c108BFloat16EEEZNS1_21segmented_reduce_implIS3_PKS6_PS6_PKiS6_N6hipcub16HIPCUB_304000_NS6detail27convert_result_type_wrapperISA_SB_N2at6native12_GLOBAL__N_19CustomSumEEEEE10hipError_tPvRmT0_T1_jT2_SS_T4_T3_P12ihipStream_tbEUlT_E_NS1_11comp_targetILNS1_3genE5ELNS1_11target_archE942ELNS1_3gpuE9ELNS1_3repE0EEENS1_30default_config_static_selectorELNS0_4arch9wavefront6targetE0EEEvSR_,"axG",@progbits,_ZN7rocprim17ROCPRIM_400000_NS6detail17trampoline_kernelINS0_14default_configENS1_32segmented_reduce_config_selectorIN3c108BFloat16EEEZNS1_21segmented_reduce_implIS3_PKS6_PS6_PKiS6_N6hipcub16HIPCUB_304000_NS6detail27convert_result_type_wrapperISA_SB_N2at6native12_GLOBAL__N_19CustomSumEEEEE10hipError_tPvRmT0_T1_jT2_SS_T4_T3_P12ihipStream_tbEUlT_E_NS1_11comp_targetILNS1_3genE5ELNS1_11target_archE942ELNS1_3gpuE9ELNS1_3repE0EEENS1_30default_config_static_selectorELNS0_4arch9wavefront6targetE0EEEvSR_,comdat
.Lfunc_end120:
	.size	_ZN7rocprim17ROCPRIM_400000_NS6detail17trampoline_kernelINS0_14default_configENS1_32segmented_reduce_config_selectorIN3c108BFloat16EEEZNS1_21segmented_reduce_implIS3_PKS6_PS6_PKiS6_N6hipcub16HIPCUB_304000_NS6detail27convert_result_type_wrapperISA_SB_N2at6native12_GLOBAL__N_19CustomSumEEEEE10hipError_tPvRmT0_T1_jT2_SS_T4_T3_P12ihipStream_tbEUlT_E_NS1_11comp_targetILNS1_3genE5ELNS1_11target_archE942ELNS1_3gpuE9ELNS1_3repE0EEENS1_30default_config_static_selectorELNS0_4arch9wavefront6targetE0EEEvSR_, .Lfunc_end120-_ZN7rocprim17ROCPRIM_400000_NS6detail17trampoline_kernelINS0_14default_configENS1_32segmented_reduce_config_selectorIN3c108BFloat16EEEZNS1_21segmented_reduce_implIS3_PKS6_PS6_PKiS6_N6hipcub16HIPCUB_304000_NS6detail27convert_result_type_wrapperISA_SB_N2at6native12_GLOBAL__N_19CustomSumEEEEE10hipError_tPvRmT0_T1_jT2_SS_T4_T3_P12ihipStream_tbEUlT_E_NS1_11comp_targetILNS1_3genE5ELNS1_11target_archE942ELNS1_3gpuE9ELNS1_3repE0EEENS1_30default_config_static_selectorELNS0_4arch9wavefront6targetE0EEEvSR_
                                        ; -- End function
	.set _ZN7rocprim17ROCPRIM_400000_NS6detail17trampoline_kernelINS0_14default_configENS1_32segmented_reduce_config_selectorIN3c108BFloat16EEEZNS1_21segmented_reduce_implIS3_PKS6_PS6_PKiS6_N6hipcub16HIPCUB_304000_NS6detail27convert_result_type_wrapperISA_SB_N2at6native12_GLOBAL__N_19CustomSumEEEEE10hipError_tPvRmT0_T1_jT2_SS_T4_T3_P12ihipStream_tbEUlT_E_NS1_11comp_targetILNS1_3genE5ELNS1_11target_archE942ELNS1_3gpuE9ELNS1_3repE0EEENS1_30default_config_static_selectorELNS0_4arch9wavefront6targetE0EEEvSR_.num_vgpr, 0
	.set _ZN7rocprim17ROCPRIM_400000_NS6detail17trampoline_kernelINS0_14default_configENS1_32segmented_reduce_config_selectorIN3c108BFloat16EEEZNS1_21segmented_reduce_implIS3_PKS6_PS6_PKiS6_N6hipcub16HIPCUB_304000_NS6detail27convert_result_type_wrapperISA_SB_N2at6native12_GLOBAL__N_19CustomSumEEEEE10hipError_tPvRmT0_T1_jT2_SS_T4_T3_P12ihipStream_tbEUlT_E_NS1_11comp_targetILNS1_3genE5ELNS1_11target_archE942ELNS1_3gpuE9ELNS1_3repE0EEENS1_30default_config_static_selectorELNS0_4arch9wavefront6targetE0EEEvSR_.num_agpr, 0
	.set _ZN7rocprim17ROCPRIM_400000_NS6detail17trampoline_kernelINS0_14default_configENS1_32segmented_reduce_config_selectorIN3c108BFloat16EEEZNS1_21segmented_reduce_implIS3_PKS6_PS6_PKiS6_N6hipcub16HIPCUB_304000_NS6detail27convert_result_type_wrapperISA_SB_N2at6native12_GLOBAL__N_19CustomSumEEEEE10hipError_tPvRmT0_T1_jT2_SS_T4_T3_P12ihipStream_tbEUlT_E_NS1_11comp_targetILNS1_3genE5ELNS1_11target_archE942ELNS1_3gpuE9ELNS1_3repE0EEENS1_30default_config_static_selectorELNS0_4arch9wavefront6targetE0EEEvSR_.numbered_sgpr, 0
	.set _ZN7rocprim17ROCPRIM_400000_NS6detail17trampoline_kernelINS0_14default_configENS1_32segmented_reduce_config_selectorIN3c108BFloat16EEEZNS1_21segmented_reduce_implIS3_PKS6_PS6_PKiS6_N6hipcub16HIPCUB_304000_NS6detail27convert_result_type_wrapperISA_SB_N2at6native12_GLOBAL__N_19CustomSumEEEEE10hipError_tPvRmT0_T1_jT2_SS_T4_T3_P12ihipStream_tbEUlT_E_NS1_11comp_targetILNS1_3genE5ELNS1_11target_archE942ELNS1_3gpuE9ELNS1_3repE0EEENS1_30default_config_static_selectorELNS0_4arch9wavefront6targetE0EEEvSR_.num_named_barrier, 0
	.set _ZN7rocprim17ROCPRIM_400000_NS6detail17trampoline_kernelINS0_14default_configENS1_32segmented_reduce_config_selectorIN3c108BFloat16EEEZNS1_21segmented_reduce_implIS3_PKS6_PS6_PKiS6_N6hipcub16HIPCUB_304000_NS6detail27convert_result_type_wrapperISA_SB_N2at6native12_GLOBAL__N_19CustomSumEEEEE10hipError_tPvRmT0_T1_jT2_SS_T4_T3_P12ihipStream_tbEUlT_E_NS1_11comp_targetILNS1_3genE5ELNS1_11target_archE942ELNS1_3gpuE9ELNS1_3repE0EEENS1_30default_config_static_selectorELNS0_4arch9wavefront6targetE0EEEvSR_.private_seg_size, 0
	.set _ZN7rocprim17ROCPRIM_400000_NS6detail17trampoline_kernelINS0_14default_configENS1_32segmented_reduce_config_selectorIN3c108BFloat16EEEZNS1_21segmented_reduce_implIS3_PKS6_PS6_PKiS6_N6hipcub16HIPCUB_304000_NS6detail27convert_result_type_wrapperISA_SB_N2at6native12_GLOBAL__N_19CustomSumEEEEE10hipError_tPvRmT0_T1_jT2_SS_T4_T3_P12ihipStream_tbEUlT_E_NS1_11comp_targetILNS1_3genE5ELNS1_11target_archE942ELNS1_3gpuE9ELNS1_3repE0EEENS1_30default_config_static_selectorELNS0_4arch9wavefront6targetE0EEEvSR_.uses_vcc, 0
	.set _ZN7rocprim17ROCPRIM_400000_NS6detail17trampoline_kernelINS0_14default_configENS1_32segmented_reduce_config_selectorIN3c108BFloat16EEEZNS1_21segmented_reduce_implIS3_PKS6_PS6_PKiS6_N6hipcub16HIPCUB_304000_NS6detail27convert_result_type_wrapperISA_SB_N2at6native12_GLOBAL__N_19CustomSumEEEEE10hipError_tPvRmT0_T1_jT2_SS_T4_T3_P12ihipStream_tbEUlT_E_NS1_11comp_targetILNS1_3genE5ELNS1_11target_archE942ELNS1_3gpuE9ELNS1_3repE0EEENS1_30default_config_static_selectorELNS0_4arch9wavefront6targetE0EEEvSR_.uses_flat_scratch, 0
	.set _ZN7rocprim17ROCPRIM_400000_NS6detail17trampoline_kernelINS0_14default_configENS1_32segmented_reduce_config_selectorIN3c108BFloat16EEEZNS1_21segmented_reduce_implIS3_PKS6_PS6_PKiS6_N6hipcub16HIPCUB_304000_NS6detail27convert_result_type_wrapperISA_SB_N2at6native12_GLOBAL__N_19CustomSumEEEEE10hipError_tPvRmT0_T1_jT2_SS_T4_T3_P12ihipStream_tbEUlT_E_NS1_11comp_targetILNS1_3genE5ELNS1_11target_archE942ELNS1_3gpuE9ELNS1_3repE0EEENS1_30default_config_static_selectorELNS0_4arch9wavefront6targetE0EEEvSR_.has_dyn_sized_stack, 0
	.set _ZN7rocprim17ROCPRIM_400000_NS6detail17trampoline_kernelINS0_14default_configENS1_32segmented_reduce_config_selectorIN3c108BFloat16EEEZNS1_21segmented_reduce_implIS3_PKS6_PS6_PKiS6_N6hipcub16HIPCUB_304000_NS6detail27convert_result_type_wrapperISA_SB_N2at6native12_GLOBAL__N_19CustomSumEEEEE10hipError_tPvRmT0_T1_jT2_SS_T4_T3_P12ihipStream_tbEUlT_E_NS1_11comp_targetILNS1_3genE5ELNS1_11target_archE942ELNS1_3gpuE9ELNS1_3repE0EEENS1_30default_config_static_selectorELNS0_4arch9wavefront6targetE0EEEvSR_.has_recursion, 0
	.set _ZN7rocprim17ROCPRIM_400000_NS6detail17trampoline_kernelINS0_14default_configENS1_32segmented_reduce_config_selectorIN3c108BFloat16EEEZNS1_21segmented_reduce_implIS3_PKS6_PS6_PKiS6_N6hipcub16HIPCUB_304000_NS6detail27convert_result_type_wrapperISA_SB_N2at6native12_GLOBAL__N_19CustomSumEEEEE10hipError_tPvRmT0_T1_jT2_SS_T4_T3_P12ihipStream_tbEUlT_E_NS1_11comp_targetILNS1_3genE5ELNS1_11target_archE942ELNS1_3gpuE9ELNS1_3repE0EEENS1_30default_config_static_selectorELNS0_4arch9wavefront6targetE0EEEvSR_.has_indirect_call, 0
	.section	.AMDGPU.csdata,"",@progbits
; Kernel info:
; codeLenInByte = 0
; TotalNumSgprs: 0
; NumVgprs: 0
; ScratchSize: 0
; MemoryBound: 0
; FloatMode: 240
; IeeeMode: 1
; LDSByteSize: 0 bytes/workgroup (compile time only)
; SGPRBlocks: 0
; VGPRBlocks: 0
; NumSGPRsForWavesPerEU: 1
; NumVGPRsForWavesPerEU: 1
; Occupancy: 16
; WaveLimiterHint : 0
; COMPUTE_PGM_RSRC2:SCRATCH_EN: 0
; COMPUTE_PGM_RSRC2:USER_SGPR: 6
; COMPUTE_PGM_RSRC2:TRAP_HANDLER: 0
; COMPUTE_PGM_RSRC2:TGID_X_EN: 1
; COMPUTE_PGM_RSRC2:TGID_Y_EN: 0
; COMPUTE_PGM_RSRC2:TGID_Z_EN: 0
; COMPUTE_PGM_RSRC2:TIDIG_COMP_CNT: 0
	.section	.text._ZN7rocprim17ROCPRIM_400000_NS6detail17trampoline_kernelINS0_14default_configENS1_32segmented_reduce_config_selectorIN3c108BFloat16EEEZNS1_21segmented_reduce_implIS3_PKS6_PS6_PKiS6_N6hipcub16HIPCUB_304000_NS6detail27convert_result_type_wrapperISA_SB_N2at6native12_GLOBAL__N_19CustomSumEEEEE10hipError_tPvRmT0_T1_jT2_SS_T4_T3_P12ihipStream_tbEUlT_E_NS1_11comp_targetILNS1_3genE10ELNS1_11target_archE1201ELNS1_3gpuE5ELNS1_3repE0EEENS1_30default_config_static_selectorELNS0_4arch9wavefront6targetE0EEEvSR_,"axG",@progbits,_ZN7rocprim17ROCPRIM_400000_NS6detail17trampoline_kernelINS0_14default_configENS1_32segmented_reduce_config_selectorIN3c108BFloat16EEEZNS1_21segmented_reduce_implIS3_PKS6_PS6_PKiS6_N6hipcub16HIPCUB_304000_NS6detail27convert_result_type_wrapperISA_SB_N2at6native12_GLOBAL__N_19CustomSumEEEEE10hipError_tPvRmT0_T1_jT2_SS_T4_T3_P12ihipStream_tbEUlT_E_NS1_11comp_targetILNS1_3genE10ELNS1_11target_archE1201ELNS1_3gpuE5ELNS1_3repE0EEENS1_30default_config_static_selectorELNS0_4arch9wavefront6targetE0EEEvSR_,comdat
	.globl	_ZN7rocprim17ROCPRIM_400000_NS6detail17trampoline_kernelINS0_14default_configENS1_32segmented_reduce_config_selectorIN3c108BFloat16EEEZNS1_21segmented_reduce_implIS3_PKS6_PS6_PKiS6_N6hipcub16HIPCUB_304000_NS6detail27convert_result_type_wrapperISA_SB_N2at6native12_GLOBAL__N_19CustomSumEEEEE10hipError_tPvRmT0_T1_jT2_SS_T4_T3_P12ihipStream_tbEUlT_E_NS1_11comp_targetILNS1_3genE10ELNS1_11target_archE1201ELNS1_3gpuE5ELNS1_3repE0EEENS1_30default_config_static_selectorELNS0_4arch9wavefront6targetE0EEEvSR_ ; -- Begin function _ZN7rocprim17ROCPRIM_400000_NS6detail17trampoline_kernelINS0_14default_configENS1_32segmented_reduce_config_selectorIN3c108BFloat16EEEZNS1_21segmented_reduce_implIS3_PKS6_PS6_PKiS6_N6hipcub16HIPCUB_304000_NS6detail27convert_result_type_wrapperISA_SB_N2at6native12_GLOBAL__N_19CustomSumEEEEE10hipError_tPvRmT0_T1_jT2_SS_T4_T3_P12ihipStream_tbEUlT_E_NS1_11comp_targetILNS1_3genE10ELNS1_11target_archE1201ELNS1_3gpuE5ELNS1_3repE0EEENS1_30default_config_static_selectorELNS0_4arch9wavefront6targetE0EEEvSR_
	.p2align	8
	.type	_ZN7rocprim17ROCPRIM_400000_NS6detail17trampoline_kernelINS0_14default_configENS1_32segmented_reduce_config_selectorIN3c108BFloat16EEEZNS1_21segmented_reduce_implIS3_PKS6_PS6_PKiS6_N6hipcub16HIPCUB_304000_NS6detail27convert_result_type_wrapperISA_SB_N2at6native12_GLOBAL__N_19CustomSumEEEEE10hipError_tPvRmT0_T1_jT2_SS_T4_T3_P12ihipStream_tbEUlT_E_NS1_11comp_targetILNS1_3genE10ELNS1_11target_archE1201ELNS1_3gpuE5ELNS1_3repE0EEENS1_30default_config_static_selectorELNS0_4arch9wavefront6targetE0EEEvSR_,@function
_ZN7rocprim17ROCPRIM_400000_NS6detail17trampoline_kernelINS0_14default_configENS1_32segmented_reduce_config_selectorIN3c108BFloat16EEEZNS1_21segmented_reduce_implIS3_PKS6_PS6_PKiS6_N6hipcub16HIPCUB_304000_NS6detail27convert_result_type_wrapperISA_SB_N2at6native12_GLOBAL__N_19CustomSumEEEEE10hipError_tPvRmT0_T1_jT2_SS_T4_T3_P12ihipStream_tbEUlT_E_NS1_11comp_targetILNS1_3genE10ELNS1_11target_archE1201ELNS1_3gpuE5ELNS1_3repE0EEENS1_30default_config_static_selectorELNS0_4arch9wavefront6targetE0EEEvSR_: ; @_ZN7rocprim17ROCPRIM_400000_NS6detail17trampoline_kernelINS0_14default_configENS1_32segmented_reduce_config_selectorIN3c108BFloat16EEEZNS1_21segmented_reduce_implIS3_PKS6_PS6_PKiS6_N6hipcub16HIPCUB_304000_NS6detail27convert_result_type_wrapperISA_SB_N2at6native12_GLOBAL__N_19CustomSumEEEEE10hipError_tPvRmT0_T1_jT2_SS_T4_T3_P12ihipStream_tbEUlT_E_NS1_11comp_targetILNS1_3genE10ELNS1_11target_archE1201ELNS1_3gpuE5ELNS1_3repE0EEENS1_30default_config_static_selectorELNS0_4arch9wavefront6targetE0EEEvSR_
; %bb.0:
	.section	.rodata,"a",@progbits
	.p2align	6, 0x0
	.amdhsa_kernel _ZN7rocprim17ROCPRIM_400000_NS6detail17trampoline_kernelINS0_14default_configENS1_32segmented_reduce_config_selectorIN3c108BFloat16EEEZNS1_21segmented_reduce_implIS3_PKS6_PS6_PKiS6_N6hipcub16HIPCUB_304000_NS6detail27convert_result_type_wrapperISA_SB_N2at6native12_GLOBAL__N_19CustomSumEEEEE10hipError_tPvRmT0_T1_jT2_SS_T4_T3_P12ihipStream_tbEUlT_E_NS1_11comp_targetILNS1_3genE10ELNS1_11target_archE1201ELNS1_3gpuE5ELNS1_3repE0EEENS1_30default_config_static_selectorELNS0_4arch9wavefront6targetE0EEEvSR_
		.amdhsa_group_segment_fixed_size 0
		.amdhsa_private_segment_fixed_size 0
		.amdhsa_kernarg_size 48
		.amdhsa_user_sgpr_count 6
		.amdhsa_user_sgpr_private_segment_buffer 1
		.amdhsa_user_sgpr_dispatch_ptr 0
		.amdhsa_user_sgpr_queue_ptr 0
		.amdhsa_user_sgpr_kernarg_segment_ptr 1
		.amdhsa_user_sgpr_dispatch_id 0
		.amdhsa_user_sgpr_flat_scratch_init 0
		.amdhsa_user_sgpr_private_segment_size 0
		.amdhsa_wavefront_size32 1
		.amdhsa_uses_dynamic_stack 0
		.amdhsa_system_sgpr_private_segment_wavefront_offset 0
		.amdhsa_system_sgpr_workgroup_id_x 1
		.amdhsa_system_sgpr_workgroup_id_y 0
		.amdhsa_system_sgpr_workgroup_id_z 0
		.amdhsa_system_sgpr_workgroup_info 0
		.amdhsa_system_vgpr_workitem_id 0
		.amdhsa_next_free_vgpr 1
		.amdhsa_next_free_sgpr 1
		.amdhsa_reserve_vcc 0
		.amdhsa_reserve_flat_scratch 0
		.amdhsa_float_round_mode_32 0
		.amdhsa_float_round_mode_16_64 0
		.amdhsa_float_denorm_mode_32 3
		.amdhsa_float_denorm_mode_16_64 3
		.amdhsa_dx10_clamp 1
		.amdhsa_ieee_mode 1
		.amdhsa_fp16_overflow 0
		.amdhsa_workgroup_processor_mode 1
		.amdhsa_memory_ordered 1
		.amdhsa_forward_progress 1
		.amdhsa_shared_vgpr_count 0
		.amdhsa_exception_fp_ieee_invalid_op 0
		.amdhsa_exception_fp_denorm_src 0
		.amdhsa_exception_fp_ieee_div_zero 0
		.amdhsa_exception_fp_ieee_overflow 0
		.amdhsa_exception_fp_ieee_underflow 0
		.amdhsa_exception_fp_ieee_inexact 0
		.amdhsa_exception_int_div_zero 0
	.end_amdhsa_kernel
	.section	.text._ZN7rocprim17ROCPRIM_400000_NS6detail17trampoline_kernelINS0_14default_configENS1_32segmented_reduce_config_selectorIN3c108BFloat16EEEZNS1_21segmented_reduce_implIS3_PKS6_PS6_PKiS6_N6hipcub16HIPCUB_304000_NS6detail27convert_result_type_wrapperISA_SB_N2at6native12_GLOBAL__N_19CustomSumEEEEE10hipError_tPvRmT0_T1_jT2_SS_T4_T3_P12ihipStream_tbEUlT_E_NS1_11comp_targetILNS1_3genE10ELNS1_11target_archE1201ELNS1_3gpuE5ELNS1_3repE0EEENS1_30default_config_static_selectorELNS0_4arch9wavefront6targetE0EEEvSR_,"axG",@progbits,_ZN7rocprim17ROCPRIM_400000_NS6detail17trampoline_kernelINS0_14default_configENS1_32segmented_reduce_config_selectorIN3c108BFloat16EEEZNS1_21segmented_reduce_implIS3_PKS6_PS6_PKiS6_N6hipcub16HIPCUB_304000_NS6detail27convert_result_type_wrapperISA_SB_N2at6native12_GLOBAL__N_19CustomSumEEEEE10hipError_tPvRmT0_T1_jT2_SS_T4_T3_P12ihipStream_tbEUlT_E_NS1_11comp_targetILNS1_3genE10ELNS1_11target_archE1201ELNS1_3gpuE5ELNS1_3repE0EEENS1_30default_config_static_selectorELNS0_4arch9wavefront6targetE0EEEvSR_,comdat
.Lfunc_end121:
	.size	_ZN7rocprim17ROCPRIM_400000_NS6detail17trampoline_kernelINS0_14default_configENS1_32segmented_reduce_config_selectorIN3c108BFloat16EEEZNS1_21segmented_reduce_implIS3_PKS6_PS6_PKiS6_N6hipcub16HIPCUB_304000_NS6detail27convert_result_type_wrapperISA_SB_N2at6native12_GLOBAL__N_19CustomSumEEEEE10hipError_tPvRmT0_T1_jT2_SS_T4_T3_P12ihipStream_tbEUlT_E_NS1_11comp_targetILNS1_3genE10ELNS1_11target_archE1201ELNS1_3gpuE5ELNS1_3repE0EEENS1_30default_config_static_selectorELNS0_4arch9wavefront6targetE0EEEvSR_, .Lfunc_end121-_ZN7rocprim17ROCPRIM_400000_NS6detail17trampoline_kernelINS0_14default_configENS1_32segmented_reduce_config_selectorIN3c108BFloat16EEEZNS1_21segmented_reduce_implIS3_PKS6_PS6_PKiS6_N6hipcub16HIPCUB_304000_NS6detail27convert_result_type_wrapperISA_SB_N2at6native12_GLOBAL__N_19CustomSumEEEEE10hipError_tPvRmT0_T1_jT2_SS_T4_T3_P12ihipStream_tbEUlT_E_NS1_11comp_targetILNS1_3genE10ELNS1_11target_archE1201ELNS1_3gpuE5ELNS1_3repE0EEENS1_30default_config_static_selectorELNS0_4arch9wavefront6targetE0EEEvSR_
                                        ; -- End function
	.set _ZN7rocprim17ROCPRIM_400000_NS6detail17trampoline_kernelINS0_14default_configENS1_32segmented_reduce_config_selectorIN3c108BFloat16EEEZNS1_21segmented_reduce_implIS3_PKS6_PS6_PKiS6_N6hipcub16HIPCUB_304000_NS6detail27convert_result_type_wrapperISA_SB_N2at6native12_GLOBAL__N_19CustomSumEEEEE10hipError_tPvRmT0_T1_jT2_SS_T4_T3_P12ihipStream_tbEUlT_E_NS1_11comp_targetILNS1_3genE10ELNS1_11target_archE1201ELNS1_3gpuE5ELNS1_3repE0EEENS1_30default_config_static_selectorELNS0_4arch9wavefront6targetE0EEEvSR_.num_vgpr, 0
	.set _ZN7rocprim17ROCPRIM_400000_NS6detail17trampoline_kernelINS0_14default_configENS1_32segmented_reduce_config_selectorIN3c108BFloat16EEEZNS1_21segmented_reduce_implIS3_PKS6_PS6_PKiS6_N6hipcub16HIPCUB_304000_NS6detail27convert_result_type_wrapperISA_SB_N2at6native12_GLOBAL__N_19CustomSumEEEEE10hipError_tPvRmT0_T1_jT2_SS_T4_T3_P12ihipStream_tbEUlT_E_NS1_11comp_targetILNS1_3genE10ELNS1_11target_archE1201ELNS1_3gpuE5ELNS1_3repE0EEENS1_30default_config_static_selectorELNS0_4arch9wavefront6targetE0EEEvSR_.num_agpr, 0
	.set _ZN7rocprim17ROCPRIM_400000_NS6detail17trampoline_kernelINS0_14default_configENS1_32segmented_reduce_config_selectorIN3c108BFloat16EEEZNS1_21segmented_reduce_implIS3_PKS6_PS6_PKiS6_N6hipcub16HIPCUB_304000_NS6detail27convert_result_type_wrapperISA_SB_N2at6native12_GLOBAL__N_19CustomSumEEEEE10hipError_tPvRmT0_T1_jT2_SS_T4_T3_P12ihipStream_tbEUlT_E_NS1_11comp_targetILNS1_3genE10ELNS1_11target_archE1201ELNS1_3gpuE5ELNS1_3repE0EEENS1_30default_config_static_selectorELNS0_4arch9wavefront6targetE0EEEvSR_.numbered_sgpr, 0
	.set _ZN7rocprim17ROCPRIM_400000_NS6detail17trampoline_kernelINS0_14default_configENS1_32segmented_reduce_config_selectorIN3c108BFloat16EEEZNS1_21segmented_reduce_implIS3_PKS6_PS6_PKiS6_N6hipcub16HIPCUB_304000_NS6detail27convert_result_type_wrapperISA_SB_N2at6native12_GLOBAL__N_19CustomSumEEEEE10hipError_tPvRmT0_T1_jT2_SS_T4_T3_P12ihipStream_tbEUlT_E_NS1_11comp_targetILNS1_3genE10ELNS1_11target_archE1201ELNS1_3gpuE5ELNS1_3repE0EEENS1_30default_config_static_selectorELNS0_4arch9wavefront6targetE0EEEvSR_.num_named_barrier, 0
	.set _ZN7rocprim17ROCPRIM_400000_NS6detail17trampoline_kernelINS0_14default_configENS1_32segmented_reduce_config_selectorIN3c108BFloat16EEEZNS1_21segmented_reduce_implIS3_PKS6_PS6_PKiS6_N6hipcub16HIPCUB_304000_NS6detail27convert_result_type_wrapperISA_SB_N2at6native12_GLOBAL__N_19CustomSumEEEEE10hipError_tPvRmT0_T1_jT2_SS_T4_T3_P12ihipStream_tbEUlT_E_NS1_11comp_targetILNS1_3genE10ELNS1_11target_archE1201ELNS1_3gpuE5ELNS1_3repE0EEENS1_30default_config_static_selectorELNS0_4arch9wavefront6targetE0EEEvSR_.private_seg_size, 0
	.set _ZN7rocprim17ROCPRIM_400000_NS6detail17trampoline_kernelINS0_14default_configENS1_32segmented_reduce_config_selectorIN3c108BFloat16EEEZNS1_21segmented_reduce_implIS3_PKS6_PS6_PKiS6_N6hipcub16HIPCUB_304000_NS6detail27convert_result_type_wrapperISA_SB_N2at6native12_GLOBAL__N_19CustomSumEEEEE10hipError_tPvRmT0_T1_jT2_SS_T4_T3_P12ihipStream_tbEUlT_E_NS1_11comp_targetILNS1_3genE10ELNS1_11target_archE1201ELNS1_3gpuE5ELNS1_3repE0EEENS1_30default_config_static_selectorELNS0_4arch9wavefront6targetE0EEEvSR_.uses_vcc, 0
	.set _ZN7rocprim17ROCPRIM_400000_NS6detail17trampoline_kernelINS0_14default_configENS1_32segmented_reduce_config_selectorIN3c108BFloat16EEEZNS1_21segmented_reduce_implIS3_PKS6_PS6_PKiS6_N6hipcub16HIPCUB_304000_NS6detail27convert_result_type_wrapperISA_SB_N2at6native12_GLOBAL__N_19CustomSumEEEEE10hipError_tPvRmT0_T1_jT2_SS_T4_T3_P12ihipStream_tbEUlT_E_NS1_11comp_targetILNS1_3genE10ELNS1_11target_archE1201ELNS1_3gpuE5ELNS1_3repE0EEENS1_30default_config_static_selectorELNS0_4arch9wavefront6targetE0EEEvSR_.uses_flat_scratch, 0
	.set _ZN7rocprim17ROCPRIM_400000_NS6detail17trampoline_kernelINS0_14default_configENS1_32segmented_reduce_config_selectorIN3c108BFloat16EEEZNS1_21segmented_reduce_implIS3_PKS6_PS6_PKiS6_N6hipcub16HIPCUB_304000_NS6detail27convert_result_type_wrapperISA_SB_N2at6native12_GLOBAL__N_19CustomSumEEEEE10hipError_tPvRmT0_T1_jT2_SS_T4_T3_P12ihipStream_tbEUlT_E_NS1_11comp_targetILNS1_3genE10ELNS1_11target_archE1201ELNS1_3gpuE5ELNS1_3repE0EEENS1_30default_config_static_selectorELNS0_4arch9wavefront6targetE0EEEvSR_.has_dyn_sized_stack, 0
	.set _ZN7rocprim17ROCPRIM_400000_NS6detail17trampoline_kernelINS0_14default_configENS1_32segmented_reduce_config_selectorIN3c108BFloat16EEEZNS1_21segmented_reduce_implIS3_PKS6_PS6_PKiS6_N6hipcub16HIPCUB_304000_NS6detail27convert_result_type_wrapperISA_SB_N2at6native12_GLOBAL__N_19CustomSumEEEEE10hipError_tPvRmT0_T1_jT2_SS_T4_T3_P12ihipStream_tbEUlT_E_NS1_11comp_targetILNS1_3genE10ELNS1_11target_archE1201ELNS1_3gpuE5ELNS1_3repE0EEENS1_30default_config_static_selectorELNS0_4arch9wavefront6targetE0EEEvSR_.has_recursion, 0
	.set _ZN7rocprim17ROCPRIM_400000_NS6detail17trampoline_kernelINS0_14default_configENS1_32segmented_reduce_config_selectorIN3c108BFloat16EEEZNS1_21segmented_reduce_implIS3_PKS6_PS6_PKiS6_N6hipcub16HIPCUB_304000_NS6detail27convert_result_type_wrapperISA_SB_N2at6native12_GLOBAL__N_19CustomSumEEEEE10hipError_tPvRmT0_T1_jT2_SS_T4_T3_P12ihipStream_tbEUlT_E_NS1_11comp_targetILNS1_3genE10ELNS1_11target_archE1201ELNS1_3gpuE5ELNS1_3repE0EEENS1_30default_config_static_selectorELNS0_4arch9wavefront6targetE0EEEvSR_.has_indirect_call, 0
	.section	.AMDGPU.csdata,"",@progbits
; Kernel info:
; codeLenInByte = 0
; TotalNumSgprs: 0
; NumVgprs: 0
; ScratchSize: 0
; MemoryBound: 0
; FloatMode: 240
; IeeeMode: 1
; LDSByteSize: 0 bytes/workgroup (compile time only)
; SGPRBlocks: 0
; VGPRBlocks: 0
; NumSGPRsForWavesPerEU: 1
; NumVGPRsForWavesPerEU: 1
; Occupancy: 16
; WaveLimiterHint : 0
; COMPUTE_PGM_RSRC2:SCRATCH_EN: 0
; COMPUTE_PGM_RSRC2:USER_SGPR: 6
; COMPUTE_PGM_RSRC2:TRAP_HANDLER: 0
; COMPUTE_PGM_RSRC2:TGID_X_EN: 1
; COMPUTE_PGM_RSRC2:TGID_Y_EN: 0
; COMPUTE_PGM_RSRC2:TGID_Z_EN: 0
; COMPUTE_PGM_RSRC2:TIDIG_COMP_CNT: 0
	.section	.text._ZN7rocprim17ROCPRIM_400000_NS6detail17trampoline_kernelINS0_14default_configENS1_32segmented_reduce_config_selectorIN3c108BFloat16EEEZNS1_21segmented_reduce_implIS3_PKS6_PS6_PKiS6_N6hipcub16HIPCUB_304000_NS6detail27convert_result_type_wrapperISA_SB_N2at6native12_GLOBAL__N_19CustomSumEEEEE10hipError_tPvRmT0_T1_jT2_SS_T4_T3_P12ihipStream_tbEUlT_E_NS1_11comp_targetILNS1_3genE4ELNS1_11target_archE910ELNS1_3gpuE8ELNS1_3repE0EEENS1_30default_config_static_selectorELNS0_4arch9wavefront6targetE0EEEvSR_,"axG",@progbits,_ZN7rocprim17ROCPRIM_400000_NS6detail17trampoline_kernelINS0_14default_configENS1_32segmented_reduce_config_selectorIN3c108BFloat16EEEZNS1_21segmented_reduce_implIS3_PKS6_PS6_PKiS6_N6hipcub16HIPCUB_304000_NS6detail27convert_result_type_wrapperISA_SB_N2at6native12_GLOBAL__N_19CustomSumEEEEE10hipError_tPvRmT0_T1_jT2_SS_T4_T3_P12ihipStream_tbEUlT_E_NS1_11comp_targetILNS1_3genE4ELNS1_11target_archE910ELNS1_3gpuE8ELNS1_3repE0EEENS1_30default_config_static_selectorELNS0_4arch9wavefront6targetE0EEEvSR_,comdat
	.globl	_ZN7rocprim17ROCPRIM_400000_NS6detail17trampoline_kernelINS0_14default_configENS1_32segmented_reduce_config_selectorIN3c108BFloat16EEEZNS1_21segmented_reduce_implIS3_PKS6_PS6_PKiS6_N6hipcub16HIPCUB_304000_NS6detail27convert_result_type_wrapperISA_SB_N2at6native12_GLOBAL__N_19CustomSumEEEEE10hipError_tPvRmT0_T1_jT2_SS_T4_T3_P12ihipStream_tbEUlT_E_NS1_11comp_targetILNS1_3genE4ELNS1_11target_archE910ELNS1_3gpuE8ELNS1_3repE0EEENS1_30default_config_static_selectorELNS0_4arch9wavefront6targetE0EEEvSR_ ; -- Begin function _ZN7rocprim17ROCPRIM_400000_NS6detail17trampoline_kernelINS0_14default_configENS1_32segmented_reduce_config_selectorIN3c108BFloat16EEEZNS1_21segmented_reduce_implIS3_PKS6_PS6_PKiS6_N6hipcub16HIPCUB_304000_NS6detail27convert_result_type_wrapperISA_SB_N2at6native12_GLOBAL__N_19CustomSumEEEEE10hipError_tPvRmT0_T1_jT2_SS_T4_T3_P12ihipStream_tbEUlT_E_NS1_11comp_targetILNS1_3genE4ELNS1_11target_archE910ELNS1_3gpuE8ELNS1_3repE0EEENS1_30default_config_static_selectorELNS0_4arch9wavefront6targetE0EEEvSR_
	.p2align	8
	.type	_ZN7rocprim17ROCPRIM_400000_NS6detail17trampoline_kernelINS0_14default_configENS1_32segmented_reduce_config_selectorIN3c108BFloat16EEEZNS1_21segmented_reduce_implIS3_PKS6_PS6_PKiS6_N6hipcub16HIPCUB_304000_NS6detail27convert_result_type_wrapperISA_SB_N2at6native12_GLOBAL__N_19CustomSumEEEEE10hipError_tPvRmT0_T1_jT2_SS_T4_T3_P12ihipStream_tbEUlT_E_NS1_11comp_targetILNS1_3genE4ELNS1_11target_archE910ELNS1_3gpuE8ELNS1_3repE0EEENS1_30default_config_static_selectorELNS0_4arch9wavefront6targetE0EEEvSR_,@function
_ZN7rocprim17ROCPRIM_400000_NS6detail17trampoline_kernelINS0_14default_configENS1_32segmented_reduce_config_selectorIN3c108BFloat16EEEZNS1_21segmented_reduce_implIS3_PKS6_PS6_PKiS6_N6hipcub16HIPCUB_304000_NS6detail27convert_result_type_wrapperISA_SB_N2at6native12_GLOBAL__N_19CustomSumEEEEE10hipError_tPvRmT0_T1_jT2_SS_T4_T3_P12ihipStream_tbEUlT_E_NS1_11comp_targetILNS1_3genE4ELNS1_11target_archE910ELNS1_3gpuE8ELNS1_3repE0EEENS1_30default_config_static_selectorELNS0_4arch9wavefront6targetE0EEEvSR_: ; @_ZN7rocprim17ROCPRIM_400000_NS6detail17trampoline_kernelINS0_14default_configENS1_32segmented_reduce_config_selectorIN3c108BFloat16EEEZNS1_21segmented_reduce_implIS3_PKS6_PS6_PKiS6_N6hipcub16HIPCUB_304000_NS6detail27convert_result_type_wrapperISA_SB_N2at6native12_GLOBAL__N_19CustomSumEEEEE10hipError_tPvRmT0_T1_jT2_SS_T4_T3_P12ihipStream_tbEUlT_E_NS1_11comp_targetILNS1_3genE4ELNS1_11target_archE910ELNS1_3gpuE8ELNS1_3repE0EEENS1_30default_config_static_selectorELNS0_4arch9wavefront6targetE0EEEvSR_
; %bb.0:
	.section	.rodata,"a",@progbits
	.p2align	6, 0x0
	.amdhsa_kernel _ZN7rocprim17ROCPRIM_400000_NS6detail17trampoline_kernelINS0_14default_configENS1_32segmented_reduce_config_selectorIN3c108BFloat16EEEZNS1_21segmented_reduce_implIS3_PKS6_PS6_PKiS6_N6hipcub16HIPCUB_304000_NS6detail27convert_result_type_wrapperISA_SB_N2at6native12_GLOBAL__N_19CustomSumEEEEE10hipError_tPvRmT0_T1_jT2_SS_T4_T3_P12ihipStream_tbEUlT_E_NS1_11comp_targetILNS1_3genE4ELNS1_11target_archE910ELNS1_3gpuE8ELNS1_3repE0EEENS1_30default_config_static_selectorELNS0_4arch9wavefront6targetE0EEEvSR_
		.amdhsa_group_segment_fixed_size 0
		.amdhsa_private_segment_fixed_size 0
		.amdhsa_kernarg_size 48
		.amdhsa_user_sgpr_count 6
		.amdhsa_user_sgpr_private_segment_buffer 1
		.amdhsa_user_sgpr_dispatch_ptr 0
		.amdhsa_user_sgpr_queue_ptr 0
		.amdhsa_user_sgpr_kernarg_segment_ptr 1
		.amdhsa_user_sgpr_dispatch_id 0
		.amdhsa_user_sgpr_flat_scratch_init 0
		.amdhsa_user_sgpr_private_segment_size 0
		.amdhsa_wavefront_size32 1
		.amdhsa_uses_dynamic_stack 0
		.amdhsa_system_sgpr_private_segment_wavefront_offset 0
		.amdhsa_system_sgpr_workgroup_id_x 1
		.amdhsa_system_sgpr_workgroup_id_y 0
		.amdhsa_system_sgpr_workgroup_id_z 0
		.amdhsa_system_sgpr_workgroup_info 0
		.amdhsa_system_vgpr_workitem_id 0
		.amdhsa_next_free_vgpr 1
		.amdhsa_next_free_sgpr 1
		.amdhsa_reserve_vcc 0
		.amdhsa_reserve_flat_scratch 0
		.amdhsa_float_round_mode_32 0
		.amdhsa_float_round_mode_16_64 0
		.amdhsa_float_denorm_mode_32 3
		.amdhsa_float_denorm_mode_16_64 3
		.amdhsa_dx10_clamp 1
		.amdhsa_ieee_mode 1
		.amdhsa_fp16_overflow 0
		.amdhsa_workgroup_processor_mode 1
		.amdhsa_memory_ordered 1
		.amdhsa_forward_progress 1
		.amdhsa_shared_vgpr_count 0
		.amdhsa_exception_fp_ieee_invalid_op 0
		.amdhsa_exception_fp_denorm_src 0
		.amdhsa_exception_fp_ieee_div_zero 0
		.amdhsa_exception_fp_ieee_overflow 0
		.amdhsa_exception_fp_ieee_underflow 0
		.amdhsa_exception_fp_ieee_inexact 0
		.amdhsa_exception_int_div_zero 0
	.end_amdhsa_kernel
	.section	.text._ZN7rocprim17ROCPRIM_400000_NS6detail17trampoline_kernelINS0_14default_configENS1_32segmented_reduce_config_selectorIN3c108BFloat16EEEZNS1_21segmented_reduce_implIS3_PKS6_PS6_PKiS6_N6hipcub16HIPCUB_304000_NS6detail27convert_result_type_wrapperISA_SB_N2at6native12_GLOBAL__N_19CustomSumEEEEE10hipError_tPvRmT0_T1_jT2_SS_T4_T3_P12ihipStream_tbEUlT_E_NS1_11comp_targetILNS1_3genE4ELNS1_11target_archE910ELNS1_3gpuE8ELNS1_3repE0EEENS1_30default_config_static_selectorELNS0_4arch9wavefront6targetE0EEEvSR_,"axG",@progbits,_ZN7rocprim17ROCPRIM_400000_NS6detail17trampoline_kernelINS0_14default_configENS1_32segmented_reduce_config_selectorIN3c108BFloat16EEEZNS1_21segmented_reduce_implIS3_PKS6_PS6_PKiS6_N6hipcub16HIPCUB_304000_NS6detail27convert_result_type_wrapperISA_SB_N2at6native12_GLOBAL__N_19CustomSumEEEEE10hipError_tPvRmT0_T1_jT2_SS_T4_T3_P12ihipStream_tbEUlT_E_NS1_11comp_targetILNS1_3genE4ELNS1_11target_archE910ELNS1_3gpuE8ELNS1_3repE0EEENS1_30default_config_static_selectorELNS0_4arch9wavefront6targetE0EEEvSR_,comdat
.Lfunc_end122:
	.size	_ZN7rocprim17ROCPRIM_400000_NS6detail17trampoline_kernelINS0_14default_configENS1_32segmented_reduce_config_selectorIN3c108BFloat16EEEZNS1_21segmented_reduce_implIS3_PKS6_PS6_PKiS6_N6hipcub16HIPCUB_304000_NS6detail27convert_result_type_wrapperISA_SB_N2at6native12_GLOBAL__N_19CustomSumEEEEE10hipError_tPvRmT0_T1_jT2_SS_T4_T3_P12ihipStream_tbEUlT_E_NS1_11comp_targetILNS1_3genE4ELNS1_11target_archE910ELNS1_3gpuE8ELNS1_3repE0EEENS1_30default_config_static_selectorELNS0_4arch9wavefront6targetE0EEEvSR_, .Lfunc_end122-_ZN7rocprim17ROCPRIM_400000_NS6detail17trampoline_kernelINS0_14default_configENS1_32segmented_reduce_config_selectorIN3c108BFloat16EEEZNS1_21segmented_reduce_implIS3_PKS6_PS6_PKiS6_N6hipcub16HIPCUB_304000_NS6detail27convert_result_type_wrapperISA_SB_N2at6native12_GLOBAL__N_19CustomSumEEEEE10hipError_tPvRmT0_T1_jT2_SS_T4_T3_P12ihipStream_tbEUlT_E_NS1_11comp_targetILNS1_3genE4ELNS1_11target_archE910ELNS1_3gpuE8ELNS1_3repE0EEENS1_30default_config_static_selectorELNS0_4arch9wavefront6targetE0EEEvSR_
                                        ; -- End function
	.set _ZN7rocprim17ROCPRIM_400000_NS6detail17trampoline_kernelINS0_14default_configENS1_32segmented_reduce_config_selectorIN3c108BFloat16EEEZNS1_21segmented_reduce_implIS3_PKS6_PS6_PKiS6_N6hipcub16HIPCUB_304000_NS6detail27convert_result_type_wrapperISA_SB_N2at6native12_GLOBAL__N_19CustomSumEEEEE10hipError_tPvRmT0_T1_jT2_SS_T4_T3_P12ihipStream_tbEUlT_E_NS1_11comp_targetILNS1_3genE4ELNS1_11target_archE910ELNS1_3gpuE8ELNS1_3repE0EEENS1_30default_config_static_selectorELNS0_4arch9wavefront6targetE0EEEvSR_.num_vgpr, 0
	.set _ZN7rocprim17ROCPRIM_400000_NS6detail17trampoline_kernelINS0_14default_configENS1_32segmented_reduce_config_selectorIN3c108BFloat16EEEZNS1_21segmented_reduce_implIS3_PKS6_PS6_PKiS6_N6hipcub16HIPCUB_304000_NS6detail27convert_result_type_wrapperISA_SB_N2at6native12_GLOBAL__N_19CustomSumEEEEE10hipError_tPvRmT0_T1_jT2_SS_T4_T3_P12ihipStream_tbEUlT_E_NS1_11comp_targetILNS1_3genE4ELNS1_11target_archE910ELNS1_3gpuE8ELNS1_3repE0EEENS1_30default_config_static_selectorELNS0_4arch9wavefront6targetE0EEEvSR_.num_agpr, 0
	.set _ZN7rocprim17ROCPRIM_400000_NS6detail17trampoline_kernelINS0_14default_configENS1_32segmented_reduce_config_selectorIN3c108BFloat16EEEZNS1_21segmented_reduce_implIS3_PKS6_PS6_PKiS6_N6hipcub16HIPCUB_304000_NS6detail27convert_result_type_wrapperISA_SB_N2at6native12_GLOBAL__N_19CustomSumEEEEE10hipError_tPvRmT0_T1_jT2_SS_T4_T3_P12ihipStream_tbEUlT_E_NS1_11comp_targetILNS1_3genE4ELNS1_11target_archE910ELNS1_3gpuE8ELNS1_3repE0EEENS1_30default_config_static_selectorELNS0_4arch9wavefront6targetE0EEEvSR_.numbered_sgpr, 0
	.set _ZN7rocprim17ROCPRIM_400000_NS6detail17trampoline_kernelINS0_14default_configENS1_32segmented_reduce_config_selectorIN3c108BFloat16EEEZNS1_21segmented_reduce_implIS3_PKS6_PS6_PKiS6_N6hipcub16HIPCUB_304000_NS6detail27convert_result_type_wrapperISA_SB_N2at6native12_GLOBAL__N_19CustomSumEEEEE10hipError_tPvRmT0_T1_jT2_SS_T4_T3_P12ihipStream_tbEUlT_E_NS1_11comp_targetILNS1_3genE4ELNS1_11target_archE910ELNS1_3gpuE8ELNS1_3repE0EEENS1_30default_config_static_selectorELNS0_4arch9wavefront6targetE0EEEvSR_.num_named_barrier, 0
	.set _ZN7rocprim17ROCPRIM_400000_NS6detail17trampoline_kernelINS0_14default_configENS1_32segmented_reduce_config_selectorIN3c108BFloat16EEEZNS1_21segmented_reduce_implIS3_PKS6_PS6_PKiS6_N6hipcub16HIPCUB_304000_NS6detail27convert_result_type_wrapperISA_SB_N2at6native12_GLOBAL__N_19CustomSumEEEEE10hipError_tPvRmT0_T1_jT2_SS_T4_T3_P12ihipStream_tbEUlT_E_NS1_11comp_targetILNS1_3genE4ELNS1_11target_archE910ELNS1_3gpuE8ELNS1_3repE0EEENS1_30default_config_static_selectorELNS0_4arch9wavefront6targetE0EEEvSR_.private_seg_size, 0
	.set _ZN7rocprim17ROCPRIM_400000_NS6detail17trampoline_kernelINS0_14default_configENS1_32segmented_reduce_config_selectorIN3c108BFloat16EEEZNS1_21segmented_reduce_implIS3_PKS6_PS6_PKiS6_N6hipcub16HIPCUB_304000_NS6detail27convert_result_type_wrapperISA_SB_N2at6native12_GLOBAL__N_19CustomSumEEEEE10hipError_tPvRmT0_T1_jT2_SS_T4_T3_P12ihipStream_tbEUlT_E_NS1_11comp_targetILNS1_3genE4ELNS1_11target_archE910ELNS1_3gpuE8ELNS1_3repE0EEENS1_30default_config_static_selectorELNS0_4arch9wavefront6targetE0EEEvSR_.uses_vcc, 0
	.set _ZN7rocprim17ROCPRIM_400000_NS6detail17trampoline_kernelINS0_14default_configENS1_32segmented_reduce_config_selectorIN3c108BFloat16EEEZNS1_21segmented_reduce_implIS3_PKS6_PS6_PKiS6_N6hipcub16HIPCUB_304000_NS6detail27convert_result_type_wrapperISA_SB_N2at6native12_GLOBAL__N_19CustomSumEEEEE10hipError_tPvRmT0_T1_jT2_SS_T4_T3_P12ihipStream_tbEUlT_E_NS1_11comp_targetILNS1_3genE4ELNS1_11target_archE910ELNS1_3gpuE8ELNS1_3repE0EEENS1_30default_config_static_selectorELNS0_4arch9wavefront6targetE0EEEvSR_.uses_flat_scratch, 0
	.set _ZN7rocprim17ROCPRIM_400000_NS6detail17trampoline_kernelINS0_14default_configENS1_32segmented_reduce_config_selectorIN3c108BFloat16EEEZNS1_21segmented_reduce_implIS3_PKS6_PS6_PKiS6_N6hipcub16HIPCUB_304000_NS6detail27convert_result_type_wrapperISA_SB_N2at6native12_GLOBAL__N_19CustomSumEEEEE10hipError_tPvRmT0_T1_jT2_SS_T4_T3_P12ihipStream_tbEUlT_E_NS1_11comp_targetILNS1_3genE4ELNS1_11target_archE910ELNS1_3gpuE8ELNS1_3repE0EEENS1_30default_config_static_selectorELNS0_4arch9wavefront6targetE0EEEvSR_.has_dyn_sized_stack, 0
	.set _ZN7rocprim17ROCPRIM_400000_NS6detail17trampoline_kernelINS0_14default_configENS1_32segmented_reduce_config_selectorIN3c108BFloat16EEEZNS1_21segmented_reduce_implIS3_PKS6_PS6_PKiS6_N6hipcub16HIPCUB_304000_NS6detail27convert_result_type_wrapperISA_SB_N2at6native12_GLOBAL__N_19CustomSumEEEEE10hipError_tPvRmT0_T1_jT2_SS_T4_T3_P12ihipStream_tbEUlT_E_NS1_11comp_targetILNS1_3genE4ELNS1_11target_archE910ELNS1_3gpuE8ELNS1_3repE0EEENS1_30default_config_static_selectorELNS0_4arch9wavefront6targetE0EEEvSR_.has_recursion, 0
	.set _ZN7rocprim17ROCPRIM_400000_NS6detail17trampoline_kernelINS0_14default_configENS1_32segmented_reduce_config_selectorIN3c108BFloat16EEEZNS1_21segmented_reduce_implIS3_PKS6_PS6_PKiS6_N6hipcub16HIPCUB_304000_NS6detail27convert_result_type_wrapperISA_SB_N2at6native12_GLOBAL__N_19CustomSumEEEEE10hipError_tPvRmT0_T1_jT2_SS_T4_T3_P12ihipStream_tbEUlT_E_NS1_11comp_targetILNS1_3genE4ELNS1_11target_archE910ELNS1_3gpuE8ELNS1_3repE0EEENS1_30default_config_static_selectorELNS0_4arch9wavefront6targetE0EEEvSR_.has_indirect_call, 0
	.section	.AMDGPU.csdata,"",@progbits
; Kernel info:
; codeLenInByte = 0
; TotalNumSgprs: 0
; NumVgprs: 0
; ScratchSize: 0
; MemoryBound: 0
; FloatMode: 240
; IeeeMode: 1
; LDSByteSize: 0 bytes/workgroup (compile time only)
; SGPRBlocks: 0
; VGPRBlocks: 0
; NumSGPRsForWavesPerEU: 1
; NumVGPRsForWavesPerEU: 1
; Occupancy: 16
; WaveLimiterHint : 0
; COMPUTE_PGM_RSRC2:SCRATCH_EN: 0
; COMPUTE_PGM_RSRC2:USER_SGPR: 6
; COMPUTE_PGM_RSRC2:TRAP_HANDLER: 0
; COMPUTE_PGM_RSRC2:TGID_X_EN: 1
; COMPUTE_PGM_RSRC2:TGID_Y_EN: 0
; COMPUTE_PGM_RSRC2:TGID_Z_EN: 0
; COMPUTE_PGM_RSRC2:TIDIG_COMP_CNT: 0
	.section	.text._ZN7rocprim17ROCPRIM_400000_NS6detail17trampoline_kernelINS0_14default_configENS1_32segmented_reduce_config_selectorIN3c108BFloat16EEEZNS1_21segmented_reduce_implIS3_PKS6_PS6_PKiS6_N6hipcub16HIPCUB_304000_NS6detail27convert_result_type_wrapperISA_SB_N2at6native12_GLOBAL__N_19CustomSumEEEEE10hipError_tPvRmT0_T1_jT2_SS_T4_T3_P12ihipStream_tbEUlT_E_NS1_11comp_targetILNS1_3genE3ELNS1_11target_archE908ELNS1_3gpuE7ELNS1_3repE0EEENS1_30default_config_static_selectorELNS0_4arch9wavefront6targetE0EEEvSR_,"axG",@progbits,_ZN7rocprim17ROCPRIM_400000_NS6detail17trampoline_kernelINS0_14default_configENS1_32segmented_reduce_config_selectorIN3c108BFloat16EEEZNS1_21segmented_reduce_implIS3_PKS6_PS6_PKiS6_N6hipcub16HIPCUB_304000_NS6detail27convert_result_type_wrapperISA_SB_N2at6native12_GLOBAL__N_19CustomSumEEEEE10hipError_tPvRmT0_T1_jT2_SS_T4_T3_P12ihipStream_tbEUlT_E_NS1_11comp_targetILNS1_3genE3ELNS1_11target_archE908ELNS1_3gpuE7ELNS1_3repE0EEENS1_30default_config_static_selectorELNS0_4arch9wavefront6targetE0EEEvSR_,comdat
	.globl	_ZN7rocprim17ROCPRIM_400000_NS6detail17trampoline_kernelINS0_14default_configENS1_32segmented_reduce_config_selectorIN3c108BFloat16EEEZNS1_21segmented_reduce_implIS3_PKS6_PS6_PKiS6_N6hipcub16HIPCUB_304000_NS6detail27convert_result_type_wrapperISA_SB_N2at6native12_GLOBAL__N_19CustomSumEEEEE10hipError_tPvRmT0_T1_jT2_SS_T4_T3_P12ihipStream_tbEUlT_E_NS1_11comp_targetILNS1_3genE3ELNS1_11target_archE908ELNS1_3gpuE7ELNS1_3repE0EEENS1_30default_config_static_selectorELNS0_4arch9wavefront6targetE0EEEvSR_ ; -- Begin function _ZN7rocprim17ROCPRIM_400000_NS6detail17trampoline_kernelINS0_14default_configENS1_32segmented_reduce_config_selectorIN3c108BFloat16EEEZNS1_21segmented_reduce_implIS3_PKS6_PS6_PKiS6_N6hipcub16HIPCUB_304000_NS6detail27convert_result_type_wrapperISA_SB_N2at6native12_GLOBAL__N_19CustomSumEEEEE10hipError_tPvRmT0_T1_jT2_SS_T4_T3_P12ihipStream_tbEUlT_E_NS1_11comp_targetILNS1_3genE3ELNS1_11target_archE908ELNS1_3gpuE7ELNS1_3repE0EEENS1_30default_config_static_selectorELNS0_4arch9wavefront6targetE0EEEvSR_
	.p2align	8
	.type	_ZN7rocprim17ROCPRIM_400000_NS6detail17trampoline_kernelINS0_14default_configENS1_32segmented_reduce_config_selectorIN3c108BFloat16EEEZNS1_21segmented_reduce_implIS3_PKS6_PS6_PKiS6_N6hipcub16HIPCUB_304000_NS6detail27convert_result_type_wrapperISA_SB_N2at6native12_GLOBAL__N_19CustomSumEEEEE10hipError_tPvRmT0_T1_jT2_SS_T4_T3_P12ihipStream_tbEUlT_E_NS1_11comp_targetILNS1_3genE3ELNS1_11target_archE908ELNS1_3gpuE7ELNS1_3repE0EEENS1_30default_config_static_selectorELNS0_4arch9wavefront6targetE0EEEvSR_,@function
_ZN7rocprim17ROCPRIM_400000_NS6detail17trampoline_kernelINS0_14default_configENS1_32segmented_reduce_config_selectorIN3c108BFloat16EEEZNS1_21segmented_reduce_implIS3_PKS6_PS6_PKiS6_N6hipcub16HIPCUB_304000_NS6detail27convert_result_type_wrapperISA_SB_N2at6native12_GLOBAL__N_19CustomSumEEEEE10hipError_tPvRmT0_T1_jT2_SS_T4_T3_P12ihipStream_tbEUlT_E_NS1_11comp_targetILNS1_3genE3ELNS1_11target_archE908ELNS1_3gpuE7ELNS1_3repE0EEENS1_30default_config_static_selectorELNS0_4arch9wavefront6targetE0EEEvSR_: ; @_ZN7rocprim17ROCPRIM_400000_NS6detail17trampoline_kernelINS0_14default_configENS1_32segmented_reduce_config_selectorIN3c108BFloat16EEEZNS1_21segmented_reduce_implIS3_PKS6_PS6_PKiS6_N6hipcub16HIPCUB_304000_NS6detail27convert_result_type_wrapperISA_SB_N2at6native12_GLOBAL__N_19CustomSumEEEEE10hipError_tPvRmT0_T1_jT2_SS_T4_T3_P12ihipStream_tbEUlT_E_NS1_11comp_targetILNS1_3genE3ELNS1_11target_archE908ELNS1_3gpuE7ELNS1_3repE0EEENS1_30default_config_static_selectorELNS0_4arch9wavefront6targetE0EEEvSR_
; %bb.0:
	.section	.rodata,"a",@progbits
	.p2align	6, 0x0
	.amdhsa_kernel _ZN7rocprim17ROCPRIM_400000_NS6detail17trampoline_kernelINS0_14default_configENS1_32segmented_reduce_config_selectorIN3c108BFloat16EEEZNS1_21segmented_reduce_implIS3_PKS6_PS6_PKiS6_N6hipcub16HIPCUB_304000_NS6detail27convert_result_type_wrapperISA_SB_N2at6native12_GLOBAL__N_19CustomSumEEEEE10hipError_tPvRmT0_T1_jT2_SS_T4_T3_P12ihipStream_tbEUlT_E_NS1_11comp_targetILNS1_3genE3ELNS1_11target_archE908ELNS1_3gpuE7ELNS1_3repE0EEENS1_30default_config_static_selectorELNS0_4arch9wavefront6targetE0EEEvSR_
		.amdhsa_group_segment_fixed_size 0
		.amdhsa_private_segment_fixed_size 0
		.amdhsa_kernarg_size 48
		.amdhsa_user_sgpr_count 6
		.amdhsa_user_sgpr_private_segment_buffer 1
		.amdhsa_user_sgpr_dispatch_ptr 0
		.amdhsa_user_sgpr_queue_ptr 0
		.amdhsa_user_sgpr_kernarg_segment_ptr 1
		.amdhsa_user_sgpr_dispatch_id 0
		.amdhsa_user_sgpr_flat_scratch_init 0
		.amdhsa_user_sgpr_private_segment_size 0
		.amdhsa_wavefront_size32 1
		.amdhsa_uses_dynamic_stack 0
		.amdhsa_system_sgpr_private_segment_wavefront_offset 0
		.amdhsa_system_sgpr_workgroup_id_x 1
		.amdhsa_system_sgpr_workgroup_id_y 0
		.amdhsa_system_sgpr_workgroup_id_z 0
		.amdhsa_system_sgpr_workgroup_info 0
		.amdhsa_system_vgpr_workitem_id 0
		.amdhsa_next_free_vgpr 1
		.amdhsa_next_free_sgpr 1
		.amdhsa_reserve_vcc 0
		.amdhsa_reserve_flat_scratch 0
		.amdhsa_float_round_mode_32 0
		.amdhsa_float_round_mode_16_64 0
		.amdhsa_float_denorm_mode_32 3
		.amdhsa_float_denorm_mode_16_64 3
		.amdhsa_dx10_clamp 1
		.amdhsa_ieee_mode 1
		.amdhsa_fp16_overflow 0
		.amdhsa_workgroup_processor_mode 1
		.amdhsa_memory_ordered 1
		.amdhsa_forward_progress 1
		.amdhsa_shared_vgpr_count 0
		.amdhsa_exception_fp_ieee_invalid_op 0
		.amdhsa_exception_fp_denorm_src 0
		.amdhsa_exception_fp_ieee_div_zero 0
		.amdhsa_exception_fp_ieee_overflow 0
		.amdhsa_exception_fp_ieee_underflow 0
		.amdhsa_exception_fp_ieee_inexact 0
		.amdhsa_exception_int_div_zero 0
	.end_amdhsa_kernel
	.section	.text._ZN7rocprim17ROCPRIM_400000_NS6detail17trampoline_kernelINS0_14default_configENS1_32segmented_reduce_config_selectorIN3c108BFloat16EEEZNS1_21segmented_reduce_implIS3_PKS6_PS6_PKiS6_N6hipcub16HIPCUB_304000_NS6detail27convert_result_type_wrapperISA_SB_N2at6native12_GLOBAL__N_19CustomSumEEEEE10hipError_tPvRmT0_T1_jT2_SS_T4_T3_P12ihipStream_tbEUlT_E_NS1_11comp_targetILNS1_3genE3ELNS1_11target_archE908ELNS1_3gpuE7ELNS1_3repE0EEENS1_30default_config_static_selectorELNS0_4arch9wavefront6targetE0EEEvSR_,"axG",@progbits,_ZN7rocprim17ROCPRIM_400000_NS6detail17trampoline_kernelINS0_14default_configENS1_32segmented_reduce_config_selectorIN3c108BFloat16EEEZNS1_21segmented_reduce_implIS3_PKS6_PS6_PKiS6_N6hipcub16HIPCUB_304000_NS6detail27convert_result_type_wrapperISA_SB_N2at6native12_GLOBAL__N_19CustomSumEEEEE10hipError_tPvRmT0_T1_jT2_SS_T4_T3_P12ihipStream_tbEUlT_E_NS1_11comp_targetILNS1_3genE3ELNS1_11target_archE908ELNS1_3gpuE7ELNS1_3repE0EEENS1_30default_config_static_selectorELNS0_4arch9wavefront6targetE0EEEvSR_,comdat
.Lfunc_end123:
	.size	_ZN7rocprim17ROCPRIM_400000_NS6detail17trampoline_kernelINS0_14default_configENS1_32segmented_reduce_config_selectorIN3c108BFloat16EEEZNS1_21segmented_reduce_implIS3_PKS6_PS6_PKiS6_N6hipcub16HIPCUB_304000_NS6detail27convert_result_type_wrapperISA_SB_N2at6native12_GLOBAL__N_19CustomSumEEEEE10hipError_tPvRmT0_T1_jT2_SS_T4_T3_P12ihipStream_tbEUlT_E_NS1_11comp_targetILNS1_3genE3ELNS1_11target_archE908ELNS1_3gpuE7ELNS1_3repE0EEENS1_30default_config_static_selectorELNS0_4arch9wavefront6targetE0EEEvSR_, .Lfunc_end123-_ZN7rocprim17ROCPRIM_400000_NS6detail17trampoline_kernelINS0_14default_configENS1_32segmented_reduce_config_selectorIN3c108BFloat16EEEZNS1_21segmented_reduce_implIS3_PKS6_PS6_PKiS6_N6hipcub16HIPCUB_304000_NS6detail27convert_result_type_wrapperISA_SB_N2at6native12_GLOBAL__N_19CustomSumEEEEE10hipError_tPvRmT0_T1_jT2_SS_T4_T3_P12ihipStream_tbEUlT_E_NS1_11comp_targetILNS1_3genE3ELNS1_11target_archE908ELNS1_3gpuE7ELNS1_3repE0EEENS1_30default_config_static_selectorELNS0_4arch9wavefront6targetE0EEEvSR_
                                        ; -- End function
	.set _ZN7rocprim17ROCPRIM_400000_NS6detail17trampoline_kernelINS0_14default_configENS1_32segmented_reduce_config_selectorIN3c108BFloat16EEEZNS1_21segmented_reduce_implIS3_PKS6_PS6_PKiS6_N6hipcub16HIPCUB_304000_NS6detail27convert_result_type_wrapperISA_SB_N2at6native12_GLOBAL__N_19CustomSumEEEEE10hipError_tPvRmT0_T1_jT2_SS_T4_T3_P12ihipStream_tbEUlT_E_NS1_11comp_targetILNS1_3genE3ELNS1_11target_archE908ELNS1_3gpuE7ELNS1_3repE0EEENS1_30default_config_static_selectorELNS0_4arch9wavefront6targetE0EEEvSR_.num_vgpr, 0
	.set _ZN7rocprim17ROCPRIM_400000_NS6detail17trampoline_kernelINS0_14default_configENS1_32segmented_reduce_config_selectorIN3c108BFloat16EEEZNS1_21segmented_reduce_implIS3_PKS6_PS6_PKiS6_N6hipcub16HIPCUB_304000_NS6detail27convert_result_type_wrapperISA_SB_N2at6native12_GLOBAL__N_19CustomSumEEEEE10hipError_tPvRmT0_T1_jT2_SS_T4_T3_P12ihipStream_tbEUlT_E_NS1_11comp_targetILNS1_3genE3ELNS1_11target_archE908ELNS1_3gpuE7ELNS1_3repE0EEENS1_30default_config_static_selectorELNS0_4arch9wavefront6targetE0EEEvSR_.num_agpr, 0
	.set _ZN7rocprim17ROCPRIM_400000_NS6detail17trampoline_kernelINS0_14default_configENS1_32segmented_reduce_config_selectorIN3c108BFloat16EEEZNS1_21segmented_reduce_implIS3_PKS6_PS6_PKiS6_N6hipcub16HIPCUB_304000_NS6detail27convert_result_type_wrapperISA_SB_N2at6native12_GLOBAL__N_19CustomSumEEEEE10hipError_tPvRmT0_T1_jT2_SS_T4_T3_P12ihipStream_tbEUlT_E_NS1_11comp_targetILNS1_3genE3ELNS1_11target_archE908ELNS1_3gpuE7ELNS1_3repE0EEENS1_30default_config_static_selectorELNS0_4arch9wavefront6targetE0EEEvSR_.numbered_sgpr, 0
	.set _ZN7rocprim17ROCPRIM_400000_NS6detail17trampoline_kernelINS0_14default_configENS1_32segmented_reduce_config_selectorIN3c108BFloat16EEEZNS1_21segmented_reduce_implIS3_PKS6_PS6_PKiS6_N6hipcub16HIPCUB_304000_NS6detail27convert_result_type_wrapperISA_SB_N2at6native12_GLOBAL__N_19CustomSumEEEEE10hipError_tPvRmT0_T1_jT2_SS_T4_T3_P12ihipStream_tbEUlT_E_NS1_11comp_targetILNS1_3genE3ELNS1_11target_archE908ELNS1_3gpuE7ELNS1_3repE0EEENS1_30default_config_static_selectorELNS0_4arch9wavefront6targetE0EEEvSR_.num_named_barrier, 0
	.set _ZN7rocprim17ROCPRIM_400000_NS6detail17trampoline_kernelINS0_14default_configENS1_32segmented_reduce_config_selectorIN3c108BFloat16EEEZNS1_21segmented_reduce_implIS3_PKS6_PS6_PKiS6_N6hipcub16HIPCUB_304000_NS6detail27convert_result_type_wrapperISA_SB_N2at6native12_GLOBAL__N_19CustomSumEEEEE10hipError_tPvRmT0_T1_jT2_SS_T4_T3_P12ihipStream_tbEUlT_E_NS1_11comp_targetILNS1_3genE3ELNS1_11target_archE908ELNS1_3gpuE7ELNS1_3repE0EEENS1_30default_config_static_selectorELNS0_4arch9wavefront6targetE0EEEvSR_.private_seg_size, 0
	.set _ZN7rocprim17ROCPRIM_400000_NS6detail17trampoline_kernelINS0_14default_configENS1_32segmented_reduce_config_selectorIN3c108BFloat16EEEZNS1_21segmented_reduce_implIS3_PKS6_PS6_PKiS6_N6hipcub16HIPCUB_304000_NS6detail27convert_result_type_wrapperISA_SB_N2at6native12_GLOBAL__N_19CustomSumEEEEE10hipError_tPvRmT0_T1_jT2_SS_T4_T3_P12ihipStream_tbEUlT_E_NS1_11comp_targetILNS1_3genE3ELNS1_11target_archE908ELNS1_3gpuE7ELNS1_3repE0EEENS1_30default_config_static_selectorELNS0_4arch9wavefront6targetE0EEEvSR_.uses_vcc, 0
	.set _ZN7rocprim17ROCPRIM_400000_NS6detail17trampoline_kernelINS0_14default_configENS1_32segmented_reduce_config_selectorIN3c108BFloat16EEEZNS1_21segmented_reduce_implIS3_PKS6_PS6_PKiS6_N6hipcub16HIPCUB_304000_NS6detail27convert_result_type_wrapperISA_SB_N2at6native12_GLOBAL__N_19CustomSumEEEEE10hipError_tPvRmT0_T1_jT2_SS_T4_T3_P12ihipStream_tbEUlT_E_NS1_11comp_targetILNS1_3genE3ELNS1_11target_archE908ELNS1_3gpuE7ELNS1_3repE0EEENS1_30default_config_static_selectorELNS0_4arch9wavefront6targetE0EEEvSR_.uses_flat_scratch, 0
	.set _ZN7rocprim17ROCPRIM_400000_NS6detail17trampoline_kernelINS0_14default_configENS1_32segmented_reduce_config_selectorIN3c108BFloat16EEEZNS1_21segmented_reduce_implIS3_PKS6_PS6_PKiS6_N6hipcub16HIPCUB_304000_NS6detail27convert_result_type_wrapperISA_SB_N2at6native12_GLOBAL__N_19CustomSumEEEEE10hipError_tPvRmT0_T1_jT2_SS_T4_T3_P12ihipStream_tbEUlT_E_NS1_11comp_targetILNS1_3genE3ELNS1_11target_archE908ELNS1_3gpuE7ELNS1_3repE0EEENS1_30default_config_static_selectorELNS0_4arch9wavefront6targetE0EEEvSR_.has_dyn_sized_stack, 0
	.set _ZN7rocprim17ROCPRIM_400000_NS6detail17trampoline_kernelINS0_14default_configENS1_32segmented_reduce_config_selectorIN3c108BFloat16EEEZNS1_21segmented_reduce_implIS3_PKS6_PS6_PKiS6_N6hipcub16HIPCUB_304000_NS6detail27convert_result_type_wrapperISA_SB_N2at6native12_GLOBAL__N_19CustomSumEEEEE10hipError_tPvRmT0_T1_jT2_SS_T4_T3_P12ihipStream_tbEUlT_E_NS1_11comp_targetILNS1_3genE3ELNS1_11target_archE908ELNS1_3gpuE7ELNS1_3repE0EEENS1_30default_config_static_selectorELNS0_4arch9wavefront6targetE0EEEvSR_.has_recursion, 0
	.set _ZN7rocprim17ROCPRIM_400000_NS6detail17trampoline_kernelINS0_14default_configENS1_32segmented_reduce_config_selectorIN3c108BFloat16EEEZNS1_21segmented_reduce_implIS3_PKS6_PS6_PKiS6_N6hipcub16HIPCUB_304000_NS6detail27convert_result_type_wrapperISA_SB_N2at6native12_GLOBAL__N_19CustomSumEEEEE10hipError_tPvRmT0_T1_jT2_SS_T4_T3_P12ihipStream_tbEUlT_E_NS1_11comp_targetILNS1_3genE3ELNS1_11target_archE908ELNS1_3gpuE7ELNS1_3repE0EEENS1_30default_config_static_selectorELNS0_4arch9wavefront6targetE0EEEvSR_.has_indirect_call, 0
	.section	.AMDGPU.csdata,"",@progbits
; Kernel info:
; codeLenInByte = 0
; TotalNumSgprs: 0
; NumVgprs: 0
; ScratchSize: 0
; MemoryBound: 0
; FloatMode: 240
; IeeeMode: 1
; LDSByteSize: 0 bytes/workgroup (compile time only)
; SGPRBlocks: 0
; VGPRBlocks: 0
; NumSGPRsForWavesPerEU: 1
; NumVGPRsForWavesPerEU: 1
; Occupancy: 16
; WaveLimiterHint : 0
; COMPUTE_PGM_RSRC2:SCRATCH_EN: 0
; COMPUTE_PGM_RSRC2:USER_SGPR: 6
; COMPUTE_PGM_RSRC2:TRAP_HANDLER: 0
; COMPUTE_PGM_RSRC2:TGID_X_EN: 1
; COMPUTE_PGM_RSRC2:TGID_Y_EN: 0
; COMPUTE_PGM_RSRC2:TGID_Z_EN: 0
; COMPUTE_PGM_RSRC2:TIDIG_COMP_CNT: 0
	.section	.text._ZN7rocprim17ROCPRIM_400000_NS6detail17trampoline_kernelINS0_14default_configENS1_32segmented_reduce_config_selectorIN3c108BFloat16EEEZNS1_21segmented_reduce_implIS3_PKS6_PS6_PKiS6_N6hipcub16HIPCUB_304000_NS6detail27convert_result_type_wrapperISA_SB_N2at6native12_GLOBAL__N_19CustomSumEEEEE10hipError_tPvRmT0_T1_jT2_SS_T4_T3_P12ihipStream_tbEUlT_E_NS1_11comp_targetILNS1_3genE2ELNS1_11target_archE906ELNS1_3gpuE6ELNS1_3repE0EEENS1_30default_config_static_selectorELNS0_4arch9wavefront6targetE0EEEvSR_,"axG",@progbits,_ZN7rocprim17ROCPRIM_400000_NS6detail17trampoline_kernelINS0_14default_configENS1_32segmented_reduce_config_selectorIN3c108BFloat16EEEZNS1_21segmented_reduce_implIS3_PKS6_PS6_PKiS6_N6hipcub16HIPCUB_304000_NS6detail27convert_result_type_wrapperISA_SB_N2at6native12_GLOBAL__N_19CustomSumEEEEE10hipError_tPvRmT0_T1_jT2_SS_T4_T3_P12ihipStream_tbEUlT_E_NS1_11comp_targetILNS1_3genE2ELNS1_11target_archE906ELNS1_3gpuE6ELNS1_3repE0EEENS1_30default_config_static_selectorELNS0_4arch9wavefront6targetE0EEEvSR_,comdat
	.globl	_ZN7rocprim17ROCPRIM_400000_NS6detail17trampoline_kernelINS0_14default_configENS1_32segmented_reduce_config_selectorIN3c108BFloat16EEEZNS1_21segmented_reduce_implIS3_PKS6_PS6_PKiS6_N6hipcub16HIPCUB_304000_NS6detail27convert_result_type_wrapperISA_SB_N2at6native12_GLOBAL__N_19CustomSumEEEEE10hipError_tPvRmT0_T1_jT2_SS_T4_T3_P12ihipStream_tbEUlT_E_NS1_11comp_targetILNS1_3genE2ELNS1_11target_archE906ELNS1_3gpuE6ELNS1_3repE0EEENS1_30default_config_static_selectorELNS0_4arch9wavefront6targetE0EEEvSR_ ; -- Begin function _ZN7rocprim17ROCPRIM_400000_NS6detail17trampoline_kernelINS0_14default_configENS1_32segmented_reduce_config_selectorIN3c108BFloat16EEEZNS1_21segmented_reduce_implIS3_PKS6_PS6_PKiS6_N6hipcub16HIPCUB_304000_NS6detail27convert_result_type_wrapperISA_SB_N2at6native12_GLOBAL__N_19CustomSumEEEEE10hipError_tPvRmT0_T1_jT2_SS_T4_T3_P12ihipStream_tbEUlT_E_NS1_11comp_targetILNS1_3genE2ELNS1_11target_archE906ELNS1_3gpuE6ELNS1_3repE0EEENS1_30default_config_static_selectorELNS0_4arch9wavefront6targetE0EEEvSR_
	.p2align	8
	.type	_ZN7rocprim17ROCPRIM_400000_NS6detail17trampoline_kernelINS0_14default_configENS1_32segmented_reduce_config_selectorIN3c108BFloat16EEEZNS1_21segmented_reduce_implIS3_PKS6_PS6_PKiS6_N6hipcub16HIPCUB_304000_NS6detail27convert_result_type_wrapperISA_SB_N2at6native12_GLOBAL__N_19CustomSumEEEEE10hipError_tPvRmT0_T1_jT2_SS_T4_T3_P12ihipStream_tbEUlT_E_NS1_11comp_targetILNS1_3genE2ELNS1_11target_archE906ELNS1_3gpuE6ELNS1_3repE0EEENS1_30default_config_static_selectorELNS0_4arch9wavefront6targetE0EEEvSR_,@function
_ZN7rocprim17ROCPRIM_400000_NS6detail17trampoline_kernelINS0_14default_configENS1_32segmented_reduce_config_selectorIN3c108BFloat16EEEZNS1_21segmented_reduce_implIS3_PKS6_PS6_PKiS6_N6hipcub16HIPCUB_304000_NS6detail27convert_result_type_wrapperISA_SB_N2at6native12_GLOBAL__N_19CustomSumEEEEE10hipError_tPvRmT0_T1_jT2_SS_T4_T3_P12ihipStream_tbEUlT_E_NS1_11comp_targetILNS1_3genE2ELNS1_11target_archE906ELNS1_3gpuE6ELNS1_3repE0EEENS1_30default_config_static_selectorELNS0_4arch9wavefront6targetE0EEEvSR_: ; @_ZN7rocprim17ROCPRIM_400000_NS6detail17trampoline_kernelINS0_14default_configENS1_32segmented_reduce_config_selectorIN3c108BFloat16EEEZNS1_21segmented_reduce_implIS3_PKS6_PS6_PKiS6_N6hipcub16HIPCUB_304000_NS6detail27convert_result_type_wrapperISA_SB_N2at6native12_GLOBAL__N_19CustomSumEEEEE10hipError_tPvRmT0_T1_jT2_SS_T4_T3_P12ihipStream_tbEUlT_E_NS1_11comp_targetILNS1_3genE2ELNS1_11target_archE906ELNS1_3gpuE6ELNS1_3repE0EEENS1_30default_config_static_selectorELNS0_4arch9wavefront6targetE0EEEvSR_
; %bb.0:
	.section	.rodata,"a",@progbits
	.p2align	6, 0x0
	.amdhsa_kernel _ZN7rocprim17ROCPRIM_400000_NS6detail17trampoline_kernelINS0_14default_configENS1_32segmented_reduce_config_selectorIN3c108BFloat16EEEZNS1_21segmented_reduce_implIS3_PKS6_PS6_PKiS6_N6hipcub16HIPCUB_304000_NS6detail27convert_result_type_wrapperISA_SB_N2at6native12_GLOBAL__N_19CustomSumEEEEE10hipError_tPvRmT0_T1_jT2_SS_T4_T3_P12ihipStream_tbEUlT_E_NS1_11comp_targetILNS1_3genE2ELNS1_11target_archE906ELNS1_3gpuE6ELNS1_3repE0EEENS1_30default_config_static_selectorELNS0_4arch9wavefront6targetE0EEEvSR_
		.amdhsa_group_segment_fixed_size 0
		.amdhsa_private_segment_fixed_size 0
		.amdhsa_kernarg_size 48
		.amdhsa_user_sgpr_count 6
		.amdhsa_user_sgpr_private_segment_buffer 1
		.amdhsa_user_sgpr_dispatch_ptr 0
		.amdhsa_user_sgpr_queue_ptr 0
		.amdhsa_user_sgpr_kernarg_segment_ptr 1
		.amdhsa_user_sgpr_dispatch_id 0
		.amdhsa_user_sgpr_flat_scratch_init 0
		.amdhsa_user_sgpr_private_segment_size 0
		.amdhsa_wavefront_size32 1
		.amdhsa_uses_dynamic_stack 0
		.amdhsa_system_sgpr_private_segment_wavefront_offset 0
		.amdhsa_system_sgpr_workgroup_id_x 1
		.amdhsa_system_sgpr_workgroup_id_y 0
		.amdhsa_system_sgpr_workgroup_id_z 0
		.amdhsa_system_sgpr_workgroup_info 0
		.amdhsa_system_vgpr_workitem_id 0
		.amdhsa_next_free_vgpr 1
		.amdhsa_next_free_sgpr 1
		.amdhsa_reserve_vcc 0
		.amdhsa_reserve_flat_scratch 0
		.amdhsa_float_round_mode_32 0
		.amdhsa_float_round_mode_16_64 0
		.amdhsa_float_denorm_mode_32 3
		.amdhsa_float_denorm_mode_16_64 3
		.amdhsa_dx10_clamp 1
		.amdhsa_ieee_mode 1
		.amdhsa_fp16_overflow 0
		.amdhsa_workgroup_processor_mode 1
		.amdhsa_memory_ordered 1
		.amdhsa_forward_progress 1
		.amdhsa_shared_vgpr_count 0
		.amdhsa_exception_fp_ieee_invalid_op 0
		.amdhsa_exception_fp_denorm_src 0
		.amdhsa_exception_fp_ieee_div_zero 0
		.amdhsa_exception_fp_ieee_overflow 0
		.amdhsa_exception_fp_ieee_underflow 0
		.amdhsa_exception_fp_ieee_inexact 0
		.amdhsa_exception_int_div_zero 0
	.end_amdhsa_kernel
	.section	.text._ZN7rocprim17ROCPRIM_400000_NS6detail17trampoline_kernelINS0_14default_configENS1_32segmented_reduce_config_selectorIN3c108BFloat16EEEZNS1_21segmented_reduce_implIS3_PKS6_PS6_PKiS6_N6hipcub16HIPCUB_304000_NS6detail27convert_result_type_wrapperISA_SB_N2at6native12_GLOBAL__N_19CustomSumEEEEE10hipError_tPvRmT0_T1_jT2_SS_T4_T3_P12ihipStream_tbEUlT_E_NS1_11comp_targetILNS1_3genE2ELNS1_11target_archE906ELNS1_3gpuE6ELNS1_3repE0EEENS1_30default_config_static_selectorELNS0_4arch9wavefront6targetE0EEEvSR_,"axG",@progbits,_ZN7rocprim17ROCPRIM_400000_NS6detail17trampoline_kernelINS0_14default_configENS1_32segmented_reduce_config_selectorIN3c108BFloat16EEEZNS1_21segmented_reduce_implIS3_PKS6_PS6_PKiS6_N6hipcub16HIPCUB_304000_NS6detail27convert_result_type_wrapperISA_SB_N2at6native12_GLOBAL__N_19CustomSumEEEEE10hipError_tPvRmT0_T1_jT2_SS_T4_T3_P12ihipStream_tbEUlT_E_NS1_11comp_targetILNS1_3genE2ELNS1_11target_archE906ELNS1_3gpuE6ELNS1_3repE0EEENS1_30default_config_static_selectorELNS0_4arch9wavefront6targetE0EEEvSR_,comdat
.Lfunc_end124:
	.size	_ZN7rocprim17ROCPRIM_400000_NS6detail17trampoline_kernelINS0_14default_configENS1_32segmented_reduce_config_selectorIN3c108BFloat16EEEZNS1_21segmented_reduce_implIS3_PKS6_PS6_PKiS6_N6hipcub16HIPCUB_304000_NS6detail27convert_result_type_wrapperISA_SB_N2at6native12_GLOBAL__N_19CustomSumEEEEE10hipError_tPvRmT0_T1_jT2_SS_T4_T3_P12ihipStream_tbEUlT_E_NS1_11comp_targetILNS1_3genE2ELNS1_11target_archE906ELNS1_3gpuE6ELNS1_3repE0EEENS1_30default_config_static_selectorELNS0_4arch9wavefront6targetE0EEEvSR_, .Lfunc_end124-_ZN7rocprim17ROCPRIM_400000_NS6detail17trampoline_kernelINS0_14default_configENS1_32segmented_reduce_config_selectorIN3c108BFloat16EEEZNS1_21segmented_reduce_implIS3_PKS6_PS6_PKiS6_N6hipcub16HIPCUB_304000_NS6detail27convert_result_type_wrapperISA_SB_N2at6native12_GLOBAL__N_19CustomSumEEEEE10hipError_tPvRmT0_T1_jT2_SS_T4_T3_P12ihipStream_tbEUlT_E_NS1_11comp_targetILNS1_3genE2ELNS1_11target_archE906ELNS1_3gpuE6ELNS1_3repE0EEENS1_30default_config_static_selectorELNS0_4arch9wavefront6targetE0EEEvSR_
                                        ; -- End function
	.set _ZN7rocprim17ROCPRIM_400000_NS6detail17trampoline_kernelINS0_14default_configENS1_32segmented_reduce_config_selectorIN3c108BFloat16EEEZNS1_21segmented_reduce_implIS3_PKS6_PS6_PKiS6_N6hipcub16HIPCUB_304000_NS6detail27convert_result_type_wrapperISA_SB_N2at6native12_GLOBAL__N_19CustomSumEEEEE10hipError_tPvRmT0_T1_jT2_SS_T4_T3_P12ihipStream_tbEUlT_E_NS1_11comp_targetILNS1_3genE2ELNS1_11target_archE906ELNS1_3gpuE6ELNS1_3repE0EEENS1_30default_config_static_selectorELNS0_4arch9wavefront6targetE0EEEvSR_.num_vgpr, 0
	.set _ZN7rocprim17ROCPRIM_400000_NS6detail17trampoline_kernelINS0_14default_configENS1_32segmented_reduce_config_selectorIN3c108BFloat16EEEZNS1_21segmented_reduce_implIS3_PKS6_PS6_PKiS6_N6hipcub16HIPCUB_304000_NS6detail27convert_result_type_wrapperISA_SB_N2at6native12_GLOBAL__N_19CustomSumEEEEE10hipError_tPvRmT0_T1_jT2_SS_T4_T3_P12ihipStream_tbEUlT_E_NS1_11comp_targetILNS1_3genE2ELNS1_11target_archE906ELNS1_3gpuE6ELNS1_3repE0EEENS1_30default_config_static_selectorELNS0_4arch9wavefront6targetE0EEEvSR_.num_agpr, 0
	.set _ZN7rocprim17ROCPRIM_400000_NS6detail17trampoline_kernelINS0_14default_configENS1_32segmented_reduce_config_selectorIN3c108BFloat16EEEZNS1_21segmented_reduce_implIS3_PKS6_PS6_PKiS6_N6hipcub16HIPCUB_304000_NS6detail27convert_result_type_wrapperISA_SB_N2at6native12_GLOBAL__N_19CustomSumEEEEE10hipError_tPvRmT0_T1_jT2_SS_T4_T3_P12ihipStream_tbEUlT_E_NS1_11comp_targetILNS1_3genE2ELNS1_11target_archE906ELNS1_3gpuE6ELNS1_3repE0EEENS1_30default_config_static_selectorELNS0_4arch9wavefront6targetE0EEEvSR_.numbered_sgpr, 0
	.set _ZN7rocprim17ROCPRIM_400000_NS6detail17trampoline_kernelINS0_14default_configENS1_32segmented_reduce_config_selectorIN3c108BFloat16EEEZNS1_21segmented_reduce_implIS3_PKS6_PS6_PKiS6_N6hipcub16HIPCUB_304000_NS6detail27convert_result_type_wrapperISA_SB_N2at6native12_GLOBAL__N_19CustomSumEEEEE10hipError_tPvRmT0_T1_jT2_SS_T4_T3_P12ihipStream_tbEUlT_E_NS1_11comp_targetILNS1_3genE2ELNS1_11target_archE906ELNS1_3gpuE6ELNS1_3repE0EEENS1_30default_config_static_selectorELNS0_4arch9wavefront6targetE0EEEvSR_.num_named_barrier, 0
	.set _ZN7rocprim17ROCPRIM_400000_NS6detail17trampoline_kernelINS0_14default_configENS1_32segmented_reduce_config_selectorIN3c108BFloat16EEEZNS1_21segmented_reduce_implIS3_PKS6_PS6_PKiS6_N6hipcub16HIPCUB_304000_NS6detail27convert_result_type_wrapperISA_SB_N2at6native12_GLOBAL__N_19CustomSumEEEEE10hipError_tPvRmT0_T1_jT2_SS_T4_T3_P12ihipStream_tbEUlT_E_NS1_11comp_targetILNS1_3genE2ELNS1_11target_archE906ELNS1_3gpuE6ELNS1_3repE0EEENS1_30default_config_static_selectorELNS0_4arch9wavefront6targetE0EEEvSR_.private_seg_size, 0
	.set _ZN7rocprim17ROCPRIM_400000_NS6detail17trampoline_kernelINS0_14default_configENS1_32segmented_reduce_config_selectorIN3c108BFloat16EEEZNS1_21segmented_reduce_implIS3_PKS6_PS6_PKiS6_N6hipcub16HIPCUB_304000_NS6detail27convert_result_type_wrapperISA_SB_N2at6native12_GLOBAL__N_19CustomSumEEEEE10hipError_tPvRmT0_T1_jT2_SS_T4_T3_P12ihipStream_tbEUlT_E_NS1_11comp_targetILNS1_3genE2ELNS1_11target_archE906ELNS1_3gpuE6ELNS1_3repE0EEENS1_30default_config_static_selectorELNS0_4arch9wavefront6targetE0EEEvSR_.uses_vcc, 0
	.set _ZN7rocprim17ROCPRIM_400000_NS6detail17trampoline_kernelINS0_14default_configENS1_32segmented_reduce_config_selectorIN3c108BFloat16EEEZNS1_21segmented_reduce_implIS3_PKS6_PS6_PKiS6_N6hipcub16HIPCUB_304000_NS6detail27convert_result_type_wrapperISA_SB_N2at6native12_GLOBAL__N_19CustomSumEEEEE10hipError_tPvRmT0_T1_jT2_SS_T4_T3_P12ihipStream_tbEUlT_E_NS1_11comp_targetILNS1_3genE2ELNS1_11target_archE906ELNS1_3gpuE6ELNS1_3repE0EEENS1_30default_config_static_selectorELNS0_4arch9wavefront6targetE0EEEvSR_.uses_flat_scratch, 0
	.set _ZN7rocprim17ROCPRIM_400000_NS6detail17trampoline_kernelINS0_14default_configENS1_32segmented_reduce_config_selectorIN3c108BFloat16EEEZNS1_21segmented_reduce_implIS3_PKS6_PS6_PKiS6_N6hipcub16HIPCUB_304000_NS6detail27convert_result_type_wrapperISA_SB_N2at6native12_GLOBAL__N_19CustomSumEEEEE10hipError_tPvRmT0_T1_jT2_SS_T4_T3_P12ihipStream_tbEUlT_E_NS1_11comp_targetILNS1_3genE2ELNS1_11target_archE906ELNS1_3gpuE6ELNS1_3repE0EEENS1_30default_config_static_selectorELNS0_4arch9wavefront6targetE0EEEvSR_.has_dyn_sized_stack, 0
	.set _ZN7rocprim17ROCPRIM_400000_NS6detail17trampoline_kernelINS0_14default_configENS1_32segmented_reduce_config_selectorIN3c108BFloat16EEEZNS1_21segmented_reduce_implIS3_PKS6_PS6_PKiS6_N6hipcub16HIPCUB_304000_NS6detail27convert_result_type_wrapperISA_SB_N2at6native12_GLOBAL__N_19CustomSumEEEEE10hipError_tPvRmT0_T1_jT2_SS_T4_T3_P12ihipStream_tbEUlT_E_NS1_11comp_targetILNS1_3genE2ELNS1_11target_archE906ELNS1_3gpuE6ELNS1_3repE0EEENS1_30default_config_static_selectorELNS0_4arch9wavefront6targetE0EEEvSR_.has_recursion, 0
	.set _ZN7rocprim17ROCPRIM_400000_NS6detail17trampoline_kernelINS0_14default_configENS1_32segmented_reduce_config_selectorIN3c108BFloat16EEEZNS1_21segmented_reduce_implIS3_PKS6_PS6_PKiS6_N6hipcub16HIPCUB_304000_NS6detail27convert_result_type_wrapperISA_SB_N2at6native12_GLOBAL__N_19CustomSumEEEEE10hipError_tPvRmT0_T1_jT2_SS_T4_T3_P12ihipStream_tbEUlT_E_NS1_11comp_targetILNS1_3genE2ELNS1_11target_archE906ELNS1_3gpuE6ELNS1_3repE0EEENS1_30default_config_static_selectorELNS0_4arch9wavefront6targetE0EEEvSR_.has_indirect_call, 0
	.section	.AMDGPU.csdata,"",@progbits
; Kernel info:
; codeLenInByte = 0
; TotalNumSgprs: 0
; NumVgprs: 0
; ScratchSize: 0
; MemoryBound: 0
; FloatMode: 240
; IeeeMode: 1
; LDSByteSize: 0 bytes/workgroup (compile time only)
; SGPRBlocks: 0
; VGPRBlocks: 0
; NumSGPRsForWavesPerEU: 1
; NumVGPRsForWavesPerEU: 1
; Occupancy: 16
; WaveLimiterHint : 0
; COMPUTE_PGM_RSRC2:SCRATCH_EN: 0
; COMPUTE_PGM_RSRC2:USER_SGPR: 6
; COMPUTE_PGM_RSRC2:TRAP_HANDLER: 0
; COMPUTE_PGM_RSRC2:TGID_X_EN: 1
; COMPUTE_PGM_RSRC2:TGID_Y_EN: 0
; COMPUTE_PGM_RSRC2:TGID_Z_EN: 0
; COMPUTE_PGM_RSRC2:TIDIG_COMP_CNT: 0
	.section	.text._ZN7rocprim17ROCPRIM_400000_NS6detail17trampoline_kernelINS0_14default_configENS1_32segmented_reduce_config_selectorIN3c108BFloat16EEEZNS1_21segmented_reduce_implIS3_PKS6_PS6_PKiS6_N6hipcub16HIPCUB_304000_NS6detail27convert_result_type_wrapperISA_SB_N2at6native12_GLOBAL__N_19CustomSumEEEEE10hipError_tPvRmT0_T1_jT2_SS_T4_T3_P12ihipStream_tbEUlT_E_NS1_11comp_targetILNS1_3genE9ELNS1_11target_archE1100ELNS1_3gpuE3ELNS1_3repE0EEENS1_30default_config_static_selectorELNS0_4arch9wavefront6targetE0EEEvSR_,"axG",@progbits,_ZN7rocprim17ROCPRIM_400000_NS6detail17trampoline_kernelINS0_14default_configENS1_32segmented_reduce_config_selectorIN3c108BFloat16EEEZNS1_21segmented_reduce_implIS3_PKS6_PS6_PKiS6_N6hipcub16HIPCUB_304000_NS6detail27convert_result_type_wrapperISA_SB_N2at6native12_GLOBAL__N_19CustomSumEEEEE10hipError_tPvRmT0_T1_jT2_SS_T4_T3_P12ihipStream_tbEUlT_E_NS1_11comp_targetILNS1_3genE9ELNS1_11target_archE1100ELNS1_3gpuE3ELNS1_3repE0EEENS1_30default_config_static_selectorELNS0_4arch9wavefront6targetE0EEEvSR_,comdat
	.globl	_ZN7rocprim17ROCPRIM_400000_NS6detail17trampoline_kernelINS0_14default_configENS1_32segmented_reduce_config_selectorIN3c108BFloat16EEEZNS1_21segmented_reduce_implIS3_PKS6_PS6_PKiS6_N6hipcub16HIPCUB_304000_NS6detail27convert_result_type_wrapperISA_SB_N2at6native12_GLOBAL__N_19CustomSumEEEEE10hipError_tPvRmT0_T1_jT2_SS_T4_T3_P12ihipStream_tbEUlT_E_NS1_11comp_targetILNS1_3genE9ELNS1_11target_archE1100ELNS1_3gpuE3ELNS1_3repE0EEENS1_30default_config_static_selectorELNS0_4arch9wavefront6targetE0EEEvSR_ ; -- Begin function _ZN7rocprim17ROCPRIM_400000_NS6detail17trampoline_kernelINS0_14default_configENS1_32segmented_reduce_config_selectorIN3c108BFloat16EEEZNS1_21segmented_reduce_implIS3_PKS6_PS6_PKiS6_N6hipcub16HIPCUB_304000_NS6detail27convert_result_type_wrapperISA_SB_N2at6native12_GLOBAL__N_19CustomSumEEEEE10hipError_tPvRmT0_T1_jT2_SS_T4_T3_P12ihipStream_tbEUlT_E_NS1_11comp_targetILNS1_3genE9ELNS1_11target_archE1100ELNS1_3gpuE3ELNS1_3repE0EEENS1_30default_config_static_selectorELNS0_4arch9wavefront6targetE0EEEvSR_
	.p2align	8
	.type	_ZN7rocprim17ROCPRIM_400000_NS6detail17trampoline_kernelINS0_14default_configENS1_32segmented_reduce_config_selectorIN3c108BFloat16EEEZNS1_21segmented_reduce_implIS3_PKS6_PS6_PKiS6_N6hipcub16HIPCUB_304000_NS6detail27convert_result_type_wrapperISA_SB_N2at6native12_GLOBAL__N_19CustomSumEEEEE10hipError_tPvRmT0_T1_jT2_SS_T4_T3_P12ihipStream_tbEUlT_E_NS1_11comp_targetILNS1_3genE9ELNS1_11target_archE1100ELNS1_3gpuE3ELNS1_3repE0EEENS1_30default_config_static_selectorELNS0_4arch9wavefront6targetE0EEEvSR_,@function
_ZN7rocprim17ROCPRIM_400000_NS6detail17trampoline_kernelINS0_14default_configENS1_32segmented_reduce_config_selectorIN3c108BFloat16EEEZNS1_21segmented_reduce_implIS3_PKS6_PS6_PKiS6_N6hipcub16HIPCUB_304000_NS6detail27convert_result_type_wrapperISA_SB_N2at6native12_GLOBAL__N_19CustomSumEEEEE10hipError_tPvRmT0_T1_jT2_SS_T4_T3_P12ihipStream_tbEUlT_E_NS1_11comp_targetILNS1_3genE9ELNS1_11target_archE1100ELNS1_3gpuE3ELNS1_3repE0EEENS1_30default_config_static_selectorELNS0_4arch9wavefront6targetE0EEEvSR_: ; @_ZN7rocprim17ROCPRIM_400000_NS6detail17trampoline_kernelINS0_14default_configENS1_32segmented_reduce_config_selectorIN3c108BFloat16EEEZNS1_21segmented_reduce_implIS3_PKS6_PS6_PKiS6_N6hipcub16HIPCUB_304000_NS6detail27convert_result_type_wrapperISA_SB_N2at6native12_GLOBAL__N_19CustomSumEEEEE10hipError_tPvRmT0_T1_jT2_SS_T4_T3_P12ihipStream_tbEUlT_E_NS1_11comp_targetILNS1_3genE9ELNS1_11target_archE1100ELNS1_3gpuE3ELNS1_3repE0EEENS1_30default_config_static_selectorELNS0_4arch9wavefront6targetE0EEEvSR_
; %bb.0:
	.section	.rodata,"a",@progbits
	.p2align	6, 0x0
	.amdhsa_kernel _ZN7rocprim17ROCPRIM_400000_NS6detail17trampoline_kernelINS0_14default_configENS1_32segmented_reduce_config_selectorIN3c108BFloat16EEEZNS1_21segmented_reduce_implIS3_PKS6_PS6_PKiS6_N6hipcub16HIPCUB_304000_NS6detail27convert_result_type_wrapperISA_SB_N2at6native12_GLOBAL__N_19CustomSumEEEEE10hipError_tPvRmT0_T1_jT2_SS_T4_T3_P12ihipStream_tbEUlT_E_NS1_11comp_targetILNS1_3genE9ELNS1_11target_archE1100ELNS1_3gpuE3ELNS1_3repE0EEENS1_30default_config_static_selectorELNS0_4arch9wavefront6targetE0EEEvSR_
		.amdhsa_group_segment_fixed_size 0
		.amdhsa_private_segment_fixed_size 0
		.amdhsa_kernarg_size 48
		.amdhsa_user_sgpr_count 6
		.amdhsa_user_sgpr_private_segment_buffer 1
		.amdhsa_user_sgpr_dispatch_ptr 0
		.amdhsa_user_sgpr_queue_ptr 0
		.amdhsa_user_sgpr_kernarg_segment_ptr 1
		.amdhsa_user_sgpr_dispatch_id 0
		.amdhsa_user_sgpr_flat_scratch_init 0
		.amdhsa_user_sgpr_private_segment_size 0
		.amdhsa_wavefront_size32 1
		.amdhsa_uses_dynamic_stack 0
		.amdhsa_system_sgpr_private_segment_wavefront_offset 0
		.amdhsa_system_sgpr_workgroup_id_x 1
		.amdhsa_system_sgpr_workgroup_id_y 0
		.amdhsa_system_sgpr_workgroup_id_z 0
		.amdhsa_system_sgpr_workgroup_info 0
		.amdhsa_system_vgpr_workitem_id 0
		.amdhsa_next_free_vgpr 1
		.amdhsa_next_free_sgpr 1
		.amdhsa_reserve_vcc 0
		.amdhsa_reserve_flat_scratch 0
		.amdhsa_float_round_mode_32 0
		.amdhsa_float_round_mode_16_64 0
		.amdhsa_float_denorm_mode_32 3
		.amdhsa_float_denorm_mode_16_64 3
		.amdhsa_dx10_clamp 1
		.amdhsa_ieee_mode 1
		.amdhsa_fp16_overflow 0
		.amdhsa_workgroup_processor_mode 1
		.amdhsa_memory_ordered 1
		.amdhsa_forward_progress 1
		.amdhsa_shared_vgpr_count 0
		.amdhsa_exception_fp_ieee_invalid_op 0
		.amdhsa_exception_fp_denorm_src 0
		.amdhsa_exception_fp_ieee_div_zero 0
		.amdhsa_exception_fp_ieee_overflow 0
		.amdhsa_exception_fp_ieee_underflow 0
		.amdhsa_exception_fp_ieee_inexact 0
		.amdhsa_exception_int_div_zero 0
	.end_amdhsa_kernel
	.section	.text._ZN7rocprim17ROCPRIM_400000_NS6detail17trampoline_kernelINS0_14default_configENS1_32segmented_reduce_config_selectorIN3c108BFloat16EEEZNS1_21segmented_reduce_implIS3_PKS6_PS6_PKiS6_N6hipcub16HIPCUB_304000_NS6detail27convert_result_type_wrapperISA_SB_N2at6native12_GLOBAL__N_19CustomSumEEEEE10hipError_tPvRmT0_T1_jT2_SS_T4_T3_P12ihipStream_tbEUlT_E_NS1_11comp_targetILNS1_3genE9ELNS1_11target_archE1100ELNS1_3gpuE3ELNS1_3repE0EEENS1_30default_config_static_selectorELNS0_4arch9wavefront6targetE0EEEvSR_,"axG",@progbits,_ZN7rocprim17ROCPRIM_400000_NS6detail17trampoline_kernelINS0_14default_configENS1_32segmented_reduce_config_selectorIN3c108BFloat16EEEZNS1_21segmented_reduce_implIS3_PKS6_PS6_PKiS6_N6hipcub16HIPCUB_304000_NS6detail27convert_result_type_wrapperISA_SB_N2at6native12_GLOBAL__N_19CustomSumEEEEE10hipError_tPvRmT0_T1_jT2_SS_T4_T3_P12ihipStream_tbEUlT_E_NS1_11comp_targetILNS1_3genE9ELNS1_11target_archE1100ELNS1_3gpuE3ELNS1_3repE0EEENS1_30default_config_static_selectorELNS0_4arch9wavefront6targetE0EEEvSR_,comdat
.Lfunc_end125:
	.size	_ZN7rocprim17ROCPRIM_400000_NS6detail17trampoline_kernelINS0_14default_configENS1_32segmented_reduce_config_selectorIN3c108BFloat16EEEZNS1_21segmented_reduce_implIS3_PKS6_PS6_PKiS6_N6hipcub16HIPCUB_304000_NS6detail27convert_result_type_wrapperISA_SB_N2at6native12_GLOBAL__N_19CustomSumEEEEE10hipError_tPvRmT0_T1_jT2_SS_T4_T3_P12ihipStream_tbEUlT_E_NS1_11comp_targetILNS1_3genE9ELNS1_11target_archE1100ELNS1_3gpuE3ELNS1_3repE0EEENS1_30default_config_static_selectorELNS0_4arch9wavefront6targetE0EEEvSR_, .Lfunc_end125-_ZN7rocprim17ROCPRIM_400000_NS6detail17trampoline_kernelINS0_14default_configENS1_32segmented_reduce_config_selectorIN3c108BFloat16EEEZNS1_21segmented_reduce_implIS3_PKS6_PS6_PKiS6_N6hipcub16HIPCUB_304000_NS6detail27convert_result_type_wrapperISA_SB_N2at6native12_GLOBAL__N_19CustomSumEEEEE10hipError_tPvRmT0_T1_jT2_SS_T4_T3_P12ihipStream_tbEUlT_E_NS1_11comp_targetILNS1_3genE9ELNS1_11target_archE1100ELNS1_3gpuE3ELNS1_3repE0EEENS1_30default_config_static_selectorELNS0_4arch9wavefront6targetE0EEEvSR_
                                        ; -- End function
	.set _ZN7rocprim17ROCPRIM_400000_NS6detail17trampoline_kernelINS0_14default_configENS1_32segmented_reduce_config_selectorIN3c108BFloat16EEEZNS1_21segmented_reduce_implIS3_PKS6_PS6_PKiS6_N6hipcub16HIPCUB_304000_NS6detail27convert_result_type_wrapperISA_SB_N2at6native12_GLOBAL__N_19CustomSumEEEEE10hipError_tPvRmT0_T1_jT2_SS_T4_T3_P12ihipStream_tbEUlT_E_NS1_11comp_targetILNS1_3genE9ELNS1_11target_archE1100ELNS1_3gpuE3ELNS1_3repE0EEENS1_30default_config_static_selectorELNS0_4arch9wavefront6targetE0EEEvSR_.num_vgpr, 0
	.set _ZN7rocprim17ROCPRIM_400000_NS6detail17trampoline_kernelINS0_14default_configENS1_32segmented_reduce_config_selectorIN3c108BFloat16EEEZNS1_21segmented_reduce_implIS3_PKS6_PS6_PKiS6_N6hipcub16HIPCUB_304000_NS6detail27convert_result_type_wrapperISA_SB_N2at6native12_GLOBAL__N_19CustomSumEEEEE10hipError_tPvRmT0_T1_jT2_SS_T4_T3_P12ihipStream_tbEUlT_E_NS1_11comp_targetILNS1_3genE9ELNS1_11target_archE1100ELNS1_3gpuE3ELNS1_3repE0EEENS1_30default_config_static_selectorELNS0_4arch9wavefront6targetE0EEEvSR_.num_agpr, 0
	.set _ZN7rocprim17ROCPRIM_400000_NS6detail17trampoline_kernelINS0_14default_configENS1_32segmented_reduce_config_selectorIN3c108BFloat16EEEZNS1_21segmented_reduce_implIS3_PKS6_PS6_PKiS6_N6hipcub16HIPCUB_304000_NS6detail27convert_result_type_wrapperISA_SB_N2at6native12_GLOBAL__N_19CustomSumEEEEE10hipError_tPvRmT0_T1_jT2_SS_T4_T3_P12ihipStream_tbEUlT_E_NS1_11comp_targetILNS1_3genE9ELNS1_11target_archE1100ELNS1_3gpuE3ELNS1_3repE0EEENS1_30default_config_static_selectorELNS0_4arch9wavefront6targetE0EEEvSR_.numbered_sgpr, 0
	.set _ZN7rocprim17ROCPRIM_400000_NS6detail17trampoline_kernelINS0_14default_configENS1_32segmented_reduce_config_selectorIN3c108BFloat16EEEZNS1_21segmented_reduce_implIS3_PKS6_PS6_PKiS6_N6hipcub16HIPCUB_304000_NS6detail27convert_result_type_wrapperISA_SB_N2at6native12_GLOBAL__N_19CustomSumEEEEE10hipError_tPvRmT0_T1_jT2_SS_T4_T3_P12ihipStream_tbEUlT_E_NS1_11comp_targetILNS1_3genE9ELNS1_11target_archE1100ELNS1_3gpuE3ELNS1_3repE0EEENS1_30default_config_static_selectorELNS0_4arch9wavefront6targetE0EEEvSR_.num_named_barrier, 0
	.set _ZN7rocprim17ROCPRIM_400000_NS6detail17trampoline_kernelINS0_14default_configENS1_32segmented_reduce_config_selectorIN3c108BFloat16EEEZNS1_21segmented_reduce_implIS3_PKS6_PS6_PKiS6_N6hipcub16HIPCUB_304000_NS6detail27convert_result_type_wrapperISA_SB_N2at6native12_GLOBAL__N_19CustomSumEEEEE10hipError_tPvRmT0_T1_jT2_SS_T4_T3_P12ihipStream_tbEUlT_E_NS1_11comp_targetILNS1_3genE9ELNS1_11target_archE1100ELNS1_3gpuE3ELNS1_3repE0EEENS1_30default_config_static_selectorELNS0_4arch9wavefront6targetE0EEEvSR_.private_seg_size, 0
	.set _ZN7rocprim17ROCPRIM_400000_NS6detail17trampoline_kernelINS0_14default_configENS1_32segmented_reduce_config_selectorIN3c108BFloat16EEEZNS1_21segmented_reduce_implIS3_PKS6_PS6_PKiS6_N6hipcub16HIPCUB_304000_NS6detail27convert_result_type_wrapperISA_SB_N2at6native12_GLOBAL__N_19CustomSumEEEEE10hipError_tPvRmT0_T1_jT2_SS_T4_T3_P12ihipStream_tbEUlT_E_NS1_11comp_targetILNS1_3genE9ELNS1_11target_archE1100ELNS1_3gpuE3ELNS1_3repE0EEENS1_30default_config_static_selectorELNS0_4arch9wavefront6targetE0EEEvSR_.uses_vcc, 0
	.set _ZN7rocprim17ROCPRIM_400000_NS6detail17trampoline_kernelINS0_14default_configENS1_32segmented_reduce_config_selectorIN3c108BFloat16EEEZNS1_21segmented_reduce_implIS3_PKS6_PS6_PKiS6_N6hipcub16HIPCUB_304000_NS6detail27convert_result_type_wrapperISA_SB_N2at6native12_GLOBAL__N_19CustomSumEEEEE10hipError_tPvRmT0_T1_jT2_SS_T4_T3_P12ihipStream_tbEUlT_E_NS1_11comp_targetILNS1_3genE9ELNS1_11target_archE1100ELNS1_3gpuE3ELNS1_3repE0EEENS1_30default_config_static_selectorELNS0_4arch9wavefront6targetE0EEEvSR_.uses_flat_scratch, 0
	.set _ZN7rocprim17ROCPRIM_400000_NS6detail17trampoline_kernelINS0_14default_configENS1_32segmented_reduce_config_selectorIN3c108BFloat16EEEZNS1_21segmented_reduce_implIS3_PKS6_PS6_PKiS6_N6hipcub16HIPCUB_304000_NS6detail27convert_result_type_wrapperISA_SB_N2at6native12_GLOBAL__N_19CustomSumEEEEE10hipError_tPvRmT0_T1_jT2_SS_T4_T3_P12ihipStream_tbEUlT_E_NS1_11comp_targetILNS1_3genE9ELNS1_11target_archE1100ELNS1_3gpuE3ELNS1_3repE0EEENS1_30default_config_static_selectorELNS0_4arch9wavefront6targetE0EEEvSR_.has_dyn_sized_stack, 0
	.set _ZN7rocprim17ROCPRIM_400000_NS6detail17trampoline_kernelINS0_14default_configENS1_32segmented_reduce_config_selectorIN3c108BFloat16EEEZNS1_21segmented_reduce_implIS3_PKS6_PS6_PKiS6_N6hipcub16HIPCUB_304000_NS6detail27convert_result_type_wrapperISA_SB_N2at6native12_GLOBAL__N_19CustomSumEEEEE10hipError_tPvRmT0_T1_jT2_SS_T4_T3_P12ihipStream_tbEUlT_E_NS1_11comp_targetILNS1_3genE9ELNS1_11target_archE1100ELNS1_3gpuE3ELNS1_3repE0EEENS1_30default_config_static_selectorELNS0_4arch9wavefront6targetE0EEEvSR_.has_recursion, 0
	.set _ZN7rocprim17ROCPRIM_400000_NS6detail17trampoline_kernelINS0_14default_configENS1_32segmented_reduce_config_selectorIN3c108BFloat16EEEZNS1_21segmented_reduce_implIS3_PKS6_PS6_PKiS6_N6hipcub16HIPCUB_304000_NS6detail27convert_result_type_wrapperISA_SB_N2at6native12_GLOBAL__N_19CustomSumEEEEE10hipError_tPvRmT0_T1_jT2_SS_T4_T3_P12ihipStream_tbEUlT_E_NS1_11comp_targetILNS1_3genE9ELNS1_11target_archE1100ELNS1_3gpuE3ELNS1_3repE0EEENS1_30default_config_static_selectorELNS0_4arch9wavefront6targetE0EEEvSR_.has_indirect_call, 0
	.section	.AMDGPU.csdata,"",@progbits
; Kernel info:
; codeLenInByte = 0
; TotalNumSgprs: 0
; NumVgprs: 0
; ScratchSize: 0
; MemoryBound: 0
; FloatMode: 240
; IeeeMode: 1
; LDSByteSize: 0 bytes/workgroup (compile time only)
; SGPRBlocks: 0
; VGPRBlocks: 0
; NumSGPRsForWavesPerEU: 1
; NumVGPRsForWavesPerEU: 1
; Occupancy: 16
; WaveLimiterHint : 0
; COMPUTE_PGM_RSRC2:SCRATCH_EN: 0
; COMPUTE_PGM_RSRC2:USER_SGPR: 6
; COMPUTE_PGM_RSRC2:TRAP_HANDLER: 0
; COMPUTE_PGM_RSRC2:TGID_X_EN: 1
; COMPUTE_PGM_RSRC2:TGID_Y_EN: 0
; COMPUTE_PGM_RSRC2:TGID_Z_EN: 0
; COMPUTE_PGM_RSRC2:TIDIG_COMP_CNT: 0
	.section	.text._ZN7rocprim17ROCPRIM_400000_NS6detail17trampoline_kernelINS0_14default_configENS1_32segmented_reduce_config_selectorIN3c108BFloat16EEEZNS1_21segmented_reduce_implIS3_PKS6_PS6_PKiS6_N6hipcub16HIPCUB_304000_NS6detail27convert_result_type_wrapperISA_SB_N2at6native12_GLOBAL__N_19CustomSumEEEEE10hipError_tPvRmT0_T1_jT2_SS_T4_T3_P12ihipStream_tbEUlT_E_NS1_11comp_targetILNS1_3genE8ELNS1_11target_archE1030ELNS1_3gpuE2ELNS1_3repE0EEENS1_30default_config_static_selectorELNS0_4arch9wavefront6targetE0EEEvSR_,"axG",@progbits,_ZN7rocprim17ROCPRIM_400000_NS6detail17trampoline_kernelINS0_14default_configENS1_32segmented_reduce_config_selectorIN3c108BFloat16EEEZNS1_21segmented_reduce_implIS3_PKS6_PS6_PKiS6_N6hipcub16HIPCUB_304000_NS6detail27convert_result_type_wrapperISA_SB_N2at6native12_GLOBAL__N_19CustomSumEEEEE10hipError_tPvRmT0_T1_jT2_SS_T4_T3_P12ihipStream_tbEUlT_E_NS1_11comp_targetILNS1_3genE8ELNS1_11target_archE1030ELNS1_3gpuE2ELNS1_3repE0EEENS1_30default_config_static_selectorELNS0_4arch9wavefront6targetE0EEEvSR_,comdat
	.globl	_ZN7rocprim17ROCPRIM_400000_NS6detail17trampoline_kernelINS0_14default_configENS1_32segmented_reduce_config_selectorIN3c108BFloat16EEEZNS1_21segmented_reduce_implIS3_PKS6_PS6_PKiS6_N6hipcub16HIPCUB_304000_NS6detail27convert_result_type_wrapperISA_SB_N2at6native12_GLOBAL__N_19CustomSumEEEEE10hipError_tPvRmT0_T1_jT2_SS_T4_T3_P12ihipStream_tbEUlT_E_NS1_11comp_targetILNS1_3genE8ELNS1_11target_archE1030ELNS1_3gpuE2ELNS1_3repE0EEENS1_30default_config_static_selectorELNS0_4arch9wavefront6targetE0EEEvSR_ ; -- Begin function _ZN7rocprim17ROCPRIM_400000_NS6detail17trampoline_kernelINS0_14default_configENS1_32segmented_reduce_config_selectorIN3c108BFloat16EEEZNS1_21segmented_reduce_implIS3_PKS6_PS6_PKiS6_N6hipcub16HIPCUB_304000_NS6detail27convert_result_type_wrapperISA_SB_N2at6native12_GLOBAL__N_19CustomSumEEEEE10hipError_tPvRmT0_T1_jT2_SS_T4_T3_P12ihipStream_tbEUlT_E_NS1_11comp_targetILNS1_3genE8ELNS1_11target_archE1030ELNS1_3gpuE2ELNS1_3repE0EEENS1_30default_config_static_selectorELNS0_4arch9wavefront6targetE0EEEvSR_
	.p2align	8
	.type	_ZN7rocprim17ROCPRIM_400000_NS6detail17trampoline_kernelINS0_14default_configENS1_32segmented_reduce_config_selectorIN3c108BFloat16EEEZNS1_21segmented_reduce_implIS3_PKS6_PS6_PKiS6_N6hipcub16HIPCUB_304000_NS6detail27convert_result_type_wrapperISA_SB_N2at6native12_GLOBAL__N_19CustomSumEEEEE10hipError_tPvRmT0_T1_jT2_SS_T4_T3_P12ihipStream_tbEUlT_E_NS1_11comp_targetILNS1_3genE8ELNS1_11target_archE1030ELNS1_3gpuE2ELNS1_3repE0EEENS1_30default_config_static_selectorELNS0_4arch9wavefront6targetE0EEEvSR_,@function
_ZN7rocprim17ROCPRIM_400000_NS6detail17trampoline_kernelINS0_14default_configENS1_32segmented_reduce_config_selectorIN3c108BFloat16EEEZNS1_21segmented_reduce_implIS3_PKS6_PS6_PKiS6_N6hipcub16HIPCUB_304000_NS6detail27convert_result_type_wrapperISA_SB_N2at6native12_GLOBAL__N_19CustomSumEEEEE10hipError_tPvRmT0_T1_jT2_SS_T4_T3_P12ihipStream_tbEUlT_E_NS1_11comp_targetILNS1_3genE8ELNS1_11target_archE1030ELNS1_3gpuE2ELNS1_3repE0EEENS1_30default_config_static_selectorELNS0_4arch9wavefront6targetE0EEEvSR_: ; @_ZN7rocprim17ROCPRIM_400000_NS6detail17trampoline_kernelINS0_14default_configENS1_32segmented_reduce_config_selectorIN3c108BFloat16EEEZNS1_21segmented_reduce_implIS3_PKS6_PS6_PKiS6_N6hipcub16HIPCUB_304000_NS6detail27convert_result_type_wrapperISA_SB_N2at6native12_GLOBAL__N_19CustomSumEEEEE10hipError_tPvRmT0_T1_jT2_SS_T4_T3_P12ihipStream_tbEUlT_E_NS1_11comp_targetILNS1_3genE8ELNS1_11target_archE1030ELNS1_3gpuE2ELNS1_3repE0EEENS1_30default_config_static_selectorELNS0_4arch9wavefront6targetE0EEEvSR_
; %bb.0:
	s_clause 0x2
	s_load_dwordx8 s[12:19], s[4:5], 0x0
	s_load_dword s8, s[4:5], 0x28
	s_load_dwordx2 s[0:1], s[4:5], 0x20
	s_mov_b32 s7, 0
	v_cmp_eq_u32_e32 vcc_lo, 0, v0
	s_waitcnt lgkmcnt(0)
	s_lshl_b64 s[2:3], s[16:17], 2
	s_lshr_b32 s20, s8, 16
	s_add_u32 s4, s18, s2
	s_addc_u32 s5, s19, s3
	s_add_u32 s8, s0, s2
	s_addc_u32 s9, s1, s3
	s_lshl_b64 s[0:1], s[6:7], 2
	s_add_u32 s2, s4, s0
	s_addc_u32 s3, s5, s1
	s_add_u32 s0, s8, s0
	s_addc_u32 s1, s9, s1
	s_load_dword s10, s[2:3], 0x0
	s_load_dword s21, s[0:1], 0x0
	s_mov_b32 s0, -1
	s_mov_b32 s9, s7
	s_waitcnt lgkmcnt(0)
	s_cmp_gt_i32 s21, s10
	s_cbranch_scc1 .LBB126_2
; %bb.1:
	s_mov_b32 s0, 0
	s_and_b32 s9, vcc_lo, exec_lo
.LBB126_2:
	s_andn2_b32 vcc_lo, exec_lo, s0
	s_cbranch_vccnz .LBB126_36
; %bb.3:
	s_add_i32 s0, s10, 0x800
	s_cmp_le_i32 s0, s21
	s_cbranch_scc0 .LBB126_37
; %bb.4:
	s_ashr_i32 s11, s10, 31
	v_lshlrev_b32_e32 v10, 1, v0
	s_lshl_b64 s[2:3], s[10:11], 1
	s_add_u32 s2, s12, s2
	s_addc_u32 s3, s13, s3
	v_add_co_u32 v1, s1, s2, v10
	s_clause 0x3
	global_load_ushort v7, v10, s[2:3] offset:512
	global_load_ushort v8, v10, s[2:3]
	global_load_ushort v6, v10, s[2:3] offset:1024
	global_load_ushort v5, v10, s[2:3] offset:1536
	v_add_co_ci_u32_e64 v2, null, s3, 0, s1
	v_add_co_u32 v11, vcc_lo, 0x800, v1
	s_add_i32 s1, s10, 0x1000
	v_add_co_ci_u32_e64 v12, null, 0, v2, vcc_lo
	s_cmp_ge_i32 s1, s21
	s_clause 0x3
	global_load_ushort v4, v[11:12], off
	global_load_ushort v3, v[11:12], off offset:512
	global_load_ushort v2, v[11:12], off offset:1024
	;; [unrolled: 1-line block ×3, first 2 shown]
	s_waitcnt vmcnt(7)
	v_lshlrev_b32_e32 v9, 16, v7
	s_waitcnt vmcnt(6)
	v_lshlrev_b32_e32 v11, 16, v8
	;; [unrolled: 2-line block ×3, first 2 shown]
	v_add_f32_e32 v9, v11, v9
	v_bfe_u32 v11, v9, 16, 1
	v_cmp_o_f32_e32 vcc_lo, v9, v9
	v_add3_u32 v11, v9, v11, 0x7fff
	v_and_b32_e32 v11, 0xffff0000, v11
	v_cndmask_b32_e32 v9, 0x7fc00000, v11, vcc_lo
	v_add_f32_e32 v9, v9, v12
	s_waitcnt vmcnt(4)
	v_lshlrev_b32_e32 v12, 16, v5
	v_bfe_u32 v11, v9, 16, 1
	v_cmp_o_f32_e32 vcc_lo, v9, v9
	v_add3_u32 v11, v9, v11, 0x7fff
	v_and_b32_e32 v11, 0xffff0000, v11
	v_cndmask_b32_e32 v9, 0x7fc00000, v11, vcc_lo
	v_add_f32_e32 v9, v9, v12
	s_waitcnt vmcnt(3)
	v_lshlrev_b32_e32 v12, 16, v4
	;; [unrolled: 8-line block ×5, first 2 shown]
	v_bfe_u32 v11, v9, 16, 1
	v_cmp_o_f32_e32 vcc_lo, v9, v9
	v_add3_u32 v11, v9, v11, 0x7fff
	v_and_b32_e32 v11, 0xffff0000, v11
	v_cndmask_b32_e32 v9, 0x7fc00000, v11, vcc_lo
	v_mov_b32_e32 v11, 0x7fc0
	v_add_f32_e32 v9, v9, v12
	v_bfe_u32 v12, v9, 16, 1
	v_cmp_o_f32_e32 vcc_lo, v9, v9
	v_add3_u32 v9, v9, v12, 0x7fff
	v_cndmask_b32_sdwa v9, v11, v9, vcc_lo dst_sel:DWORD dst_unused:UNUSED_PAD src0_sel:DWORD src1_sel:WORD_1
	s_cbranch_scc1 .LBB126_7
; %bb.5:
	v_add_co_u32 v12, s1, s12, v10
	v_add_co_ci_u32_e64 v13, null, s13, 0, s1
.LBB126_6:                              ; =>This Inner Loop Header: Depth=1
	s_ashr_i32 s1, s0, 31
	v_lshlrev_b32_e32 v9, 16, v9
	s_lshl_b64 s[2:3], s[0:1], 1
	s_add_i32 s1, s0, 0x1000
	v_add_co_u32 v1, vcc_lo, v12, s2
	v_add_co_ci_u32_e64 v2, null, s3, v13, vcc_lo
	s_addk_i32 s0, 0x800
	v_add_co_u32 v14, vcc_lo, 0x800, v1
	s_clause 0x3
	global_load_ushort v8, v[1:2], off
	global_load_ushort v7, v[1:2], off offset:512
	global_load_ushort v6, v[1:2], off offset:1024
	;; [unrolled: 1-line block ×3, first 2 shown]
	v_add_co_ci_u32_e64 v15, null, 0, v2, vcc_lo
	s_cmp_lt_i32 s1, s21
	s_clause 0x3
	global_load_ushort v4, v[14:15], off
	global_load_ushort v3, v[14:15], off offset:512
	global_load_ushort v2, v[14:15], off offset:1024
	;; [unrolled: 1-line block ×3, first 2 shown]
	s_waitcnt vmcnt(7)
	v_lshlrev_b32_e32 v14, 16, v8
	s_waitcnt vmcnt(6)
	v_lshlrev_b32_e32 v15, 16, v7
	v_add_f32_e32 v9, v9, v14
	v_bfe_u32 v14, v9, 16, 1
	v_cmp_o_f32_e32 vcc_lo, v9, v9
	v_add3_u32 v14, v9, v14, 0x7fff
	v_and_b32_e32 v14, 0xffff0000, v14
	v_cndmask_b32_e32 v9, 0x7fc00000, v14, vcc_lo
	v_add_f32_e32 v9, v9, v15
	s_waitcnt vmcnt(5)
	v_lshlrev_b32_e32 v15, 16, v6
	v_bfe_u32 v14, v9, 16, 1
	v_cmp_o_f32_e32 vcc_lo, v9, v9
	v_add3_u32 v14, v9, v14, 0x7fff
	v_and_b32_e32 v14, 0xffff0000, v14
	v_cndmask_b32_e32 v9, 0x7fc00000, v14, vcc_lo
	v_add_f32_e32 v9, v9, v15
	s_waitcnt vmcnt(4)
	v_lshlrev_b32_e32 v15, 16, v5
	;; [unrolled: 8-line block ×6, first 2 shown]
	v_bfe_u32 v14, v9, 16, 1
	v_cmp_o_f32_e32 vcc_lo, v9, v9
	v_add3_u32 v14, v9, v14, 0x7fff
	v_and_b32_e32 v14, 0xffff0000, v14
	v_cndmask_b32_e32 v9, 0x7fc00000, v14, vcc_lo
	v_add_f32_e32 v9, v9, v15
	v_bfe_u32 v14, v9, 16, 1
	v_cmp_o_f32_e32 vcc_lo, v9, v9
	v_add3_u32 v9, v9, v14, 0x7fff
	v_cndmask_b32_sdwa v9, v11, v9, vcc_lo dst_sel:DWORD dst_unused:UNUSED_PAD src0_sel:DWORD src1_sel:WORD_1
	s_cbranch_scc1 .LBB126_6
.LBB126_7:
	s_ashr_i32 s1, s0, 31
	s_sub_i32 s11, s21, s0
	s_lshl_b64 s[0:1], s[0:1], 1
	v_cmp_gt_u32_e32 vcc_lo, s11, v0
	s_add_u32 s18, s12, s0
	s_addc_u32 s19, s13, s1
	s_and_saveexec_b32 s0, vcc_lo
	s_cbranch_execz .LBB126_9
; %bb.8:
	global_load_ushort v8, v10, s[18:19]
.LBB126_9:
	s_or_b32 exec_lo, exec_lo, s0
	v_or_b32_e32 v11, 0x100, v0
	v_cmp_gt_u32_e64 s8, s11, v11
	s_and_saveexec_b32 s0, s8
	s_cbranch_execz .LBB126_11
; %bb.10:
	global_load_ushort v7, v10, s[18:19] offset:512
.LBB126_11:
	s_or_b32 exec_lo, exec_lo, s0
	v_or_b32_e32 v11, 0x200, v0
	v_cmp_gt_u32_e64 s5, s11, v11
	s_and_saveexec_b32 s0, s5
	s_cbranch_execz .LBB126_13
; %bb.12:
	global_load_ushort v6, v10, s[18:19] offset:1024
.LBB126_13:
	;; [unrolled: 8-line block ×3, first 2 shown]
	s_or_b32 exec_lo, exec_lo, s0
	v_or_b32_e32 v10, 0x400, v0
	v_cmp_gt_u32_e64 s3, s11, v10
	s_and_saveexec_b32 s0, s3
	s_cbranch_execz .LBB126_17
; %bb.16:
	v_lshlrev_b32_e32 v4, 1, v10
	global_load_ushort v4, v4, s[18:19]
.LBB126_17:
	s_or_b32 exec_lo, exec_lo, s0
	v_or_b32_e32 v10, 0x500, v0
	v_cmp_gt_u32_e64 s2, s11, v10
	s_and_saveexec_b32 s0, s2
	s_cbranch_execz .LBB126_19
; %bb.18:
	v_lshlrev_b32_e32 v3, 1, v10
	global_load_ushort v3, v3, s[18:19]
.LBB126_19:
	;; [unrolled: 9-line block ×3, first 2 shown]
	s_or_b32 exec_lo, exec_lo, s0
	v_or_b32_e32 v10, 0x700, v0
	v_cmp_gt_u32_e64 s0, s11, v10
	s_and_saveexec_b32 s11, s0
	s_cbranch_execnz .LBB126_66
; %bb.22:
	s_or_b32 exec_lo, exec_lo, s11
	s_and_saveexec_b32 s11, vcc_lo
	s_cbranch_execnz .LBB126_67
.LBB126_23:
	s_or_b32 exec_lo, exec_lo, s11
	s_and_saveexec_b32 s11, s8
	s_cbranch_execnz .LBB126_68
.LBB126_24:
	s_or_b32 exec_lo, exec_lo, s11
	s_and_saveexec_b32 s8, s5
	s_cbranch_execnz .LBB126_69
.LBB126_25:
	s_or_b32 exec_lo, exec_lo, s8
	s_and_saveexec_b32 s5, s4
	s_cbranch_execnz .LBB126_70
.LBB126_26:
	s_or_b32 exec_lo, exec_lo, s5
	s_and_saveexec_b32 s4, s3
	s_cbranch_execnz .LBB126_71
.LBB126_27:
	s_or_b32 exec_lo, exec_lo, s4
	s_and_saveexec_b32 s3, s2
	s_cbranch_execnz .LBB126_72
.LBB126_28:
	s_or_b32 exec_lo, exec_lo, s3
	s_and_saveexec_b32 s2, s1
	s_cbranch_execnz .LBB126_73
.LBB126_29:
	s_or_b32 exec_lo, exec_lo, s2
	s_and_saveexec_b32 s1, s0
	s_cbranch_execz .LBB126_31
.LBB126_30:
	s_waitcnt vmcnt(0)
	v_lshlrev_b32_e32 v2, 16, v9
	v_lshlrev_b32_e32 v1, 16, v1
	v_add_f32_e32 v1, v1, v2
	v_bfe_u32 v2, v1, 16, 1
	v_cmp_o_f32_e32 vcc_lo, v1, v1
	v_add3_u32 v1, v1, v2, 0x7fff
	v_mov_b32_e32 v2, 0x7fc0
	v_cndmask_b32_sdwa v9, v2, v1, vcc_lo dst_sel:DWORD dst_unused:UNUSED_PAD src0_sel:DWORD src1_sel:WORD_1
.LBB126_31:
	s_or_b32 exec_lo, exec_lo, s1
	s_waitcnt vmcnt(0)
	v_and_b32_e32 v1, 0xffff, v9
	v_lshlrev_b32_e32 v2, 16, v9
	v_mov_b32_e32 v3, 0x7fc0
	s_mov_b32 s0, exec_lo
	v_mov_b32_dpp v1, v1 quad_perm:[1,0,3,2] row_mask:0xf bank_mask:0xf
	v_lshlrev_b32_e32 v1, 16, v1
	v_add_f32_e32 v1, v2, v1
	v_bfe_u32 v2, v1, 16, 1
	v_cmp_o_f32_e32 vcc_lo, v1, v1
	v_add3_u32 v2, v1, v2, 0x7fff
	v_lshrrev_b32_e32 v2, 16, v2
	v_cndmask_b32_e32 v1, 0x7fc0, v2, vcc_lo
	v_mov_b32_dpp v2, v1 quad_perm:[2,3,0,1] row_mask:0xf bank_mask:0xf
	v_lshlrev_b32_e32 v1, 16, v1
	v_lshlrev_b32_e32 v2, 16, v2
	v_add_f32_e32 v1, v2, v1
	v_bfe_u32 v2, v1, 16, 1
	v_cmp_o_f32_e32 vcc_lo, v1, v1
	v_add3_u32 v2, v1, v2, 0x7fff
	v_lshrrev_b32_e32 v2, 16, v2
	v_cndmask_b32_e32 v1, 0x7fc0, v2, vcc_lo
	v_mov_b32_dpp v2, v1 row_ror:4 row_mask:0xf bank_mask:0xf
	v_lshlrev_b32_e32 v1, 16, v1
	v_lshlrev_b32_e32 v2, 16, v2
	v_add_f32_e32 v1, v2, v1
	v_bfe_u32 v2, v1, 16, 1
	v_cmp_o_f32_e32 vcc_lo, v1, v1
	v_add3_u32 v2, v1, v2, 0x7fff
	v_lshrrev_b32_e32 v2, 16, v2
	v_cndmask_b32_e32 v1, 0x7fc0, v2, vcc_lo
	v_mov_b32_dpp v2, v1 row_ror:8 row_mask:0xf bank_mask:0xf
	v_lshlrev_b32_e32 v1, 16, v1
	v_lshlrev_b32_e32 v2, 16, v2
	v_add_f32_e32 v1, v2, v1
	v_bfe_u32 v2, v1, 16, 1
	v_cmp_o_f32_e32 vcc_lo, v1, v1
	v_add3_u32 v1, v1, v2, 0x7fff
	v_cndmask_b32_sdwa v1, v3, v1, vcc_lo dst_sel:DWORD dst_unused:UNUSED_PAD src0_sel:DWORD src1_sel:WORD_1
	ds_swizzle_b32 v2, v1 offset:swizzle(BROADCAST,32,15)
	v_lshlrev_b32_e32 v1, 16, v1
	s_waitcnt lgkmcnt(0)
	v_lshlrev_b32_e32 v2, 16, v2
	v_add_f32_e32 v1, v2, v1
	v_bfe_u32 v2, v1, 16, 1
	v_cmp_o_f32_e32 vcc_lo, v1, v1
	v_add3_u32 v1, v1, v2, 0x7fff
	v_mov_b32_e32 v2, 0
	v_cndmask_b32_sdwa v1, v3, v1, vcc_lo dst_sel:DWORD dst_unused:UNUSED_PAD src0_sel:DWORD src1_sel:WORD_1
	ds_bpermute_b32 v4, v2, v1 offset:124
	v_mbcnt_lo_u32_b32 v1, -1, 0
	v_cmpx_eq_u32_e32 0, v1
	s_xor_b32 s0, exec_lo, s0
	s_cbranch_execz .LBB126_33
; %bb.32:
	v_lshrrev_b32_e32 v2, 4, v0
	v_and_b32_e32 v2, 14, v2
	s_waitcnt lgkmcnt(0)
	ds_write_b16 v2, v4
.LBB126_33:
	s_or_b32 exec_lo, exec_lo, s0
	s_mov_b32 s0, exec_lo
	s_waitcnt lgkmcnt(0)
	s_barrier
	buffer_gl0_inv
	v_cmpx_gt_u32_e32 32, v0
	s_cbranch_execz .LBB126_35
; %bb.34:
	v_and_b32_e32 v2, 7, v1
	v_lshlrev_b32_e32 v3, 1, v2
	v_cmp_ne_u32_e32 vcc_lo, 7, v2
	ds_read_u16 v3, v3
	v_add_co_ci_u32_e64 v4, null, 0, v1, vcc_lo
	v_cmp_gt_u32_e32 vcc_lo, 6, v2
	v_lshlrev_b32_e32 v4, 2, v4
	v_cndmask_b32_e64 v2, 0, 2, vcc_lo
	v_add_lshl_u32 v2, v2, v1, 2
	v_lshlrev_b32_e32 v1, 2, v1
	v_or_b32_e32 v1, 16, v1
	s_waitcnt lgkmcnt(0)
	ds_bpermute_b32 v4, v4, v3
	v_lshlrev_b32_e32 v3, 16, v3
	s_waitcnt lgkmcnt(0)
	v_lshlrev_b32_e32 v4, 16, v4
	v_add_f32_e32 v3, v3, v4
	v_bfe_u32 v4, v3, 16, 1
	v_cmp_o_f32_e32 vcc_lo, v3, v3
	v_add3_u32 v4, v3, v4, 0x7fff
	v_lshrrev_b32_e32 v4, 16, v4
	v_cndmask_b32_e32 v3, 0x7fc0, v4, vcc_lo
	ds_bpermute_b32 v2, v2, v3
	v_lshlrev_b32_e32 v3, 16, v3
	s_waitcnt lgkmcnt(0)
	v_lshlrev_b32_e32 v2, 16, v2
	v_add_f32_e32 v2, v2, v3
	v_bfe_u32 v3, v2, 16, 1
	v_cmp_o_f32_e32 vcc_lo, v2, v2
	v_add3_u32 v2, v2, v3, 0x7fff
	v_mov_b32_e32 v3, 0x7fc0
	v_cndmask_b32_sdwa v2, v3, v2, vcc_lo dst_sel:DWORD dst_unused:UNUSED_PAD src0_sel:DWORD src1_sel:WORD_1
	ds_bpermute_b32 v1, v1, v2
	v_lshlrev_b32_e32 v2, 16, v2
	s_waitcnt lgkmcnt(0)
	v_lshlrev_b32_e32 v1, 16, v1
	v_add_f32_e32 v1, v1, v2
	v_bfe_u32 v2, v1, 16, 1
	v_cmp_o_f32_e32 vcc_lo, v1, v1
	v_add3_u32 v1, v1, v2, 0x7fff
	v_cndmask_b32_sdwa v4, v3, v1, vcc_lo dst_sel:DWORD dst_unused:UNUSED_PAD src0_sel:DWORD src1_sel:WORD_1
.LBB126_35:
	s_or_b32 exec_lo, exec_lo, s0
	s_branch .LBB126_80
.LBB126_36:
	v_mov_b32_e32 v1, s20
	s_and_saveexec_b32 s0, s9
	s_cbranch_execnz .LBB126_83
	s_branch .LBB126_84
.LBB126_37:
                                        ; implicit-def: $vgpr4
	s_cbranch_execz .LBB126_80
; %bb.38:
	s_sub_i32 s1, s21, s10
	s_mov_b32 s2, exec_lo
                                        ; implicit-def: $vgpr3
	v_cmpx_gt_u32_e64 s1, v0
	s_cbranch_execz .LBB126_44
; %bb.39:
	v_add_nc_u32_e32 v1, s10, v0
	s_mov_b32 s3, exec_lo
	v_ashrrev_i32_e32 v2, 31, v1
	v_lshlrev_b64 v[2:3], 1, v[1:2]
	v_add_nc_u32_e32 v1, 0x100, v1
	v_add_co_u32 v2, vcc_lo, s12, v2
	v_add_co_ci_u32_e64 v3, null, s13, v3, vcc_lo
	global_load_ushort v3, v[2:3], off
	v_cmpx_gt_i32_e64 s21, v1
	s_cbranch_execz .LBB126_43
; %bb.40:
	v_mov_b32_e32 v4, 0x7fc0
	s_mov_b32 s4, 0
	.p2align	6
.LBB126_41:                             ; =>This Inner Loop Header: Depth=1
	v_ashrrev_i32_e32 v2, 31, v1
	s_waitcnt vmcnt(0)
	v_lshlrev_b32_e32 v3, 16, v3
	v_lshlrev_b64 v[5:6], 1, v[1:2]
	v_add_nc_u32_e32 v1, 0x100, v1
	v_cmp_le_i32_e64 s0, s21, v1
	v_add_co_u32 v5, vcc_lo, s12, v5
	v_add_co_ci_u32_e64 v6, null, s13, v6, vcc_lo
	s_or_b32 s4, s0, s4
	global_load_ushort v2, v[5:6], off
	s_waitcnt vmcnt(0)
	v_lshlrev_b32_e32 v2, 16, v2
	v_add_f32_e32 v2, v3, v2
	v_bfe_u32 v3, v2, 16, 1
	v_cmp_o_f32_e32 vcc_lo, v2, v2
	v_add3_u32 v2, v2, v3, 0x7fff
	v_cndmask_b32_sdwa v3, v4, v2, vcc_lo dst_sel:DWORD dst_unused:UNUSED_PAD src0_sel:DWORD src1_sel:WORD_1
	s_andn2_b32 exec_lo, exec_lo, s4
	s_cbranch_execnz .LBB126_41
; %bb.42:
	s_or_b32 exec_lo, exec_lo, s4
.LBB126_43:
	s_or_b32 exec_lo, exec_lo, s3
.LBB126_44:
	s_or_b32 exec_lo, exec_lo, s2
	v_mbcnt_lo_u32_b32 v1, -1, 0
	s_waitcnt vmcnt(0)
	v_and_b32_e32 v2, 0xffff, v3
	s_cmpk_lt_u32 s1, 0x100
	s_cbranch_scc0 .LBB126_74
; %bb.45:
	v_cmp_ne_u32_e32 vcc_lo, 31, v1
	v_mov_b32_e32 v7, v2
	v_add_co_ci_u32_e64 v4, null, 0, v1, vcc_lo
	v_lshlrev_b32_e32 v4, 2, v4
	ds_bpermute_b32 v6, v4, v2
	v_and_b32_e32 v4, 0xe0, v0
	v_sub_nc_u32_e64 v5, s1, v4 clamp
	v_add_nc_u32_e32 v4, 1, v1
	v_cmp_lt_u32_e32 vcc_lo, v4, v5
	v_mov_b32_e32 v4, v3
	s_and_saveexec_b32 s0, vcc_lo
	s_cbranch_execz .LBB126_47
; %bb.46:
	v_lshlrev_b32_e32 v4, 16, v2
	s_waitcnt lgkmcnt(0)
	v_lshlrev_b32_e32 v6, 16, v6
	v_add_f32_e32 v4, v4, v6
	v_bfe_u32 v6, v4, 16, 1
	v_cmp_o_f32_e32 vcc_lo, v4, v4
	v_add3_u32 v4, v4, v6, 0x7fff
	v_mov_b32_e32 v6, 0x7fc0
	v_cndmask_b32_sdwa v4, v6, v4, vcc_lo dst_sel:DWORD dst_unused:UNUSED_PAD src0_sel:DWORD src1_sel:WORD_1
	v_and_b32_e32 v7, 0xffff, v4
.LBB126_47:
	s_or_b32 exec_lo, exec_lo, s0
	v_cmp_gt_u32_e32 vcc_lo, 30, v1
	v_add_nc_u32_e32 v8, 2, v1
	s_mov_b32 s0, exec_lo
	s_waitcnt lgkmcnt(0)
	v_cndmask_b32_e64 v6, 0, 2, vcc_lo
	v_add_lshl_u32 v6, v6, v1, 2
	ds_bpermute_b32 v6, v6, v7
	v_cmpx_lt_u32_e64 v8, v5
	s_cbranch_execz .LBB126_49
; %bb.48:
	v_lshlrev_b32_e32 v4, 16, v7
	s_waitcnt lgkmcnt(0)
	v_lshlrev_b32_e32 v6, 16, v6
	v_add_f32_e32 v4, v4, v6
	v_bfe_u32 v6, v4, 16, 1
	v_cmp_o_f32_e32 vcc_lo, v4, v4
	v_add3_u32 v4, v4, v6, 0x7fff
	v_mov_b32_e32 v6, 0x7fc0
	v_cndmask_b32_sdwa v4, v6, v4, vcc_lo dst_sel:DWORD dst_unused:UNUSED_PAD src0_sel:DWORD src1_sel:WORD_1
	v_and_b32_e32 v7, 0xffff, v4
.LBB126_49:
	s_or_b32 exec_lo, exec_lo, s0
	v_cmp_gt_u32_e32 vcc_lo, 28, v1
	v_add_nc_u32_e32 v8, 4, v1
	s_mov_b32 s0, exec_lo
	s_waitcnt lgkmcnt(0)
	v_cndmask_b32_e64 v6, 0, 4, vcc_lo
	v_add_lshl_u32 v6, v6, v1, 2
	ds_bpermute_b32 v6, v6, v7
	v_cmpx_lt_u32_e64 v8, v5
	;; [unrolled: 22-line block ×3, first 2 shown]
	s_cbranch_execz .LBB126_53
; %bb.52:
	v_lshlrev_b32_e32 v4, 16, v7
	s_waitcnt lgkmcnt(0)
	v_lshlrev_b32_e32 v6, 16, v6
	v_add_f32_e32 v4, v4, v6
	v_bfe_u32 v6, v4, 16, 1
	v_cmp_o_f32_e32 vcc_lo, v4, v4
	v_add3_u32 v4, v4, v6, 0x7fff
	v_mov_b32_e32 v6, 0x7fc0
	v_cndmask_b32_sdwa v4, v6, v4, vcc_lo dst_sel:DWORD dst_unused:UNUSED_PAD src0_sel:DWORD src1_sel:WORD_1
	v_and_b32_e32 v7, 0xffff, v4
.LBB126_53:
	s_or_b32 exec_lo, exec_lo, s0
	s_waitcnt lgkmcnt(0)
	v_lshlrev_b32_e32 v6, 2, v1
	v_add_nc_u32_e32 v9, 16, v1
	s_mov_b32 s0, exec_lo
	v_or_b32_e32 v8, 64, v6
	ds_bpermute_b32 v8, v8, v7
	v_cmpx_lt_u32_e64 v9, v5
	s_cbranch_execz .LBB126_55
; %bb.54:
	v_lshlrev_b32_e32 v4, 16, v7
	s_waitcnt lgkmcnt(0)
	v_lshlrev_b32_e32 v5, 16, v8
	v_add_f32_e32 v4, v4, v5
	v_bfe_u32 v5, v4, 16, 1
	v_cmp_o_f32_e32 vcc_lo, v4, v4
	v_add3_u32 v4, v4, v5, 0x7fff
	v_mov_b32_e32 v5, 0x7fc0
	v_cndmask_b32_sdwa v4, v5, v4, vcc_lo dst_sel:DWORD dst_unused:UNUSED_PAD src0_sel:DWORD src1_sel:WORD_1
.LBB126_55:
	s_or_b32 exec_lo, exec_lo, s0
	s_mov_b32 s0, exec_lo
	v_cmpx_eq_u32_e32 0, v1
; %bb.56:
	v_lshrrev_b32_e32 v5, 4, v0
	v_and_b32_e32 v5, 14, v5
	ds_write_b16 v5, v4
; %bb.57:
	s_or_b32 exec_lo, exec_lo, s0
	s_mov_b32 s0, exec_lo
	s_waitcnt lgkmcnt(0)
	s_barrier
	buffer_gl0_inv
	v_cmpx_gt_u32_e32 8, v0
	s_cbranch_execz .LBB126_65
; %bb.58:
	v_lshlrev_b32_e32 v4, 1, v1
	v_and_b32_e32 v5, 7, v1
	s_add_i32 s1, s1, 31
	s_mov_b32 s2, exec_lo
	s_lshr_b32 s1, s1, 5
	ds_read_u16 v4, v4
	v_cmp_ne_u32_e32 vcc_lo, 7, v5
	v_add_nc_u32_e32 v9, 1, v5
	v_add_co_ci_u32_e64 v7, null, 0, v1, vcc_lo
	v_lshlrev_b32_e32 v8, 2, v7
	s_waitcnt lgkmcnt(0)
	v_and_b32_e32 v7, 0xffff, v4
	ds_bpermute_b32 v8, v8, v7
	v_cmpx_gt_u32_e64 s1, v9
	s_cbranch_execz .LBB126_60
; %bb.59:
	v_lshlrev_b32_e32 v4, 16, v7
	s_waitcnt lgkmcnt(0)
	v_lshlrev_b32_e32 v7, 16, v8
	v_add_f32_e32 v4, v4, v7
	v_bfe_u32 v7, v4, 16, 1
	v_cmp_o_f32_e32 vcc_lo, v4, v4
	v_add3_u32 v4, v4, v7, 0x7fff
	v_mov_b32_e32 v7, 0x7fc0
	v_cndmask_b32_sdwa v4, v7, v4, vcc_lo dst_sel:DWORD dst_unused:UNUSED_PAD src0_sel:DWORD src1_sel:WORD_1
	v_and_b32_e32 v7, 0xffff, v4
.LBB126_60:
	s_or_b32 exec_lo, exec_lo, s2
	v_cmp_gt_u32_e32 vcc_lo, 6, v5
	v_add_nc_u32_e32 v9, 2, v5
	s_mov_b32 s2, exec_lo
	s_waitcnt lgkmcnt(0)
	v_cndmask_b32_e64 v8, 0, 2, vcc_lo
	v_add_lshl_u32 v8, v8, v1, 2
	ds_bpermute_b32 v8, v8, v7
	v_cmpx_gt_u32_e64 s1, v9
	s_cbranch_execz .LBB126_62
; %bb.61:
	v_lshlrev_b32_e32 v4, 16, v7
	s_waitcnt lgkmcnt(0)
	v_lshlrev_b32_e32 v7, 16, v8
	v_add_f32_e32 v4, v4, v7
	v_bfe_u32 v7, v4, 16, 1
	v_cmp_o_f32_e32 vcc_lo, v4, v4
	v_add3_u32 v4, v4, v7, 0x7fff
	v_mov_b32_e32 v7, 0x7fc0
	v_cndmask_b32_sdwa v4, v7, v4, vcc_lo dst_sel:DWORD dst_unused:UNUSED_PAD src0_sel:DWORD src1_sel:WORD_1
	v_and_b32_e32 v7, 0xffff, v4
.LBB126_62:
	s_or_b32 exec_lo, exec_lo, s2
	v_or_b32_e32 v6, 16, v6
	v_add_nc_u32_e32 v5, 4, v5
	ds_bpermute_b32 v6, v6, v7
	v_cmp_gt_u32_e32 vcc_lo, s1, v5
	s_and_saveexec_b32 s1, vcc_lo
	s_cbranch_execz .LBB126_64
; %bb.63:
	v_lshlrev_b32_e32 v4, 16, v7
	s_waitcnt lgkmcnt(0)
	v_lshlrev_b32_e32 v5, 16, v6
	v_add_f32_e32 v4, v4, v5
	v_bfe_u32 v5, v4, 16, 1
	v_cmp_o_f32_e32 vcc_lo, v4, v4
	v_add3_u32 v4, v4, v5, 0x7fff
	v_mov_b32_e32 v5, 0x7fc0
	v_cndmask_b32_sdwa v4, v5, v4, vcc_lo dst_sel:DWORD dst_unused:UNUSED_PAD src0_sel:DWORD src1_sel:WORD_1
.LBB126_64:
	s_or_b32 exec_lo, exec_lo, s1
.LBB126_65:
	s_or_b32 exec_lo, exec_lo, s0
	s_branch .LBB126_80
.LBB126_66:
	v_lshlrev_b32_e32 v1, 1, v10
	global_load_ushort v1, v1, s[18:19]
	s_or_b32 exec_lo, exec_lo, s11
	s_and_saveexec_b32 s11, vcc_lo
	s_cbranch_execz .LBB126_23
.LBB126_67:
	v_lshlrev_b32_e32 v9, 16, v9
	s_waitcnt vmcnt(0)
	v_lshlrev_b32_e32 v8, 16, v8
	v_add_f32_e32 v8, v9, v8
	v_bfe_u32 v9, v8, 16, 1
	v_cmp_o_f32_e32 vcc_lo, v8, v8
	v_add3_u32 v8, v8, v9, 0x7fff
	v_mov_b32_e32 v9, 0x7fc0
	v_cndmask_b32_sdwa v9, v9, v8, vcc_lo dst_sel:DWORD dst_unused:UNUSED_PAD src0_sel:DWORD src1_sel:WORD_1
	s_or_b32 exec_lo, exec_lo, s11
	s_and_saveexec_b32 s11, s8
	s_cbranch_execz .LBB126_24
.LBB126_68:
	s_waitcnt vmcnt(0)
	v_lshlrev_b32_e32 v8, 16, v9
	v_lshlrev_b32_e32 v7, 16, v7
	v_add_f32_e32 v7, v7, v8
	v_bfe_u32 v8, v7, 16, 1
	v_cmp_o_f32_e32 vcc_lo, v7, v7
	v_add3_u32 v7, v7, v8, 0x7fff
	v_mov_b32_e32 v8, 0x7fc0
	v_cndmask_b32_sdwa v9, v8, v7, vcc_lo dst_sel:DWORD dst_unused:UNUSED_PAD src0_sel:DWORD src1_sel:WORD_1
	s_or_b32 exec_lo, exec_lo, s11
	s_and_saveexec_b32 s8, s5
	s_cbranch_execz .LBB126_25
.LBB126_69:
	s_waitcnt vmcnt(0)
	v_lshlrev_b32_e32 v7, 16, v9
	v_lshlrev_b32_e32 v6, 16, v6
	v_add_f32_e32 v6, v6, v7
	v_bfe_u32 v7, v6, 16, 1
	v_cmp_o_f32_e32 vcc_lo, v6, v6
	v_add3_u32 v6, v6, v7, 0x7fff
	v_mov_b32_e32 v7, 0x7fc0
	v_cndmask_b32_sdwa v9, v7, v6, vcc_lo dst_sel:DWORD dst_unused:UNUSED_PAD src0_sel:DWORD src1_sel:WORD_1
	s_or_b32 exec_lo, exec_lo, s8
	s_and_saveexec_b32 s5, s4
	s_cbranch_execz .LBB126_26
.LBB126_70:
	s_waitcnt vmcnt(0)
	v_lshlrev_b32_e32 v6, 16, v9
	v_lshlrev_b32_e32 v5, 16, v5
	v_add_f32_e32 v5, v5, v6
	v_bfe_u32 v6, v5, 16, 1
	v_cmp_o_f32_e32 vcc_lo, v5, v5
	v_add3_u32 v5, v5, v6, 0x7fff
	v_mov_b32_e32 v6, 0x7fc0
	v_cndmask_b32_sdwa v9, v6, v5, vcc_lo dst_sel:DWORD dst_unused:UNUSED_PAD src0_sel:DWORD src1_sel:WORD_1
	s_or_b32 exec_lo, exec_lo, s5
	s_and_saveexec_b32 s4, s3
	s_cbranch_execz .LBB126_27
.LBB126_71:
	s_waitcnt vmcnt(0)
	v_lshlrev_b32_e32 v5, 16, v9
	v_lshlrev_b32_e32 v4, 16, v4
	v_add_f32_e32 v4, v4, v5
	v_bfe_u32 v5, v4, 16, 1
	v_cmp_o_f32_e32 vcc_lo, v4, v4
	v_add3_u32 v4, v4, v5, 0x7fff
	v_mov_b32_e32 v5, 0x7fc0
	v_cndmask_b32_sdwa v9, v5, v4, vcc_lo dst_sel:DWORD dst_unused:UNUSED_PAD src0_sel:DWORD src1_sel:WORD_1
	s_or_b32 exec_lo, exec_lo, s4
	s_and_saveexec_b32 s3, s2
	s_cbranch_execz .LBB126_28
.LBB126_72:
	s_waitcnt vmcnt(0)
	v_lshlrev_b32_e32 v4, 16, v9
	v_lshlrev_b32_e32 v3, 16, v3
	v_add_f32_e32 v3, v3, v4
	v_bfe_u32 v4, v3, 16, 1
	v_cmp_o_f32_e32 vcc_lo, v3, v3
	v_add3_u32 v3, v3, v4, 0x7fff
	v_mov_b32_e32 v4, 0x7fc0
	v_cndmask_b32_sdwa v9, v4, v3, vcc_lo dst_sel:DWORD dst_unused:UNUSED_PAD src0_sel:DWORD src1_sel:WORD_1
	s_or_b32 exec_lo, exec_lo, s3
	s_and_saveexec_b32 s2, s1
	s_cbranch_execz .LBB126_29
.LBB126_73:
	s_waitcnt vmcnt(0)
	v_lshlrev_b32_e32 v3, 16, v9
	v_lshlrev_b32_e32 v2, 16, v2
	v_add_f32_e32 v2, v2, v3
	v_bfe_u32 v3, v2, 16, 1
	v_cmp_o_f32_e32 vcc_lo, v2, v2
	v_add3_u32 v2, v2, v3, 0x7fff
	v_mov_b32_e32 v3, 0x7fc0
	v_cndmask_b32_sdwa v9, v3, v2, vcc_lo dst_sel:DWORD dst_unused:UNUSED_PAD src0_sel:DWORD src1_sel:WORD_1
	s_or_b32 exec_lo, exec_lo, s2
	s_and_saveexec_b32 s1, s0
	s_cbranch_execnz .LBB126_30
	s_branch .LBB126_31
.LBB126_74:
                                        ; implicit-def: $vgpr4
	s_cbranch_execz .LBB126_80
; %bb.75:
	v_mov_b32_dpp v2, v2 quad_perm:[1,0,3,2] row_mask:0xf bank_mask:0xf
	v_lshlrev_b32_e32 v3, 16, v3
	v_mov_b32_e32 v4, 0x7fc0
	s_mov_b32 s0, exec_lo
	v_lshlrev_b32_e32 v2, 16, v2
	v_add_f32_e32 v2, v3, v2
	v_bfe_u32 v3, v2, 16, 1
	v_cmp_o_f32_e32 vcc_lo, v2, v2
	v_add3_u32 v3, v2, v3, 0x7fff
	v_lshrrev_b32_e32 v3, 16, v3
	v_cndmask_b32_e32 v2, 0x7fc0, v3, vcc_lo
	v_mov_b32_dpp v3, v2 quad_perm:[2,3,0,1] row_mask:0xf bank_mask:0xf
	v_lshlrev_b32_e32 v2, 16, v2
	v_lshlrev_b32_e32 v3, 16, v3
	v_add_f32_e32 v2, v3, v2
	v_bfe_u32 v3, v2, 16, 1
	v_cmp_o_f32_e32 vcc_lo, v2, v2
	v_add3_u32 v3, v2, v3, 0x7fff
	v_lshrrev_b32_e32 v3, 16, v3
	v_cndmask_b32_e32 v2, 0x7fc0, v3, vcc_lo
	v_mov_b32_dpp v3, v2 row_ror:4 row_mask:0xf bank_mask:0xf
	v_lshlrev_b32_e32 v2, 16, v2
	v_lshlrev_b32_e32 v3, 16, v3
	v_add_f32_e32 v2, v3, v2
	v_bfe_u32 v3, v2, 16, 1
	v_cmp_o_f32_e32 vcc_lo, v2, v2
	v_add3_u32 v3, v2, v3, 0x7fff
	v_lshrrev_b32_e32 v3, 16, v3
	v_cndmask_b32_e32 v2, 0x7fc0, v3, vcc_lo
	v_mov_b32_dpp v3, v2 row_ror:8 row_mask:0xf bank_mask:0xf
	v_lshlrev_b32_e32 v2, 16, v2
	v_lshlrev_b32_e32 v3, 16, v3
	v_add_f32_e32 v2, v3, v2
	v_bfe_u32 v3, v2, 16, 1
	v_cmp_o_f32_e32 vcc_lo, v2, v2
	v_add3_u32 v2, v2, v3, 0x7fff
	v_cndmask_b32_sdwa v2, v4, v2, vcc_lo dst_sel:DWORD dst_unused:UNUSED_PAD src0_sel:DWORD src1_sel:WORD_1
	ds_swizzle_b32 v3, v2 offset:swizzle(BROADCAST,32,15)
	v_lshlrev_b32_e32 v2, 16, v2
	s_waitcnt lgkmcnt(0)
	v_lshlrev_b32_e32 v3, 16, v3
	v_add_f32_e32 v2, v3, v2
	v_bfe_u32 v3, v2, 16, 1
	v_cmp_o_f32_e32 vcc_lo, v2, v2
	v_add3_u32 v2, v2, v3, 0x7fff
	v_mov_b32_e32 v3, 0
	v_cndmask_b32_sdwa v2, v4, v2, vcc_lo dst_sel:DWORD dst_unused:UNUSED_PAD src0_sel:DWORD src1_sel:WORD_1
	ds_bpermute_b32 v4, v3, v2 offset:124
	v_cmpx_eq_u32_e32 0, v1
	s_cbranch_execz .LBB126_77
; %bb.76:
	v_lshrrev_b32_e32 v2, 4, v0
	v_and_b32_e32 v2, 14, v2
	s_waitcnt lgkmcnt(0)
	ds_write_b16 v2, v4
.LBB126_77:
	s_or_b32 exec_lo, exec_lo, s0
	s_mov_b32 s0, exec_lo
	s_waitcnt lgkmcnt(0)
	s_barrier
	buffer_gl0_inv
	v_cmpx_gt_u32_e32 32, v0
	s_cbranch_execz .LBB126_79
; %bb.78:
	v_and_b32_e32 v2, 7, v1
	v_lshlrev_b32_e32 v3, 1, v2
	v_cmp_ne_u32_e32 vcc_lo, 7, v2
	ds_read_u16 v3, v3
	v_add_co_ci_u32_e64 v4, null, 0, v1, vcc_lo
	v_cmp_gt_u32_e32 vcc_lo, 6, v2
	v_lshlrev_b32_e32 v4, 2, v4
	v_cndmask_b32_e64 v2, 0, 2, vcc_lo
	v_add_lshl_u32 v2, v2, v1, 2
	v_lshlrev_b32_e32 v1, 2, v1
	v_or_b32_e32 v1, 16, v1
	s_waitcnt lgkmcnt(0)
	ds_bpermute_b32 v4, v4, v3
	v_lshlrev_b32_e32 v3, 16, v3
	s_waitcnt lgkmcnt(0)
	v_lshlrev_b32_e32 v4, 16, v4
	v_add_f32_e32 v3, v3, v4
	v_bfe_u32 v4, v3, 16, 1
	v_cmp_o_f32_e32 vcc_lo, v3, v3
	v_add3_u32 v4, v3, v4, 0x7fff
	v_lshrrev_b32_e32 v4, 16, v4
	v_cndmask_b32_e32 v3, 0x7fc0, v4, vcc_lo
	ds_bpermute_b32 v2, v2, v3
	v_lshlrev_b32_e32 v3, 16, v3
	s_waitcnt lgkmcnt(0)
	v_lshlrev_b32_e32 v2, 16, v2
	v_add_f32_e32 v2, v2, v3
	v_bfe_u32 v3, v2, 16, 1
	v_cmp_o_f32_e32 vcc_lo, v2, v2
	v_add3_u32 v2, v2, v3, 0x7fff
	v_mov_b32_e32 v3, 0x7fc0
	v_cndmask_b32_sdwa v2, v3, v2, vcc_lo dst_sel:DWORD dst_unused:UNUSED_PAD src0_sel:DWORD src1_sel:WORD_1
	ds_bpermute_b32 v1, v1, v2
	v_lshlrev_b32_e32 v2, 16, v2
	s_waitcnt lgkmcnt(0)
	v_lshlrev_b32_e32 v1, 16, v1
	v_add_f32_e32 v1, v1, v2
	v_bfe_u32 v2, v1, 16, 1
	v_cmp_o_f32_e32 vcc_lo, v1, v1
	v_add3_u32 v1, v1, v2, 0x7fff
	v_cndmask_b32_sdwa v4, v3, v1, vcc_lo dst_sel:DWORD dst_unused:UNUSED_PAD src0_sel:DWORD src1_sel:WORD_1
.LBB126_79:
	s_or_b32 exec_lo, exec_lo, s0
.LBB126_80:
	s_mov_b32 s0, exec_lo
                                        ; implicit-def: $vgpr1
	v_cmpx_eq_u32_e32 0, v0
	s_cbranch_execz .LBB126_82
; %bb.81:
	v_lshlrev_b32_e32 v0, 16, v4
	s_lshl_b32 s1, s20, 16
	s_or_b32 s9, s9, exec_lo
	v_add_f32_e32 v0, s1, v0
	v_bfe_u32 v1, v0, 16, 1
	v_cmp_o_f32_e32 vcc_lo, v0, v0
	v_add3_u32 v0, v0, v1, 0x7fff
	v_mov_b32_e32 v1, 0x7fc0
	v_cndmask_b32_sdwa v1, v1, v0, vcc_lo dst_sel:DWORD dst_unused:UNUSED_PAD src0_sel:DWORD src1_sel:WORD_1
.LBB126_82:
	s_or_b32 exec_lo, exec_lo, s0
	s_and_saveexec_b32 s0, s9
	s_cbranch_execz .LBB126_84
.LBB126_83:
	s_lshl_b64 s[0:1], s[16:17], 1
	v_mov_b32_e32 v0, 0
	s_add_u32 s2, s14, s0
	s_addc_u32 s3, s15, s1
	s_lshl_b64 s[0:1], s[6:7], 1
	s_add_u32 s0, s2, s0
	s_addc_u32 s1, s3, s1
	global_store_short v0, v1, s[0:1]
.LBB126_84:
	s_endpgm
	.section	.rodata,"a",@progbits
	.p2align	6, 0x0
	.amdhsa_kernel _ZN7rocprim17ROCPRIM_400000_NS6detail17trampoline_kernelINS0_14default_configENS1_32segmented_reduce_config_selectorIN3c108BFloat16EEEZNS1_21segmented_reduce_implIS3_PKS6_PS6_PKiS6_N6hipcub16HIPCUB_304000_NS6detail27convert_result_type_wrapperISA_SB_N2at6native12_GLOBAL__N_19CustomSumEEEEE10hipError_tPvRmT0_T1_jT2_SS_T4_T3_P12ihipStream_tbEUlT_E_NS1_11comp_targetILNS1_3genE8ELNS1_11target_archE1030ELNS1_3gpuE2ELNS1_3repE0EEENS1_30default_config_static_selectorELNS0_4arch9wavefront6targetE0EEEvSR_
		.amdhsa_group_segment_fixed_size 16
		.amdhsa_private_segment_fixed_size 0
		.amdhsa_kernarg_size 48
		.amdhsa_user_sgpr_count 6
		.amdhsa_user_sgpr_private_segment_buffer 1
		.amdhsa_user_sgpr_dispatch_ptr 0
		.amdhsa_user_sgpr_queue_ptr 0
		.amdhsa_user_sgpr_kernarg_segment_ptr 1
		.amdhsa_user_sgpr_dispatch_id 0
		.amdhsa_user_sgpr_flat_scratch_init 0
		.amdhsa_user_sgpr_private_segment_size 0
		.amdhsa_wavefront_size32 1
		.amdhsa_uses_dynamic_stack 0
		.amdhsa_system_sgpr_private_segment_wavefront_offset 0
		.amdhsa_system_sgpr_workgroup_id_x 1
		.amdhsa_system_sgpr_workgroup_id_y 0
		.amdhsa_system_sgpr_workgroup_id_z 0
		.amdhsa_system_sgpr_workgroup_info 0
		.amdhsa_system_vgpr_workitem_id 0
		.amdhsa_next_free_vgpr 16
		.amdhsa_next_free_sgpr 22
		.amdhsa_reserve_vcc 1
		.amdhsa_reserve_flat_scratch 0
		.amdhsa_float_round_mode_32 0
		.amdhsa_float_round_mode_16_64 0
		.amdhsa_float_denorm_mode_32 3
		.amdhsa_float_denorm_mode_16_64 3
		.amdhsa_dx10_clamp 1
		.amdhsa_ieee_mode 1
		.amdhsa_fp16_overflow 0
		.amdhsa_workgroup_processor_mode 1
		.amdhsa_memory_ordered 1
		.amdhsa_forward_progress 1
		.amdhsa_shared_vgpr_count 0
		.amdhsa_exception_fp_ieee_invalid_op 0
		.amdhsa_exception_fp_denorm_src 0
		.amdhsa_exception_fp_ieee_div_zero 0
		.amdhsa_exception_fp_ieee_overflow 0
		.amdhsa_exception_fp_ieee_underflow 0
		.amdhsa_exception_fp_ieee_inexact 0
		.amdhsa_exception_int_div_zero 0
	.end_amdhsa_kernel
	.section	.text._ZN7rocprim17ROCPRIM_400000_NS6detail17trampoline_kernelINS0_14default_configENS1_32segmented_reduce_config_selectorIN3c108BFloat16EEEZNS1_21segmented_reduce_implIS3_PKS6_PS6_PKiS6_N6hipcub16HIPCUB_304000_NS6detail27convert_result_type_wrapperISA_SB_N2at6native12_GLOBAL__N_19CustomSumEEEEE10hipError_tPvRmT0_T1_jT2_SS_T4_T3_P12ihipStream_tbEUlT_E_NS1_11comp_targetILNS1_3genE8ELNS1_11target_archE1030ELNS1_3gpuE2ELNS1_3repE0EEENS1_30default_config_static_selectorELNS0_4arch9wavefront6targetE0EEEvSR_,"axG",@progbits,_ZN7rocprim17ROCPRIM_400000_NS6detail17trampoline_kernelINS0_14default_configENS1_32segmented_reduce_config_selectorIN3c108BFloat16EEEZNS1_21segmented_reduce_implIS3_PKS6_PS6_PKiS6_N6hipcub16HIPCUB_304000_NS6detail27convert_result_type_wrapperISA_SB_N2at6native12_GLOBAL__N_19CustomSumEEEEE10hipError_tPvRmT0_T1_jT2_SS_T4_T3_P12ihipStream_tbEUlT_E_NS1_11comp_targetILNS1_3genE8ELNS1_11target_archE1030ELNS1_3gpuE2ELNS1_3repE0EEENS1_30default_config_static_selectorELNS0_4arch9wavefront6targetE0EEEvSR_,comdat
.Lfunc_end126:
	.size	_ZN7rocprim17ROCPRIM_400000_NS6detail17trampoline_kernelINS0_14default_configENS1_32segmented_reduce_config_selectorIN3c108BFloat16EEEZNS1_21segmented_reduce_implIS3_PKS6_PS6_PKiS6_N6hipcub16HIPCUB_304000_NS6detail27convert_result_type_wrapperISA_SB_N2at6native12_GLOBAL__N_19CustomSumEEEEE10hipError_tPvRmT0_T1_jT2_SS_T4_T3_P12ihipStream_tbEUlT_E_NS1_11comp_targetILNS1_3genE8ELNS1_11target_archE1030ELNS1_3gpuE2ELNS1_3repE0EEENS1_30default_config_static_selectorELNS0_4arch9wavefront6targetE0EEEvSR_, .Lfunc_end126-_ZN7rocprim17ROCPRIM_400000_NS6detail17trampoline_kernelINS0_14default_configENS1_32segmented_reduce_config_selectorIN3c108BFloat16EEEZNS1_21segmented_reduce_implIS3_PKS6_PS6_PKiS6_N6hipcub16HIPCUB_304000_NS6detail27convert_result_type_wrapperISA_SB_N2at6native12_GLOBAL__N_19CustomSumEEEEE10hipError_tPvRmT0_T1_jT2_SS_T4_T3_P12ihipStream_tbEUlT_E_NS1_11comp_targetILNS1_3genE8ELNS1_11target_archE1030ELNS1_3gpuE2ELNS1_3repE0EEENS1_30default_config_static_selectorELNS0_4arch9wavefront6targetE0EEEvSR_
                                        ; -- End function
	.set _ZN7rocprim17ROCPRIM_400000_NS6detail17trampoline_kernelINS0_14default_configENS1_32segmented_reduce_config_selectorIN3c108BFloat16EEEZNS1_21segmented_reduce_implIS3_PKS6_PS6_PKiS6_N6hipcub16HIPCUB_304000_NS6detail27convert_result_type_wrapperISA_SB_N2at6native12_GLOBAL__N_19CustomSumEEEEE10hipError_tPvRmT0_T1_jT2_SS_T4_T3_P12ihipStream_tbEUlT_E_NS1_11comp_targetILNS1_3genE8ELNS1_11target_archE1030ELNS1_3gpuE2ELNS1_3repE0EEENS1_30default_config_static_selectorELNS0_4arch9wavefront6targetE0EEEvSR_.num_vgpr, 16
	.set _ZN7rocprim17ROCPRIM_400000_NS6detail17trampoline_kernelINS0_14default_configENS1_32segmented_reduce_config_selectorIN3c108BFloat16EEEZNS1_21segmented_reduce_implIS3_PKS6_PS6_PKiS6_N6hipcub16HIPCUB_304000_NS6detail27convert_result_type_wrapperISA_SB_N2at6native12_GLOBAL__N_19CustomSumEEEEE10hipError_tPvRmT0_T1_jT2_SS_T4_T3_P12ihipStream_tbEUlT_E_NS1_11comp_targetILNS1_3genE8ELNS1_11target_archE1030ELNS1_3gpuE2ELNS1_3repE0EEENS1_30default_config_static_selectorELNS0_4arch9wavefront6targetE0EEEvSR_.num_agpr, 0
	.set _ZN7rocprim17ROCPRIM_400000_NS6detail17trampoline_kernelINS0_14default_configENS1_32segmented_reduce_config_selectorIN3c108BFloat16EEEZNS1_21segmented_reduce_implIS3_PKS6_PS6_PKiS6_N6hipcub16HIPCUB_304000_NS6detail27convert_result_type_wrapperISA_SB_N2at6native12_GLOBAL__N_19CustomSumEEEEE10hipError_tPvRmT0_T1_jT2_SS_T4_T3_P12ihipStream_tbEUlT_E_NS1_11comp_targetILNS1_3genE8ELNS1_11target_archE1030ELNS1_3gpuE2ELNS1_3repE0EEENS1_30default_config_static_selectorELNS0_4arch9wavefront6targetE0EEEvSR_.numbered_sgpr, 22
	.set _ZN7rocprim17ROCPRIM_400000_NS6detail17trampoline_kernelINS0_14default_configENS1_32segmented_reduce_config_selectorIN3c108BFloat16EEEZNS1_21segmented_reduce_implIS3_PKS6_PS6_PKiS6_N6hipcub16HIPCUB_304000_NS6detail27convert_result_type_wrapperISA_SB_N2at6native12_GLOBAL__N_19CustomSumEEEEE10hipError_tPvRmT0_T1_jT2_SS_T4_T3_P12ihipStream_tbEUlT_E_NS1_11comp_targetILNS1_3genE8ELNS1_11target_archE1030ELNS1_3gpuE2ELNS1_3repE0EEENS1_30default_config_static_selectorELNS0_4arch9wavefront6targetE0EEEvSR_.num_named_barrier, 0
	.set _ZN7rocprim17ROCPRIM_400000_NS6detail17trampoline_kernelINS0_14default_configENS1_32segmented_reduce_config_selectorIN3c108BFloat16EEEZNS1_21segmented_reduce_implIS3_PKS6_PS6_PKiS6_N6hipcub16HIPCUB_304000_NS6detail27convert_result_type_wrapperISA_SB_N2at6native12_GLOBAL__N_19CustomSumEEEEE10hipError_tPvRmT0_T1_jT2_SS_T4_T3_P12ihipStream_tbEUlT_E_NS1_11comp_targetILNS1_3genE8ELNS1_11target_archE1030ELNS1_3gpuE2ELNS1_3repE0EEENS1_30default_config_static_selectorELNS0_4arch9wavefront6targetE0EEEvSR_.private_seg_size, 0
	.set _ZN7rocprim17ROCPRIM_400000_NS6detail17trampoline_kernelINS0_14default_configENS1_32segmented_reduce_config_selectorIN3c108BFloat16EEEZNS1_21segmented_reduce_implIS3_PKS6_PS6_PKiS6_N6hipcub16HIPCUB_304000_NS6detail27convert_result_type_wrapperISA_SB_N2at6native12_GLOBAL__N_19CustomSumEEEEE10hipError_tPvRmT0_T1_jT2_SS_T4_T3_P12ihipStream_tbEUlT_E_NS1_11comp_targetILNS1_3genE8ELNS1_11target_archE1030ELNS1_3gpuE2ELNS1_3repE0EEENS1_30default_config_static_selectorELNS0_4arch9wavefront6targetE0EEEvSR_.uses_vcc, 1
	.set _ZN7rocprim17ROCPRIM_400000_NS6detail17trampoline_kernelINS0_14default_configENS1_32segmented_reduce_config_selectorIN3c108BFloat16EEEZNS1_21segmented_reduce_implIS3_PKS6_PS6_PKiS6_N6hipcub16HIPCUB_304000_NS6detail27convert_result_type_wrapperISA_SB_N2at6native12_GLOBAL__N_19CustomSumEEEEE10hipError_tPvRmT0_T1_jT2_SS_T4_T3_P12ihipStream_tbEUlT_E_NS1_11comp_targetILNS1_3genE8ELNS1_11target_archE1030ELNS1_3gpuE2ELNS1_3repE0EEENS1_30default_config_static_selectorELNS0_4arch9wavefront6targetE0EEEvSR_.uses_flat_scratch, 0
	.set _ZN7rocprim17ROCPRIM_400000_NS6detail17trampoline_kernelINS0_14default_configENS1_32segmented_reduce_config_selectorIN3c108BFloat16EEEZNS1_21segmented_reduce_implIS3_PKS6_PS6_PKiS6_N6hipcub16HIPCUB_304000_NS6detail27convert_result_type_wrapperISA_SB_N2at6native12_GLOBAL__N_19CustomSumEEEEE10hipError_tPvRmT0_T1_jT2_SS_T4_T3_P12ihipStream_tbEUlT_E_NS1_11comp_targetILNS1_3genE8ELNS1_11target_archE1030ELNS1_3gpuE2ELNS1_3repE0EEENS1_30default_config_static_selectorELNS0_4arch9wavefront6targetE0EEEvSR_.has_dyn_sized_stack, 0
	.set _ZN7rocprim17ROCPRIM_400000_NS6detail17trampoline_kernelINS0_14default_configENS1_32segmented_reduce_config_selectorIN3c108BFloat16EEEZNS1_21segmented_reduce_implIS3_PKS6_PS6_PKiS6_N6hipcub16HIPCUB_304000_NS6detail27convert_result_type_wrapperISA_SB_N2at6native12_GLOBAL__N_19CustomSumEEEEE10hipError_tPvRmT0_T1_jT2_SS_T4_T3_P12ihipStream_tbEUlT_E_NS1_11comp_targetILNS1_3genE8ELNS1_11target_archE1030ELNS1_3gpuE2ELNS1_3repE0EEENS1_30default_config_static_selectorELNS0_4arch9wavefront6targetE0EEEvSR_.has_recursion, 0
	.set _ZN7rocprim17ROCPRIM_400000_NS6detail17trampoline_kernelINS0_14default_configENS1_32segmented_reduce_config_selectorIN3c108BFloat16EEEZNS1_21segmented_reduce_implIS3_PKS6_PS6_PKiS6_N6hipcub16HIPCUB_304000_NS6detail27convert_result_type_wrapperISA_SB_N2at6native12_GLOBAL__N_19CustomSumEEEEE10hipError_tPvRmT0_T1_jT2_SS_T4_T3_P12ihipStream_tbEUlT_E_NS1_11comp_targetILNS1_3genE8ELNS1_11target_archE1030ELNS1_3gpuE2ELNS1_3repE0EEENS1_30default_config_static_selectorELNS0_4arch9wavefront6targetE0EEEvSR_.has_indirect_call, 0
	.section	.AMDGPU.csdata,"",@progbits
; Kernel info:
; codeLenInByte = 4900
; TotalNumSgprs: 24
; NumVgprs: 16
; ScratchSize: 0
; MemoryBound: 0
; FloatMode: 240
; IeeeMode: 1
; LDSByteSize: 16 bytes/workgroup (compile time only)
; SGPRBlocks: 0
; VGPRBlocks: 1
; NumSGPRsForWavesPerEU: 24
; NumVGPRsForWavesPerEU: 16
; Occupancy: 16
; WaveLimiterHint : 1
; COMPUTE_PGM_RSRC2:SCRATCH_EN: 0
; COMPUTE_PGM_RSRC2:USER_SGPR: 6
; COMPUTE_PGM_RSRC2:TRAP_HANDLER: 0
; COMPUTE_PGM_RSRC2:TGID_X_EN: 1
; COMPUTE_PGM_RSRC2:TGID_Y_EN: 0
; COMPUTE_PGM_RSRC2:TGID_Z_EN: 0
; COMPUTE_PGM_RSRC2:TIDIG_COMP_CNT: 0
	.section	.text._ZN2at6native12_GLOBAL__N_119post_sum_div_kernelIN3c108BFloat16EiEEvPT_PKT0_lbS5_,"axG",@progbits,_ZN2at6native12_GLOBAL__N_119post_sum_div_kernelIN3c108BFloat16EiEEvPT_PKT0_lbS5_,comdat
	.globl	_ZN2at6native12_GLOBAL__N_119post_sum_div_kernelIN3c108BFloat16EiEEvPT_PKT0_lbS5_ ; -- Begin function _ZN2at6native12_GLOBAL__N_119post_sum_div_kernelIN3c108BFloat16EiEEvPT_PKT0_lbS5_
	.p2align	8
	.type	_ZN2at6native12_GLOBAL__N_119post_sum_div_kernelIN3c108BFloat16EiEEvPT_PKT0_lbS5_,@function
_ZN2at6native12_GLOBAL__N_119post_sum_div_kernelIN3c108BFloat16EiEEvPT_PKT0_lbS5_: ; @_ZN2at6native12_GLOBAL__N_119post_sum_div_kernelIN3c108BFloat16EiEEvPT_PKT0_lbS5_
; %bb.0:
	s_clause 0x1
	s_load_dword s7, s[4:5], 0x2c
	s_load_dwordx2 s[2:3], s[4:5], 0x10
	v_mov_b32_e32 v1, 0
	s_add_u32 s0, s4, 32
	s_addc_u32 s1, s5, 0
	s_waitcnt lgkmcnt(0)
	s_and_b32 s8, s7, 0xffff
	v_mad_u64_u32 v[2:3], null, s8, s6, v[0:1]
	s_mov_b32 s6, exec_lo
	v_cmpx_gt_i64_e64 s[2:3], v[2:3]
	s_cbranch_execz .LBB127_12
; %bb.1:
	s_load_dword s9, s[4:5], 0x18
	s_load_dword s0, s[0:1], 0x0
	s_load_dwordx4 s[4:7], s[4:5], 0x0
	v_mov_b32_e32 v0, v1
	v_mov_b32_e32 v1, v2
	v_mov_b32_e32 v6, 0x7fc0
	s_mov_b32 s1, 0
                                        ; implicit-def: $sgpr13
                                        ; implicit-def: $sgpr12
	s_waitcnt lgkmcnt(0)
	s_and_b32 s10, 1, s9
	s_lshr_b32 s9, s9, 16
	s_cmp_eq_u32 s10, 1
	s_mul_i32 s8, s0, s8
	s_cselect_b32 s9, s9, 0x7fc0
	s_mov_b32 s11, s8
                                        ; implicit-def: $sgpr10
.LBB127_2:                              ; =>This Inner Loop Header: Depth=1
	v_ashrrev_i64 v[4:5], 30, v[0:1]
	s_or_b32 s12, s12, exec_lo
	s_or_b32 s13, s13, exec_lo
	s_mov_b32 s14, exec_lo
	v_add_co_u32 v4, vcc_lo, s6, v4
	v_add_co_ci_u32_e64 v5, null, s7, v5, vcc_lo
	global_load_dword v7, v[4:5], off
	s_waitcnt vmcnt(0)
	v_cmpx_lt_i32_e32 -1, v7
	s_cbranch_execz .LBB127_10
; %bb.3:                                ;   in Loop: Header=BB127_2 Depth=1
	v_ashrrev_i32_e32 v5, 31, v1
	v_mov_b32_e32 v4, v1
	v_mov_b32_e32 v8, s9
	s_mov_b32 s15, -1
	v_lshlrev_b64 v[4:5], 1, v[4:5]
	v_add_co_u32 v4, s0, s4, v4
	v_add_co_ci_u32_e64 v5, null, s5, v5, s0
	s_mov_b32 s0, exec_lo
	v_cmpx_ne_u32_e32 0, v7
	s_cbranch_execz .LBB127_7
; %bb.4:                                ;   in Loop: Header=BB127_2 Depth=1
	global_load_ushort v8, v[4:5], off
	s_mov_b32 s15, 0
	s_mov_b32 s16, exec_lo
	s_waitcnt vmcnt(0)
	v_lshlrev_b32_e32 v9, 16, v8
                                        ; implicit-def: $vgpr8
	v_cmpx_o_f32_e32 v9, v9
	s_cbranch_execz .LBB127_6
; %bb.5:                                ;   in Loop: Header=BB127_2 Depth=1
	v_cvt_f32_u32_e32 v7, v7
	s_mov_b32 s15, exec_lo
	v_bfe_u32 v8, v7, 16, 1
	v_add3_u32 v7, v7, v8, 0x7fff
	v_and_b32_e32 v7, 0xffff0000, v7
	v_div_scale_f32 v8, null, v7, v7, v9
	v_rcp_f32_e32 v10, v8
	v_fma_f32 v11, -v8, v10, 1.0
	v_fmac_f32_e32 v10, v11, v10
	v_div_scale_f32 v11, vcc_lo, v9, v7, v9
	v_mul_f32_e32 v12, v11, v10
	v_fma_f32 v13, -v8, v12, v11
	v_fmac_f32_e32 v12, v13, v10
	v_fma_f32 v8, -v8, v12, v11
	v_div_fmas_f32 v8, v8, v10, v12
	v_div_fixup_f32 v7, v8, v7, v9
	v_bfe_u32 v8, v7, 16, 1
	v_cmp_o_f32_e32 vcc_lo, v7, v7
	v_add3_u32 v7, v7, v8, 0x7fff
	v_cndmask_b32_sdwa v8, v6, v7, vcc_lo dst_sel:DWORD dst_unused:UNUSED_PAD src0_sel:DWORD src1_sel:WORD_1
.LBB127_6:                              ;   in Loop: Header=BB127_2 Depth=1
	s_or_b32 exec_lo, exec_lo, s16
	s_orn2_b32 s15, s15, exec_lo
.LBB127_7:                              ;   in Loop: Header=BB127_2 Depth=1
	s_or_b32 exec_lo, exec_lo, s0
	s_and_saveexec_b32 s0, s15
	s_cbranch_execz .LBB127_9
; %bb.8:                                ;   in Loop: Header=BB127_2 Depth=1
	global_store_short v[4:5], v8, off
.LBB127_9:                              ;   in Loop: Header=BB127_2 Depth=1
	s_or_b32 exec_lo, exec_lo, s0
	v_add_co_u32 v2, vcc_lo, v2, s8
	v_add_co_ci_u32_e64 v3, null, 0, v3, vcc_lo
	v_add_co_u32 v0, s0, v0, 0
	v_add_co_ci_u32_e64 v1, null, s11, v1, s0
	v_cmp_le_i64_e32 vcc_lo, s[2:3], v[2:3]
	s_andn2_b32 s0, s13, exec_lo
	s_andn2_b32 s12, s12, exec_lo
	s_and_b32 s13, vcc_lo, exec_lo
	s_or_b32 s13, s0, s13
.LBB127_10:                             ;   in Loop: Header=BB127_2 Depth=1
	s_or_b32 exec_lo, exec_lo, s14
	s_and_b32 s0, exec_lo, s13
	s_or_b32 s1, s0, s1
	s_andn2_b32 s0, s10, exec_lo
	s_and_b32 s10, s12, exec_lo
	s_or_b32 s10, s0, s10
	s_andn2_b32 exec_lo, exec_lo, s1
	s_cbranch_execnz .LBB127_2
; %bb.11:
	s_or_b32 exec_lo, exec_lo, s1
	s_and_saveexec_b32 s0, s10
	s_xor_b32 s0, exec_lo, s0
	s_cbranch_execnz .LBB127_13
.LBB127_12:
	s_endpgm
.LBB127_13:
	s_trap 2
	; divergent unreachable
	s_endpgm
	.section	.rodata,"a",@progbits
	.p2align	6, 0x0
	.amdhsa_kernel _ZN2at6native12_GLOBAL__N_119post_sum_div_kernelIN3c108BFloat16EiEEvPT_PKT0_lbS5_
		.amdhsa_group_segment_fixed_size 0
		.amdhsa_private_segment_fixed_size 0
		.amdhsa_kernarg_size 288
		.amdhsa_user_sgpr_count 6
		.amdhsa_user_sgpr_private_segment_buffer 1
		.amdhsa_user_sgpr_dispatch_ptr 0
		.amdhsa_user_sgpr_queue_ptr 0
		.amdhsa_user_sgpr_kernarg_segment_ptr 1
		.amdhsa_user_sgpr_dispatch_id 0
		.amdhsa_user_sgpr_flat_scratch_init 0
		.amdhsa_user_sgpr_private_segment_size 0
		.amdhsa_wavefront_size32 1
		.amdhsa_uses_dynamic_stack 0
		.amdhsa_system_sgpr_private_segment_wavefront_offset 0
		.amdhsa_system_sgpr_workgroup_id_x 1
		.amdhsa_system_sgpr_workgroup_id_y 0
		.amdhsa_system_sgpr_workgroup_id_z 0
		.amdhsa_system_sgpr_workgroup_info 0
		.amdhsa_system_vgpr_workitem_id 0
		.amdhsa_next_free_vgpr 14
		.amdhsa_next_free_sgpr 17
		.amdhsa_reserve_vcc 1
		.amdhsa_reserve_flat_scratch 0
		.amdhsa_float_round_mode_32 0
		.amdhsa_float_round_mode_16_64 0
		.amdhsa_float_denorm_mode_32 3
		.amdhsa_float_denorm_mode_16_64 3
		.amdhsa_dx10_clamp 1
		.amdhsa_ieee_mode 1
		.amdhsa_fp16_overflow 0
		.amdhsa_workgroup_processor_mode 1
		.amdhsa_memory_ordered 1
		.amdhsa_forward_progress 1
		.amdhsa_shared_vgpr_count 0
		.amdhsa_exception_fp_ieee_invalid_op 0
		.amdhsa_exception_fp_denorm_src 0
		.amdhsa_exception_fp_ieee_div_zero 0
		.amdhsa_exception_fp_ieee_overflow 0
		.amdhsa_exception_fp_ieee_underflow 0
		.amdhsa_exception_fp_ieee_inexact 0
		.amdhsa_exception_int_div_zero 0
	.end_amdhsa_kernel
	.section	.text._ZN2at6native12_GLOBAL__N_119post_sum_div_kernelIN3c108BFloat16EiEEvPT_PKT0_lbS5_,"axG",@progbits,_ZN2at6native12_GLOBAL__N_119post_sum_div_kernelIN3c108BFloat16EiEEvPT_PKT0_lbS5_,comdat
.Lfunc_end127:
	.size	_ZN2at6native12_GLOBAL__N_119post_sum_div_kernelIN3c108BFloat16EiEEvPT_PKT0_lbS5_, .Lfunc_end127-_ZN2at6native12_GLOBAL__N_119post_sum_div_kernelIN3c108BFloat16EiEEvPT_PKT0_lbS5_
                                        ; -- End function
	.set _ZN2at6native12_GLOBAL__N_119post_sum_div_kernelIN3c108BFloat16EiEEvPT_PKT0_lbS5_.num_vgpr, 14
	.set _ZN2at6native12_GLOBAL__N_119post_sum_div_kernelIN3c108BFloat16EiEEvPT_PKT0_lbS5_.num_agpr, 0
	.set _ZN2at6native12_GLOBAL__N_119post_sum_div_kernelIN3c108BFloat16EiEEvPT_PKT0_lbS5_.numbered_sgpr, 17
	.set _ZN2at6native12_GLOBAL__N_119post_sum_div_kernelIN3c108BFloat16EiEEvPT_PKT0_lbS5_.num_named_barrier, 0
	.set _ZN2at6native12_GLOBAL__N_119post_sum_div_kernelIN3c108BFloat16EiEEvPT_PKT0_lbS5_.private_seg_size, 0
	.set _ZN2at6native12_GLOBAL__N_119post_sum_div_kernelIN3c108BFloat16EiEEvPT_PKT0_lbS5_.uses_vcc, 1
	.set _ZN2at6native12_GLOBAL__N_119post_sum_div_kernelIN3c108BFloat16EiEEvPT_PKT0_lbS5_.uses_flat_scratch, 0
	.set _ZN2at6native12_GLOBAL__N_119post_sum_div_kernelIN3c108BFloat16EiEEvPT_PKT0_lbS5_.has_dyn_sized_stack, 0
	.set _ZN2at6native12_GLOBAL__N_119post_sum_div_kernelIN3c108BFloat16EiEEvPT_PKT0_lbS5_.has_recursion, 0
	.set _ZN2at6native12_GLOBAL__N_119post_sum_div_kernelIN3c108BFloat16EiEEvPT_PKT0_lbS5_.has_indirect_call, 0
	.section	.AMDGPU.csdata,"",@progbits
; Kernel info:
; codeLenInByte = 568
; TotalNumSgprs: 19
; NumVgprs: 14
; ScratchSize: 0
; MemoryBound: 0
; FloatMode: 240
; IeeeMode: 1
; LDSByteSize: 0 bytes/workgroup (compile time only)
; SGPRBlocks: 0
; VGPRBlocks: 1
; NumSGPRsForWavesPerEU: 19
; NumVGPRsForWavesPerEU: 14
; Occupancy: 16
; WaveLimiterHint : 0
; COMPUTE_PGM_RSRC2:SCRATCH_EN: 0
; COMPUTE_PGM_RSRC2:USER_SGPR: 6
; COMPUTE_PGM_RSRC2:TRAP_HANDLER: 0
; COMPUTE_PGM_RSRC2:TGID_X_EN: 1
; COMPUTE_PGM_RSRC2:TGID_Y_EN: 0
; COMPUTE_PGM_RSRC2:TGID_Z_EN: 0
; COMPUTE_PGM_RSRC2:TIDIG_COMP_CNT: 0
	.section	.text._ZN7rocprim17ROCPRIM_400000_NS6detail17trampoline_kernelINS0_14default_configENS1_32segmented_reduce_config_selectorIN3c108BFloat16EEEZNS1_21segmented_reduce_implIS3_PKS6_PS6_PKiS6_N6hipcub16HIPCUB_304000_NS6detail27convert_result_type_wrapperISA_SB_N2at6native12_GLOBAL__N_19CustomMinEEEEE10hipError_tPvRmT0_T1_jT2_SS_T4_T3_P12ihipStream_tbEUlT_E_NS1_11comp_targetILNS1_3genE0ELNS1_11target_archE4294967295ELNS1_3gpuE0ELNS1_3repE0EEENS1_30default_config_static_selectorELNS0_4arch9wavefront6targetE0EEEvSR_,"axG",@progbits,_ZN7rocprim17ROCPRIM_400000_NS6detail17trampoline_kernelINS0_14default_configENS1_32segmented_reduce_config_selectorIN3c108BFloat16EEEZNS1_21segmented_reduce_implIS3_PKS6_PS6_PKiS6_N6hipcub16HIPCUB_304000_NS6detail27convert_result_type_wrapperISA_SB_N2at6native12_GLOBAL__N_19CustomMinEEEEE10hipError_tPvRmT0_T1_jT2_SS_T4_T3_P12ihipStream_tbEUlT_E_NS1_11comp_targetILNS1_3genE0ELNS1_11target_archE4294967295ELNS1_3gpuE0ELNS1_3repE0EEENS1_30default_config_static_selectorELNS0_4arch9wavefront6targetE0EEEvSR_,comdat
	.globl	_ZN7rocprim17ROCPRIM_400000_NS6detail17trampoline_kernelINS0_14default_configENS1_32segmented_reduce_config_selectorIN3c108BFloat16EEEZNS1_21segmented_reduce_implIS3_PKS6_PS6_PKiS6_N6hipcub16HIPCUB_304000_NS6detail27convert_result_type_wrapperISA_SB_N2at6native12_GLOBAL__N_19CustomMinEEEEE10hipError_tPvRmT0_T1_jT2_SS_T4_T3_P12ihipStream_tbEUlT_E_NS1_11comp_targetILNS1_3genE0ELNS1_11target_archE4294967295ELNS1_3gpuE0ELNS1_3repE0EEENS1_30default_config_static_selectorELNS0_4arch9wavefront6targetE0EEEvSR_ ; -- Begin function _ZN7rocprim17ROCPRIM_400000_NS6detail17trampoline_kernelINS0_14default_configENS1_32segmented_reduce_config_selectorIN3c108BFloat16EEEZNS1_21segmented_reduce_implIS3_PKS6_PS6_PKiS6_N6hipcub16HIPCUB_304000_NS6detail27convert_result_type_wrapperISA_SB_N2at6native12_GLOBAL__N_19CustomMinEEEEE10hipError_tPvRmT0_T1_jT2_SS_T4_T3_P12ihipStream_tbEUlT_E_NS1_11comp_targetILNS1_3genE0ELNS1_11target_archE4294967295ELNS1_3gpuE0ELNS1_3repE0EEENS1_30default_config_static_selectorELNS0_4arch9wavefront6targetE0EEEvSR_
	.p2align	8
	.type	_ZN7rocprim17ROCPRIM_400000_NS6detail17trampoline_kernelINS0_14default_configENS1_32segmented_reduce_config_selectorIN3c108BFloat16EEEZNS1_21segmented_reduce_implIS3_PKS6_PS6_PKiS6_N6hipcub16HIPCUB_304000_NS6detail27convert_result_type_wrapperISA_SB_N2at6native12_GLOBAL__N_19CustomMinEEEEE10hipError_tPvRmT0_T1_jT2_SS_T4_T3_P12ihipStream_tbEUlT_E_NS1_11comp_targetILNS1_3genE0ELNS1_11target_archE4294967295ELNS1_3gpuE0ELNS1_3repE0EEENS1_30default_config_static_selectorELNS0_4arch9wavefront6targetE0EEEvSR_,@function
_ZN7rocprim17ROCPRIM_400000_NS6detail17trampoline_kernelINS0_14default_configENS1_32segmented_reduce_config_selectorIN3c108BFloat16EEEZNS1_21segmented_reduce_implIS3_PKS6_PS6_PKiS6_N6hipcub16HIPCUB_304000_NS6detail27convert_result_type_wrapperISA_SB_N2at6native12_GLOBAL__N_19CustomMinEEEEE10hipError_tPvRmT0_T1_jT2_SS_T4_T3_P12ihipStream_tbEUlT_E_NS1_11comp_targetILNS1_3genE0ELNS1_11target_archE4294967295ELNS1_3gpuE0ELNS1_3repE0EEENS1_30default_config_static_selectorELNS0_4arch9wavefront6targetE0EEEvSR_: ; @_ZN7rocprim17ROCPRIM_400000_NS6detail17trampoline_kernelINS0_14default_configENS1_32segmented_reduce_config_selectorIN3c108BFloat16EEEZNS1_21segmented_reduce_implIS3_PKS6_PS6_PKiS6_N6hipcub16HIPCUB_304000_NS6detail27convert_result_type_wrapperISA_SB_N2at6native12_GLOBAL__N_19CustomMinEEEEE10hipError_tPvRmT0_T1_jT2_SS_T4_T3_P12ihipStream_tbEUlT_E_NS1_11comp_targetILNS1_3genE0ELNS1_11target_archE4294967295ELNS1_3gpuE0ELNS1_3repE0EEENS1_30default_config_static_selectorELNS0_4arch9wavefront6targetE0EEEvSR_
; %bb.0:
	.section	.rodata,"a",@progbits
	.p2align	6, 0x0
	.amdhsa_kernel _ZN7rocprim17ROCPRIM_400000_NS6detail17trampoline_kernelINS0_14default_configENS1_32segmented_reduce_config_selectorIN3c108BFloat16EEEZNS1_21segmented_reduce_implIS3_PKS6_PS6_PKiS6_N6hipcub16HIPCUB_304000_NS6detail27convert_result_type_wrapperISA_SB_N2at6native12_GLOBAL__N_19CustomMinEEEEE10hipError_tPvRmT0_T1_jT2_SS_T4_T3_P12ihipStream_tbEUlT_E_NS1_11comp_targetILNS1_3genE0ELNS1_11target_archE4294967295ELNS1_3gpuE0ELNS1_3repE0EEENS1_30default_config_static_selectorELNS0_4arch9wavefront6targetE0EEEvSR_
		.amdhsa_group_segment_fixed_size 0
		.amdhsa_private_segment_fixed_size 0
		.amdhsa_kernarg_size 48
		.amdhsa_user_sgpr_count 6
		.amdhsa_user_sgpr_private_segment_buffer 1
		.amdhsa_user_sgpr_dispatch_ptr 0
		.amdhsa_user_sgpr_queue_ptr 0
		.amdhsa_user_sgpr_kernarg_segment_ptr 1
		.amdhsa_user_sgpr_dispatch_id 0
		.amdhsa_user_sgpr_flat_scratch_init 0
		.amdhsa_user_sgpr_private_segment_size 0
		.amdhsa_wavefront_size32 1
		.amdhsa_uses_dynamic_stack 0
		.amdhsa_system_sgpr_private_segment_wavefront_offset 0
		.amdhsa_system_sgpr_workgroup_id_x 1
		.amdhsa_system_sgpr_workgroup_id_y 0
		.amdhsa_system_sgpr_workgroup_id_z 0
		.amdhsa_system_sgpr_workgroup_info 0
		.amdhsa_system_vgpr_workitem_id 0
		.amdhsa_next_free_vgpr 1
		.amdhsa_next_free_sgpr 1
		.amdhsa_reserve_vcc 0
		.amdhsa_reserve_flat_scratch 0
		.amdhsa_float_round_mode_32 0
		.amdhsa_float_round_mode_16_64 0
		.amdhsa_float_denorm_mode_32 3
		.amdhsa_float_denorm_mode_16_64 3
		.amdhsa_dx10_clamp 1
		.amdhsa_ieee_mode 1
		.amdhsa_fp16_overflow 0
		.amdhsa_workgroup_processor_mode 1
		.amdhsa_memory_ordered 1
		.amdhsa_forward_progress 1
		.amdhsa_shared_vgpr_count 0
		.amdhsa_exception_fp_ieee_invalid_op 0
		.amdhsa_exception_fp_denorm_src 0
		.amdhsa_exception_fp_ieee_div_zero 0
		.amdhsa_exception_fp_ieee_overflow 0
		.amdhsa_exception_fp_ieee_underflow 0
		.amdhsa_exception_fp_ieee_inexact 0
		.amdhsa_exception_int_div_zero 0
	.end_amdhsa_kernel
	.section	.text._ZN7rocprim17ROCPRIM_400000_NS6detail17trampoline_kernelINS0_14default_configENS1_32segmented_reduce_config_selectorIN3c108BFloat16EEEZNS1_21segmented_reduce_implIS3_PKS6_PS6_PKiS6_N6hipcub16HIPCUB_304000_NS6detail27convert_result_type_wrapperISA_SB_N2at6native12_GLOBAL__N_19CustomMinEEEEE10hipError_tPvRmT0_T1_jT2_SS_T4_T3_P12ihipStream_tbEUlT_E_NS1_11comp_targetILNS1_3genE0ELNS1_11target_archE4294967295ELNS1_3gpuE0ELNS1_3repE0EEENS1_30default_config_static_selectorELNS0_4arch9wavefront6targetE0EEEvSR_,"axG",@progbits,_ZN7rocprim17ROCPRIM_400000_NS6detail17trampoline_kernelINS0_14default_configENS1_32segmented_reduce_config_selectorIN3c108BFloat16EEEZNS1_21segmented_reduce_implIS3_PKS6_PS6_PKiS6_N6hipcub16HIPCUB_304000_NS6detail27convert_result_type_wrapperISA_SB_N2at6native12_GLOBAL__N_19CustomMinEEEEE10hipError_tPvRmT0_T1_jT2_SS_T4_T3_P12ihipStream_tbEUlT_E_NS1_11comp_targetILNS1_3genE0ELNS1_11target_archE4294967295ELNS1_3gpuE0ELNS1_3repE0EEENS1_30default_config_static_selectorELNS0_4arch9wavefront6targetE0EEEvSR_,comdat
.Lfunc_end128:
	.size	_ZN7rocprim17ROCPRIM_400000_NS6detail17trampoline_kernelINS0_14default_configENS1_32segmented_reduce_config_selectorIN3c108BFloat16EEEZNS1_21segmented_reduce_implIS3_PKS6_PS6_PKiS6_N6hipcub16HIPCUB_304000_NS6detail27convert_result_type_wrapperISA_SB_N2at6native12_GLOBAL__N_19CustomMinEEEEE10hipError_tPvRmT0_T1_jT2_SS_T4_T3_P12ihipStream_tbEUlT_E_NS1_11comp_targetILNS1_3genE0ELNS1_11target_archE4294967295ELNS1_3gpuE0ELNS1_3repE0EEENS1_30default_config_static_selectorELNS0_4arch9wavefront6targetE0EEEvSR_, .Lfunc_end128-_ZN7rocprim17ROCPRIM_400000_NS6detail17trampoline_kernelINS0_14default_configENS1_32segmented_reduce_config_selectorIN3c108BFloat16EEEZNS1_21segmented_reduce_implIS3_PKS6_PS6_PKiS6_N6hipcub16HIPCUB_304000_NS6detail27convert_result_type_wrapperISA_SB_N2at6native12_GLOBAL__N_19CustomMinEEEEE10hipError_tPvRmT0_T1_jT2_SS_T4_T3_P12ihipStream_tbEUlT_E_NS1_11comp_targetILNS1_3genE0ELNS1_11target_archE4294967295ELNS1_3gpuE0ELNS1_3repE0EEENS1_30default_config_static_selectorELNS0_4arch9wavefront6targetE0EEEvSR_
                                        ; -- End function
	.set _ZN7rocprim17ROCPRIM_400000_NS6detail17trampoline_kernelINS0_14default_configENS1_32segmented_reduce_config_selectorIN3c108BFloat16EEEZNS1_21segmented_reduce_implIS3_PKS6_PS6_PKiS6_N6hipcub16HIPCUB_304000_NS6detail27convert_result_type_wrapperISA_SB_N2at6native12_GLOBAL__N_19CustomMinEEEEE10hipError_tPvRmT0_T1_jT2_SS_T4_T3_P12ihipStream_tbEUlT_E_NS1_11comp_targetILNS1_3genE0ELNS1_11target_archE4294967295ELNS1_3gpuE0ELNS1_3repE0EEENS1_30default_config_static_selectorELNS0_4arch9wavefront6targetE0EEEvSR_.num_vgpr, 0
	.set _ZN7rocprim17ROCPRIM_400000_NS6detail17trampoline_kernelINS0_14default_configENS1_32segmented_reduce_config_selectorIN3c108BFloat16EEEZNS1_21segmented_reduce_implIS3_PKS6_PS6_PKiS6_N6hipcub16HIPCUB_304000_NS6detail27convert_result_type_wrapperISA_SB_N2at6native12_GLOBAL__N_19CustomMinEEEEE10hipError_tPvRmT0_T1_jT2_SS_T4_T3_P12ihipStream_tbEUlT_E_NS1_11comp_targetILNS1_3genE0ELNS1_11target_archE4294967295ELNS1_3gpuE0ELNS1_3repE0EEENS1_30default_config_static_selectorELNS0_4arch9wavefront6targetE0EEEvSR_.num_agpr, 0
	.set _ZN7rocprim17ROCPRIM_400000_NS6detail17trampoline_kernelINS0_14default_configENS1_32segmented_reduce_config_selectorIN3c108BFloat16EEEZNS1_21segmented_reduce_implIS3_PKS6_PS6_PKiS6_N6hipcub16HIPCUB_304000_NS6detail27convert_result_type_wrapperISA_SB_N2at6native12_GLOBAL__N_19CustomMinEEEEE10hipError_tPvRmT0_T1_jT2_SS_T4_T3_P12ihipStream_tbEUlT_E_NS1_11comp_targetILNS1_3genE0ELNS1_11target_archE4294967295ELNS1_3gpuE0ELNS1_3repE0EEENS1_30default_config_static_selectorELNS0_4arch9wavefront6targetE0EEEvSR_.numbered_sgpr, 0
	.set _ZN7rocprim17ROCPRIM_400000_NS6detail17trampoline_kernelINS0_14default_configENS1_32segmented_reduce_config_selectorIN3c108BFloat16EEEZNS1_21segmented_reduce_implIS3_PKS6_PS6_PKiS6_N6hipcub16HIPCUB_304000_NS6detail27convert_result_type_wrapperISA_SB_N2at6native12_GLOBAL__N_19CustomMinEEEEE10hipError_tPvRmT0_T1_jT2_SS_T4_T3_P12ihipStream_tbEUlT_E_NS1_11comp_targetILNS1_3genE0ELNS1_11target_archE4294967295ELNS1_3gpuE0ELNS1_3repE0EEENS1_30default_config_static_selectorELNS0_4arch9wavefront6targetE0EEEvSR_.num_named_barrier, 0
	.set _ZN7rocprim17ROCPRIM_400000_NS6detail17trampoline_kernelINS0_14default_configENS1_32segmented_reduce_config_selectorIN3c108BFloat16EEEZNS1_21segmented_reduce_implIS3_PKS6_PS6_PKiS6_N6hipcub16HIPCUB_304000_NS6detail27convert_result_type_wrapperISA_SB_N2at6native12_GLOBAL__N_19CustomMinEEEEE10hipError_tPvRmT0_T1_jT2_SS_T4_T3_P12ihipStream_tbEUlT_E_NS1_11comp_targetILNS1_3genE0ELNS1_11target_archE4294967295ELNS1_3gpuE0ELNS1_3repE0EEENS1_30default_config_static_selectorELNS0_4arch9wavefront6targetE0EEEvSR_.private_seg_size, 0
	.set _ZN7rocprim17ROCPRIM_400000_NS6detail17trampoline_kernelINS0_14default_configENS1_32segmented_reduce_config_selectorIN3c108BFloat16EEEZNS1_21segmented_reduce_implIS3_PKS6_PS6_PKiS6_N6hipcub16HIPCUB_304000_NS6detail27convert_result_type_wrapperISA_SB_N2at6native12_GLOBAL__N_19CustomMinEEEEE10hipError_tPvRmT0_T1_jT2_SS_T4_T3_P12ihipStream_tbEUlT_E_NS1_11comp_targetILNS1_3genE0ELNS1_11target_archE4294967295ELNS1_3gpuE0ELNS1_3repE0EEENS1_30default_config_static_selectorELNS0_4arch9wavefront6targetE0EEEvSR_.uses_vcc, 0
	.set _ZN7rocprim17ROCPRIM_400000_NS6detail17trampoline_kernelINS0_14default_configENS1_32segmented_reduce_config_selectorIN3c108BFloat16EEEZNS1_21segmented_reduce_implIS3_PKS6_PS6_PKiS6_N6hipcub16HIPCUB_304000_NS6detail27convert_result_type_wrapperISA_SB_N2at6native12_GLOBAL__N_19CustomMinEEEEE10hipError_tPvRmT0_T1_jT2_SS_T4_T3_P12ihipStream_tbEUlT_E_NS1_11comp_targetILNS1_3genE0ELNS1_11target_archE4294967295ELNS1_3gpuE0ELNS1_3repE0EEENS1_30default_config_static_selectorELNS0_4arch9wavefront6targetE0EEEvSR_.uses_flat_scratch, 0
	.set _ZN7rocprim17ROCPRIM_400000_NS6detail17trampoline_kernelINS0_14default_configENS1_32segmented_reduce_config_selectorIN3c108BFloat16EEEZNS1_21segmented_reduce_implIS3_PKS6_PS6_PKiS6_N6hipcub16HIPCUB_304000_NS6detail27convert_result_type_wrapperISA_SB_N2at6native12_GLOBAL__N_19CustomMinEEEEE10hipError_tPvRmT0_T1_jT2_SS_T4_T3_P12ihipStream_tbEUlT_E_NS1_11comp_targetILNS1_3genE0ELNS1_11target_archE4294967295ELNS1_3gpuE0ELNS1_3repE0EEENS1_30default_config_static_selectorELNS0_4arch9wavefront6targetE0EEEvSR_.has_dyn_sized_stack, 0
	.set _ZN7rocprim17ROCPRIM_400000_NS6detail17trampoline_kernelINS0_14default_configENS1_32segmented_reduce_config_selectorIN3c108BFloat16EEEZNS1_21segmented_reduce_implIS3_PKS6_PS6_PKiS6_N6hipcub16HIPCUB_304000_NS6detail27convert_result_type_wrapperISA_SB_N2at6native12_GLOBAL__N_19CustomMinEEEEE10hipError_tPvRmT0_T1_jT2_SS_T4_T3_P12ihipStream_tbEUlT_E_NS1_11comp_targetILNS1_3genE0ELNS1_11target_archE4294967295ELNS1_3gpuE0ELNS1_3repE0EEENS1_30default_config_static_selectorELNS0_4arch9wavefront6targetE0EEEvSR_.has_recursion, 0
	.set _ZN7rocprim17ROCPRIM_400000_NS6detail17trampoline_kernelINS0_14default_configENS1_32segmented_reduce_config_selectorIN3c108BFloat16EEEZNS1_21segmented_reduce_implIS3_PKS6_PS6_PKiS6_N6hipcub16HIPCUB_304000_NS6detail27convert_result_type_wrapperISA_SB_N2at6native12_GLOBAL__N_19CustomMinEEEEE10hipError_tPvRmT0_T1_jT2_SS_T4_T3_P12ihipStream_tbEUlT_E_NS1_11comp_targetILNS1_3genE0ELNS1_11target_archE4294967295ELNS1_3gpuE0ELNS1_3repE0EEENS1_30default_config_static_selectorELNS0_4arch9wavefront6targetE0EEEvSR_.has_indirect_call, 0
	.section	.AMDGPU.csdata,"",@progbits
; Kernel info:
; codeLenInByte = 0
; TotalNumSgprs: 0
; NumVgprs: 0
; ScratchSize: 0
; MemoryBound: 0
; FloatMode: 240
; IeeeMode: 1
; LDSByteSize: 0 bytes/workgroup (compile time only)
; SGPRBlocks: 0
; VGPRBlocks: 0
; NumSGPRsForWavesPerEU: 1
; NumVGPRsForWavesPerEU: 1
; Occupancy: 16
; WaveLimiterHint : 0
; COMPUTE_PGM_RSRC2:SCRATCH_EN: 0
; COMPUTE_PGM_RSRC2:USER_SGPR: 6
; COMPUTE_PGM_RSRC2:TRAP_HANDLER: 0
; COMPUTE_PGM_RSRC2:TGID_X_EN: 1
; COMPUTE_PGM_RSRC2:TGID_Y_EN: 0
; COMPUTE_PGM_RSRC2:TGID_Z_EN: 0
; COMPUTE_PGM_RSRC2:TIDIG_COMP_CNT: 0
	.section	.text._ZN7rocprim17ROCPRIM_400000_NS6detail17trampoline_kernelINS0_14default_configENS1_32segmented_reduce_config_selectorIN3c108BFloat16EEEZNS1_21segmented_reduce_implIS3_PKS6_PS6_PKiS6_N6hipcub16HIPCUB_304000_NS6detail27convert_result_type_wrapperISA_SB_N2at6native12_GLOBAL__N_19CustomMinEEEEE10hipError_tPvRmT0_T1_jT2_SS_T4_T3_P12ihipStream_tbEUlT_E_NS1_11comp_targetILNS1_3genE5ELNS1_11target_archE942ELNS1_3gpuE9ELNS1_3repE0EEENS1_30default_config_static_selectorELNS0_4arch9wavefront6targetE0EEEvSR_,"axG",@progbits,_ZN7rocprim17ROCPRIM_400000_NS6detail17trampoline_kernelINS0_14default_configENS1_32segmented_reduce_config_selectorIN3c108BFloat16EEEZNS1_21segmented_reduce_implIS3_PKS6_PS6_PKiS6_N6hipcub16HIPCUB_304000_NS6detail27convert_result_type_wrapperISA_SB_N2at6native12_GLOBAL__N_19CustomMinEEEEE10hipError_tPvRmT0_T1_jT2_SS_T4_T3_P12ihipStream_tbEUlT_E_NS1_11comp_targetILNS1_3genE5ELNS1_11target_archE942ELNS1_3gpuE9ELNS1_3repE0EEENS1_30default_config_static_selectorELNS0_4arch9wavefront6targetE0EEEvSR_,comdat
	.globl	_ZN7rocprim17ROCPRIM_400000_NS6detail17trampoline_kernelINS0_14default_configENS1_32segmented_reduce_config_selectorIN3c108BFloat16EEEZNS1_21segmented_reduce_implIS3_PKS6_PS6_PKiS6_N6hipcub16HIPCUB_304000_NS6detail27convert_result_type_wrapperISA_SB_N2at6native12_GLOBAL__N_19CustomMinEEEEE10hipError_tPvRmT0_T1_jT2_SS_T4_T3_P12ihipStream_tbEUlT_E_NS1_11comp_targetILNS1_3genE5ELNS1_11target_archE942ELNS1_3gpuE9ELNS1_3repE0EEENS1_30default_config_static_selectorELNS0_4arch9wavefront6targetE0EEEvSR_ ; -- Begin function _ZN7rocprim17ROCPRIM_400000_NS6detail17trampoline_kernelINS0_14default_configENS1_32segmented_reduce_config_selectorIN3c108BFloat16EEEZNS1_21segmented_reduce_implIS3_PKS6_PS6_PKiS6_N6hipcub16HIPCUB_304000_NS6detail27convert_result_type_wrapperISA_SB_N2at6native12_GLOBAL__N_19CustomMinEEEEE10hipError_tPvRmT0_T1_jT2_SS_T4_T3_P12ihipStream_tbEUlT_E_NS1_11comp_targetILNS1_3genE5ELNS1_11target_archE942ELNS1_3gpuE9ELNS1_3repE0EEENS1_30default_config_static_selectorELNS0_4arch9wavefront6targetE0EEEvSR_
	.p2align	8
	.type	_ZN7rocprim17ROCPRIM_400000_NS6detail17trampoline_kernelINS0_14default_configENS1_32segmented_reduce_config_selectorIN3c108BFloat16EEEZNS1_21segmented_reduce_implIS3_PKS6_PS6_PKiS6_N6hipcub16HIPCUB_304000_NS6detail27convert_result_type_wrapperISA_SB_N2at6native12_GLOBAL__N_19CustomMinEEEEE10hipError_tPvRmT0_T1_jT2_SS_T4_T3_P12ihipStream_tbEUlT_E_NS1_11comp_targetILNS1_3genE5ELNS1_11target_archE942ELNS1_3gpuE9ELNS1_3repE0EEENS1_30default_config_static_selectorELNS0_4arch9wavefront6targetE0EEEvSR_,@function
_ZN7rocprim17ROCPRIM_400000_NS6detail17trampoline_kernelINS0_14default_configENS1_32segmented_reduce_config_selectorIN3c108BFloat16EEEZNS1_21segmented_reduce_implIS3_PKS6_PS6_PKiS6_N6hipcub16HIPCUB_304000_NS6detail27convert_result_type_wrapperISA_SB_N2at6native12_GLOBAL__N_19CustomMinEEEEE10hipError_tPvRmT0_T1_jT2_SS_T4_T3_P12ihipStream_tbEUlT_E_NS1_11comp_targetILNS1_3genE5ELNS1_11target_archE942ELNS1_3gpuE9ELNS1_3repE0EEENS1_30default_config_static_selectorELNS0_4arch9wavefront6targetE0EEEvSR_: ; @_ZN7rocprim17ROCPRIM_400000_NS6detail17trampoline_kernelINS0_14default_configENS1_32segmented_reduce_config_selectorIN3c108BFloat16EEEZNS1_21segmented_reduce_implIS3_PKS6_PS6_PKiS6_N6hipcub16HIPCUB_304000_NS6detail27convert_result_type_wrapperISA_SB_N2at6native12_GLOBAL__N_19CustomMinEEEEE10hipError_tPvRmT0_T1_jT2_SS_T4_T3_P12ihipStream_tbEUlT_E_NS1_11comp_targetILNS1_3genE5ELNS1_11target_archE942ELNS1_3gpuE9ELNS1_3repE0EEENS1_30default_config_static_selectorELNS0_4arch9wavefront6targetE0EEEvSR_
; %bb.0:
	.section	.rodata,"a",@progbits
	.p2align	6, 0x0
	.amdhsa_kernel _ZN7rocprim17ROCPRIM_400000_NS6detail17trampoline_kernelINS0_14default_configENS1_32segmented_reduce_config_selectorIN3c108BFloat16EEEZNS1_21segmented_reduce_implIS3_PKS6_PS6_PKiS6_N6hipcub16HIPCUB_304000_NS6detail27convert_result_type_wrapperISA_SB_N2at6native12_GLOBAL__N_19CustomMinEEEEE10hipError_tPvRmT0_T1_jT2_SS_T4_T3_P12ihipStream_tbEUlT_E_NS1_11comp_targetILNS1_3genE5ELNS1_11target_archE942ELNS1_3gpuE9ELNS1_3repE0EEENS1_30default_config_static_selectorELNS0_4arch9wavefront6targetE0EEEvSR_
		.amdhsa_group_segment_fixed_size 0
		.amdhsa_private_segment_fixed_size 0
		.amdhsa_kernarg_size 48
		.amdhsa_user_sgpr_count 6
		.amdhsa_user_sgpr_private_segment_buffer 1
		.amdhsa_user_sgpr_dispatch_ptr 0
		.amdhsa_user_sgpr_queue_ptr 0
		.amdhsa_user_sgpr_kernarg_segment_ptr 1
		.amdhsa_user_sgpr_dispatch_id 0
		.amdhsa_user_sgpr_flat_scratch_init 0
		.amdhsa_user_sgpr_private_segment_size 0
		.amdhsa_wavefront_size32 1
		.amdhsa_uses_dynamic_stack 0
		.amdhsa_system_sgpr_private_segment_wavefront_offset 0
		.amdhsa_system_sgpr_workgroup_id_x 1
		.amdhsa_system_sgpr_workgroup_id_y 0
		.amdhsa_system_sgpr_workgroup_id_z 0
		.amdhsa_system_sgpr_workgroup_info 0
		.amdhsa_system_vgpr_workitem_id 0
		.amdhsa_next_free_vgpr 1
		.amdhsa_next_free_sgpr 1
		.amdhsa_reserve_vcc 0
		.amdhsa_reserve_flat_scratch 0
		.amdhsa_float_round_mode_32 0
		.amdhsa_float_round_mode_16_64 0
		.amdhsa_float_denorm_mode_32 3
		.amdhsa_float_denorm_mode_16_64 3
		.amdhsa_dx10_clamp 1
		.amdhsa_ieee_mode 1
		.amdhsa_fp16_overflow 0
		.amdhsa_workgroup_processor_mode 1
		.amdhsa_memory_ordered 1
		.amdhsa_forward_progress 1
		.amdhsa_shared_vgpr_count 0
		.amdhsa_exception_fp_ieee_invalid_op 0
		.amdhsa_exception_fp_denorm_src 0
		.amdhsa_exception_fp_ieee_div_zero 0
		.amdhsa_exception_fp_ieee_overflow 0
		.amdhsa_exception_fp_ieee_underflow 0
		.amdhsa_exception_fp_ieee_inexact 0
		.amdhsa_exception_int_div_zero 0
	.end_amdhsa_kernel
	.section	.text._ZN7rocprim17ROCPRIM_400000_NS6detail17trampoline_kernelINS0_14default_configENS1_32segmented_reduce_config_selectorIN3c108BFloat16EEEZNS1_21segmented_reduce_implIS3_PKS6_PS6_PKiS6_N6hipcub16HIPCUB_304000_NS6detail27convert_result_type_wrapperISA_SB_N2at6native12_GLOBAL__N_19CustomMinEEEEE10hipError_tPvRmT0_T1_jT2_SS_T4_T3_P12ihipStream_tbEUlT_E_NS1_11comp_targetILNS1_3genE5ELNS1_11target_archE942ELNS1_3gpuE9ELNS1_3repE0EEENS1_30default_config_static_selectorELNS0_4arch9wavefront6targetE0EEEvSR_,"axG",@progbits,_ZN7rocprim17ROCPRIM_400000_NS6detail17trampoline_kernelINS0_14default_configENS1_32segmented_reduce_config_selectorIN3c108BFloat16EEEZNS1_21segmented_reduce_implIS3_PKS6_PS6_PKiS6_N6hipcub16HIPCUB_304000_NS6detail27convert_result_type_wrapperISA_SB_N2at6native12_GLOBAL__N_19CustomMinEEEEE10hipError_tPvRmT0_T1_jT2_SS_T4_T3_P12ihipStream_tbEUlT_E_NS1_11comp_targetILNS1_3genE5ELNS1_11target_archE942ELNS1_3gpuE9ELNS1_3repE0EEENS1_30default_config_static_selectorELNS0_4arch9wavefront6targetE0EEEvSR_,comdat
.Lfunc_end129:
	.size	_ZN7rocprim17ROCPRIM_400000_NS6detail17trampoline_kernelINS0_14default_configENS1_32segmented_reduce_config_selectorIN3c108BFloat16EEEZNS1_21segmented_reduce_implIS3_PKS6_PS6_PKiS6_N6hipcub16HIPCUB_304000_NS6detail27convert_result_type_wrapperISA_SB_N2at6native12_GLOBAL__N_19CustomMinEEEEE10hipError_tPvRmT0_T1_jT2_SS_T4_T3_P12ihipStream_tbEUlT_E_NS1_11comp_targetILNS1_3genE5ELNS1_11target_archE942ELNS1_3gpuE9ELNS1_3repE0EEENS1_30default_config_static_selectorELNS0_4arch9wavefront6targetE0EEEvSR_, .Lfunc_end129-_ZN7rocprim17ROCPRIM_400000_NS6detail17trampoline_kernelINS0_14default_configENS1_32segmented_reduce_config_selectorIN3c108BFloat16EEEZNS1_21segmented_reduce_implIS3_PKS6_PS6_PKiS6_N6hipcub16HIPCUB_304000_NS6detail27convert_result_type_wrapperISA_SB_N2at6native12_GLOBAL__N_19CustomMinEEEEE10hipError_tPvRmT0_T1_jT2_SS_T4_T3_P12ihipStream_tbEUlT_E_NS1_11comp_targetILNS1_3genE5ELNS1_11target_archE942ELNS1_3gpuE9ELNS1_3repE0EEENS1_30default_config_static_selectorELNS0_4arch9wavefront6targetE0EEEvSR_
                                        ; -- End function
	.set _ZN7rocprim17ROCPRIM_400000_NS6detail17trampoline_kernelINS0_14default_configENS1_32segmented_reduce_config_selectorIN3c108BFloat16EEEZNS1_21segmented_reduce_implIS3_PKS6_PS6_PKiS6_N6hipcub16HIPCUB_304000_NS6detail27convert_result_type_wrapperISA_SB_N2at6native12_GLOBAL__N_19CustomMinEEEEE10hipError_tPvRmT0_T1_jT2_SS_T4_T3_P12ihipStream_tbEUlT_E_NS1_11comp_targetILNS1_3genE5ELNS1_11target_archE942ELNS1_3gpuE9ELNS1_3repE0EEENS1_30default_config_static_selectorELNS0_4arch9wavefront6targetE0EEEvSR_.num_vgpr, 0
	.set _ZN7rocprim17ROCPRIM_400000_NS6detail17trampoline_kernelINS0_14default_configENS1_32segmented_reduce_config_selectorIN3c108BFloat16EEEZNS1_21segmented_reduce_implIS3_PKS6_PS6_PKiS6_N6hipcub16HIPCUB_304000_NS6detail27convert_result_type_wrapperISA_SB_N2at6native12_GLOBAL__N_19CustomMinEEEEE10hipError_tPvRmT0_T1_jT2_SS_T4_T3_P12ihipStream_tbEUlT_E_NS1_11comp_targetILNS1_3genE5ELNS1_11target_archE942ELNS1_3gpuE9ELNS1_3repE0EEENS1_30default_config_static_selectorELNS0_4arch9wavefront6targetE0EEEvSR_.num_agpr, 0
	.set _ZN7rocprim17ROCPRIM_400000_NS6detail17trampoline_kernelINS0_14default_configENS1_32segmented_reduce_config_selectorIN3c108BFloat16EEEZNS1_21segmented_reduce_implIS3_PKS6_PS6_PKiS6_N6hipcub16HIPCUB_304000_NS6detail27convert_result_type_wrapperISA_SB_N2at6native12_GLOBAL__N_19CustomMinEEEEE10hipError_tPvRmT0_T1_jT2_SS_T4_T3_P12ihipStream_tbEUlT_E_NS1_11comp_targetILNS1_3genE5ELNS1_11target_archE942ELNS1_3gpuE9ELNS1_3repE0EEENS1_30default_config_static_selectorELNS0_4arch9wavefront6targetE0EEEvSR_.numbered_sgpr, 0
	.set _ZN7rocprim17ROCPRIM_400000_NS6detail17trampoline_kernelINS0_14default_configENS1_32segmented_reduce_config_selectorIN3c108BFloat16EEEZNS1_21segmented_reduce_implIS3_PKS6_PS6_PKiS6_N6hipcub16HIPCUB_304000_NS6detail27convert_result_type_wrapperISA_SB_N2at6native12_GLOBAL__N_19CustomMinEEEEE10hipError_tPvRmT0_T1_jT2_SS_T4_T3_P12ihipStream_tbEUlT_E_NS1_11comp_targetILNS1_3genE5ELNS1_11target_archE942ELNS1_3gpuE9ELNS1_3repE0EEENS1_30default_config_static_selectorELNS0_4arch9wavefront6targetE0EEEvSR_.num_named_barrier, 0
	.set _ZN7rocprim17ROCPRIM_400000_NS6detail17trampoline_kernelINS0_14default_configENS1_32segmented_reduce_config_selectorIN3c108BFloat16EEEZNS1_21segmented_reduce_implIS3_PKS6_PS6_PKiS6_N6hipcub16HIPCUB_304000_NS6detail27convert_result_type_wrapperISA_SB_N2at6native12_GLOBAL__N_19CustomMinEEEEE10hipError_tPvRmT0_T1_jT2_SS_T4_T3_P12ihipStream_tbEUlT_E_NS1_11comp_targetILNS1_3genE5ELNS1_11target_archE942ELNS1_3gpuE9ELNS1_3repE0EEENS1_30default_config_static_selectorELNS0_4arch9wavefront6targetE0EEEvSR_.private_seg_size, 0
	.set _ZN7rocprim17ROCPRIM_400000_NS6detail17trampoline_kernelINS0_14default_configENS1_32segmented_reduce_config_selectorIN3c108BFloat16EEEZNS1_21segmented_reduce_implIS3_PKS6_PS6_PKiS6_N6hipcub16HIPCUB_304000_NS6detail27convert_result_type_wrapperISA_SB_N2at6native12_GLOBAL__N_19CustomMinEEEEE10hipError_tPvRmT0_T1_jT2_SS_T4_T3_P12ihipStream_tbEUlT_E_NS1_11comp_targetILNS1_3genE5ELNS1_11target_archE942ELNS1_3gpuE9ELNS1_3repE0EEENS1_30default_config_static_selectorELNS0_4arch9wavefront6targetE0EEEvSR_.uses_vcc, 0
	.set _ZN7rocprim17ROCPRIM_400000_NS6detail17trampoline_kernelINS0_14default_configENS1_32segmented_reduce_config_selectorIN3c108BFloat16EEEZNS1_21segmented_reduce_implIS3_PKS6_PS6_PKiS6_N6hipcub16HIPCUB_304000_NS6detail27convert_result_type_wrapperISA_SB_N2at6native12_GLOBAL__N_19CustomMinEEEEE10hipError_tPvRmT0_T1_jT2_SS_T4_T3_P12ihipStream_tbEUlT_E_NS1_11comp_targetILNS1_3genE5ELNS1_11target_archE942ELNS1_3gpuE9ELNS1_3repE0EEENS1_30default_config_static_selectorELNS0_4arch9wavefront6targetE0EEEvSR_.uses_flat_scratch, 0
	.set _ZN7rocprim17ROCPRIM_400000_NS6detail17trampoline_kernelINS0_14default_configENS1_32segmented_reduce_config_selectorIN3c108BFloat16EEEZNS1_21segmented_reduce_implIS3_PKS6_PS6_PKiS6_N6hipcub16HIPCUB_304000_NS6detail27convert_result_type_wrapperISA_SB_N2at6native12_GLOBAL__N_19CustomMinEEEEE10hipError_tPvRmT0_T1_jT2_SS_T4_T3_P12ihipStream_tbEUlT_E_NS1_11comp_targetILNS1_3genE5ELNS1_11target_archE942ELNS1_3gpuE9ELNS1_3repE0EEENS1_30default_config_static_selectorELNS0_4arch9wavefront6targetE0EEEvSR_.has_dyn_sized_stack, 0
	.set _ZN7rocprim17ROCPRIM_400000_NS6detail17trampoline_kernelINS0_14default_configENS1_32segmented_reduce_config_selectorIN3c108BFloat16EEEZNS1_21segmented_reduce_implIS3_PKS6_PS6_PKiS6_N6hipcub16HIPCUB_304000_NS6detail27convert_result_type_wrapperISA_SB_N2at6native12_GLOBAL__N_19CustomMinEEEEE10hipError_tPvRmT0_T1_jT2_SS_T4_T3_P12ihipStream_tbEUlT_E_NS1_11comp_targetILNS1_3genE5ELNS1_11target_archE942ELNS1_3gpuE9ELNS1_3repE0EEENS1_30default_config_static_selectorELNS0_4arch9wavefront6targetE0EEEvSR_.has_recursion, 0
	.set _ZN7rocprim17ROCPRIM_400000_NS6detail17trampoline_kernelINS0_14default_configENS1_32segmented_reduce_config_selectorIN3c108BFloat16EEEZNS1_21segmented_reduce_implIS3_PKS6_PS6_PKiS6_N6hipcub16HIPCUB_304000_NS6detail27convert_result_type_wrapperISA_SB_N2at6native12_GLOBAL__N_19CustomMinEEEEE10hipError_tPvRmT0_T1_jT2_SS_T4_T3_P12ihipStream_tbEUlT_E_NS1_11comp_targetILNS1_3genE5ELNS1_11target_archE942ELNS1_3gpuE9ELNS1_3repE0EEENS1_30default_config_static_selectorELNS0_4arch9wavefront6targetE0EEEvSR_.has_indirect_call, 0
	.section	.AMDGPU.csdata,"",@progbits
; Kernel info:
; codeLenInByte = 0
; TotalNumSgprs: 0
; NumVgprs: 0
; ScratchSize: 0
; MemoryBound: 0
; FloatMode: 240
; IeeeMode: 1
; LDSByteSize: 0 bytes/workgroup (compile time only)
; SGPRBlocks: 0
; VGPRBlocks: 0
; NumSGPRsForWavesPerEU: 1
; NumVGPRsForWavesPerEU: 1
; Occupancy: 16
; WaveLimiterHint : 0
; COMPUTE_PGM_RSRC2:SCRATCH_EN: 0
; COMPUTE_PGM_RSRC2:USER_SGPR: 6
; COMPUTE_PGM_RSRC2:TRAP_HANDLER: 0
; COMPUTE_PGM_RSRC2:TGID_X_EN: 1
; COMPUTE_PGM_RSRC2:TGID_Y_EN: 0
; COMPUTE_PGM_RSRC2:TGID_Z_EN: 0
; COMPUTE_PGM_RSRC2:TIDIG_COMP_CNT: 0
	.section	.text._ZN7rocprim17ROCPRIM_400000_NS6detail17trampoline_kernelINS0_14default_configENS1_32segmented_reduce_config_selectorIN3c108BFloat16EEEZNS1_21segmented_reduce_implIS3_PKS6_PS6_PKiS6_N6hipcub16HIPCUB_304000_NS6detail27convert_result_type_wrapperISA_SB_N2at6native12_GLOBAL__N_19CustomMinEEEEE10hipError_tPvRmT0_T1_jT2_SS_T4_T3_P12ihipStream_tbEUlT_E_NS1_11comp_targetILNS1_3genE10ELNS1_11target_archE1201ELNS1_3gpuE5ELNS1_3repE0EEENS1_30default_config_static_selectorELNS0_4arch9wavefront6targetE0EEEvSR_,"axG",@progbits,_ZN7rocprim17ROCPRIM_400000_NS6detail17trampoline_kernelINS0_14default_configENS1_32segmented_reduce_config_selectorIN3c108BFloat16EEEZNS1_21segmented_reduce_implIS3_PKS6_PS6_PKiS6_N6hipcub16HIPCUB_304000_NS6detail27convert_result_type_wrapperISA_SB_N2at6native12_GLOBAL__N_19CustomMinEEEEE10hipError_tPvRmT0_T1_jT2_SS_T4_T3_P12ihipStream_tbEUlT_E_NS1_11comp_targetILNS1_3genE10ELNS1_11target_archE1201ELNS1_3gpuE5ELNS1_3repE0EEENS1_30default_config_static_selectorELNS0_4arch9wavefront6targetE0EEEvSR_,comdat
	.globl	_ZN7rocprim17ROCPRIM_400000_NS6detail17trampoline_kernelINS0_14default_configENS1_32segmented_reduce_config_selectorIN3c108BFloat16EEEZNS1_21segmented_reduce_implIS3_PKS6_PS6_PKiS6_N6hipcub16HIPCUB_304000_NS6detail27convert_result_type_wrapperISA_SB_N2at6native12_GLOBAL__N_19CustomMinEEEEE10hipError_tPvRmT0_T1_jT2_SS_T4_T3_P12ihipStream_tbEUlT_E_NS1_11comp_targetILNS1_3genE10ELNS1_11target_archE1201ELNS1_3gpuE5ELNS1_3repE0EEENS1_30default_config_static_selectorELNS0_4arch9wavefront6targetE0EEEvSR_ ; -- Begin function _ZN7rocprim17ROCPRIM_400000_NS6detail17trampoline_kernelINS0_14default_configENS1_32segmented_reduce_config_selectorIN3c108BFloat16EEEZNS1_21segmented_reduce_implIS3_PKS6_PS6_PKiS6_N6hipcub16HIPCUB_304000_NS6detail27convert_result_type_wrapperISA_SB_N2at6native12_GLOBAL__N_19CustomMinEEEEE10hipError_tPvRmT0_T1_jT2_SS_T4_T3_P12ihipStream_tbEUlT_E_NS1_11comp_targetILNS1_3genE10ELNS1_11target_archE1201ELNS1_3gpuE5ELNS1_3repE0EEENS1_30default_config_static_selectorELNS0_4arch9wavefront6targetE0EEEvSR_
	.p2align	8
	.type	_ZN7rocprim17ROCPRIM_400000_NS6detail17trampoline_kernelINS0_14default_configENS1_32segmented_reduce_config_selectorIN3c108BFloat16EEEZNS1_21segmented_reduce_implIS3_PKS6_PS6_PKiS6_N6hipcub16HIPCUB_304000_NS6detail27convert_result_type_wrapperISA_SB_N2at6native12_GLOBAL__N_19CustomMinEEEEE10hipError_tPvRmT0_T1_jT2_SS_T4_T3_P12ihipStream_tbEUlT_E_NS1_11comp_targetILNS1_3genE10ELNS1_11target_archE1201ELNS1_3gpuE5ELNS1_3repE0EEENS1_30default_config_static_selectorELNS0_4arch9wavefront6targetE0EEEvSR_,@function
_ZN7rocprim17ROCPRIM_400000_NS6detail17trampoline_kernelINS0_14default_configENS1_32segmented_reduce_config_selectorIN3c108BFloat16EEEZNS1_21segmented_reduce_implIS3_PKS6_PS6_PKiS6_N6hipcub16HIPCUB_304000_NS6detail27convert_result_type_wrapperISA_SB_N2at6native12_GLOBAL__N_19CustomMinEEEEE10hipError_tPvRmT0_T1_jT2_SS_T4_T3_P12ihipStream_tbEUlT_E_NS1_11comp_targetILNS1_3genE10ELNS1_11target_archE1201ELNS1_3gpuE5ELNS1_3repE0EEENS1_30default_config_static_selectorELNS0_4arch9wavefront6targetE0EEEvSR_: ; @_ZN7rocprim17ROCPRIM_400000_NS6detail17trampoline_kernelINS0_14default_configENS1_32segmented_reduce_config_selectorIN3c108BFloat16EEEZNS1_21segmented_reduce_implIS3_PKS6_PS6_PKiS6_N6hipcub16HIPCUB_304000_NS6detail27convert_result_type_wrapperISA_SB_N2at6native12_GLOBAL__N_19CustomMinEEEEE10hipError_tPvRmT0_T1_jT2_SS_T4_T3_P12ihipStream_tbEUlT_E_NS1_11comp_targetILNS1_3genE10ELNS1_11target_archE1201ELNS1_3gpuE5ELNS1_3repE0EEENS1_30default_config_static_selectorELNS0_4arch9wavefront6targetE0EEEvSR_
; %bb.0:
	.section	.rodata,"a",@progbits
	.p2align	6, 0x0
	.amdhsa_kernel _ZN7rocprim17ROCPRIM_400000_NS6detail17trampoline_kernelINS0_14default_configENS1_32segmented_reduce_config_selectorIN3c108BFloat16EEEZNS1_21segmented_reduce_implIS3_PKS6_PS6_PKiS6_N6hipcub16HIPCUB_304000_NS6detail27convert_result_type_wrapperISA_SB_N2at6native12_GLOBAL__N_19CustomMinEEEEE10hipError_tPvRmT0_T1_jT2_SS_T4_T3_P12ihipStream_tbEUlT_E_NS1_11comp_targetILNS1_3genE10ELNS1_11target_archE1201ELNS1_3gpuE5ELNS1_3repE0EEENS1_30default_config_static_selectorELNS0_4arch9wavefront6targetE0EEEvSR_
		.amdhsa_group_segment_fixed_size 0
		.amdhsa_private_segment_fixed_size 0
		.amdhsa_kernarg_size 48
		.amdhsa_user_sgpr_count 6
		.amdhsa_user_sgpr_private_segment_buffer 1
		.amdhsa_user_sgpr_dispatch_ptr 0
		.amdhsa_user_sgpr_queue_ptr 0
		.amdhsa_user_sgpr_kernarg_segment_ptr 1
		.amdhsa_user_sgpr_dispatch_id 0
		.amdhsa_user_sgpr_flat_scratch_init 0
		.amdhsa_user_sgpr_private_segment_size 0
		.amdhsa_wavefront_size32 1
		.amdhsa_uses_dynamic_stack 0
		.amdhsa_system_sgpr_private_segment_wavefront_offset 0
		.amdhsa_system_sgpr_workgroup_id_x 1
		.amdhsa_system_sgpr_workgroup_id_y 0
		.amdhsa_system_sgpr_workgroup_id_z 0
		.amdhsa_system_sgpr_workgroup_info 0
		.amdhsa_system_vgpr_workitem_id 0
		.amdhsa_next_free_vgpr 1
		.amdhsa_next_free_sgpr 1
		.amdhsa_reserve_vcc 0
		.amdhsa_reserve_flat_scratch 0
		.amdhsa_float_round_mode_32 0
		.amdhsa_float_round_mode_16_64 0
		.amdhsa_float_denorm_mode_32 3
		.amdhsa_float_denorm_mode_16_64 3
		.amdhsa_dx10_clamp 1
		.amdhsa_ieee_mode 1
		.amdhsa_fp16_overflow 0
		.amdhsa_workgroup_processor_mode 1
		.amdhsa_memory_ordered 1
		.amdhsa_forward_progress 1
		.amdhsa_shared_vgpr_count 0
		.amdhsa_exception_fp_ieee_invalid_op 0
		.amdhsa_exception_fp_denorm_src 0
		.amdhsa_exception_fp_ieee_div_zero 0
		.amdhsa_exception_fp_ieee_overflow 0
		.amdhsa_exception_fp_ieee_underflow 0
		.amdhsa_exception_fp_ieee_inexact 0
		.amdhsa_exception_int_div_zero 0
	.end_amdhsa_kernel
	.section	.text._ZN7rocprim17ROCPRIM_400000_NS6detail17trampoline_kernelINS0_14default_configENS1_32segmented_reduce_config_selectorIN3c108BFloat16EEEZNS1_21segmented_reduce_implIS3_PKS6_PS6_PKiS6_N6hipcub16HIPCUB_304000_NS6detail27convert_result_type_wrapperISA_SB_N2at6native12_GLOBAL__N_19CustomMinEEEEE10hipError_tPvRmT0_T1_jT2_SS_T4_T3_P12ihipStream_tbEUlT_E_NS1_11comp_targetILNS1_3genE10ELNS1_11target_archE1201ELNS1_3gpuE5ELNS1_3repE0EEENS1_30default_config_static_selectorELNS0_4arch9wavefront6targetE0EEEvSR_,"axG",@progbits,_ZN7rocprim17ROCPRIM_400000_NS6detail17trampoline_kernelINS0_14default_configENS1_32segmented_reduce_config_selectorIN3c108BFloat16EEEZNS1_21segmented_reduce_implIS3_PKS6_PS6_PKiS6_N6hipcub16HIPCUB_304000_NS6detail27convert_result_type_wrapperISA_SB_N2at6native12_GLOBAL__N_19CustomMinEEEEE10hipError_tPvRmT0_T1_jT2_SS_T4_T3_P12ihipStream_tbEUlT_E_NS1_11comp_targetILNS1_3genE10ELNS1_11target_archE1201ELNS1_3gpuE5ELNS1_3repE0EEENS1_30default_config_static_selectorELNS0_4arch9wavefront6targetE0EEEvSR_,comdat
.Lfunc_end130:
	.size	_ZN7rocprim17ROCPRIM_400000_NS6detail17trampoline_kernelINS0_14default_configENS1_32segmented_reduce_config_selectorIN3c108BFloat16EEEZNS1_21segmented_reduce_implIS3_PKS6_PS6_PKiS6_N6hipcub16HIPCUB_304000_NS6detail27convert_result_type_wrapperISA_SB_N2at6native12_GLOBAL__N_19CustomMinEEEEE10hipError_tPvRmT0_T1_jT2_SS_T4_T3_P12ihipStream_tbEUlT_E_NS1_11comp_targetILNS1_3genE10ELNS1_11target_archE1201ELNS1_3gpuE5ELNS1_3repE0EEENS1_30default_config_static_selectorELNS0_4arch9wavefront6targetE0EEEvSR_, .Lfunc_end130-_ZN7rocprim17ROCPRIM_400000_NS6detail17trampoline_kernelINS0_14default_configENS1_32segmented_reduce_config_selectorIN3c108BFloat16EEEZNS1_21segmented_reduce_implIS3_PKS6_PS6_PKiS6_N6hipcub16HIPCUB_304000_NS6detail27convert_result_type_wrapperISA_SB_N2at6native12_GLOBAL__N_19CustomMinEEEEE10hipError_tPvRmT0_T1_jT2_SS_T4_T3_P12ihipStream_tbEUlT_E_NS1_11comp_targetILNS1_3genE10ELNS1_11target_archE1201ELNS1_3gpuE5ELNS1_3repE0EEENS1_30default_config_static_selectorELNS0_4arch9wavefront6targetE0EEEvSR_
                                        ; -- End function
	.set _ZN7rocprim17ROCPRIM_400000_NS6detail17trampoline_kernelINS0_14default_configENS1_32segmented_reduce_config_selectorIN3c108BFloat16EEEZNS1_21segmented_reduce_implIS3_PKS6_PS6_PKiS6_N6hipcub16HIPCUB_304000_NS6detail27convert_result_type_wrapperISA_SB_N2at6native12_GLOBAL__N_19CustomMinEEEEE10hipError_tPvRmT0_T1_jT2_SS_T4_T3_P12ihipStream_tbEUlT_E_NS1_11comp_targetILNS1_3genE10ELNS1_11target_archE1201ELNS1_3gpuE5ELNS1_3repE0EEENS1_30default_config_static_selectorELNS0_4arch9wavefront6targetE0EEEvSR_.num_vgpr, 0
	.set _ZN7rocprim17ROCPRIM_400000_NS6detail17trampoline_kernelINS0_14default_configENS1_32segmented_reduce_config_selectorIN3c108BFloat16EEEZNS1_21segmented_reduce_implIS3_PKS6_PS6_PKiS6_N6hipcub16HIPCUB_304000_NS6detail27convert_result_type_wrapperISA_SB_N2at6native12_GLOBAL__N_19CustomMinEEEEE10hipError_tPvRmT0_T1_jT2_SS_T4_T3_P12ihipStream_tbEUlT_E_NS1_11comp_targetILNS1_3genE10ELNS1_11target_archE1201ELNS1_3gpuE5ELNS1_3repE0EEENS1_30default_config_static_selectorELNS0_4arch9wavefront6targetE0EEEvSR_.num_agpr, 0
	.set _ZN7rocprim17ROCPRIM_400000_NS6detail17trampoline_kernelINS0_14default_configENS1_32segmented_reduce_config_selectorIN3c108BFloat16EEEZNS1_21segmented_reduce_implIS3_PKS6_PS6_PKiS6_N6hipcub16HIPCUB_304000_NS6detail27convert_result_type_wrapperISA_SB_N2at6native12_GLOBAL__N_19CustomMinEEEEE10hipError_tPvRmT0_T1_jT2_SS_T4_T3_P12ihipStream_tbEUlT_E_NS1_11comp_targetILNS1_3genE10ELNS1_11target_archE1201ELNS1_3gpuE5ELNS1_3repE0EEENS1_30default_config_static_selectorELNS0_4arch9wavefront6targetE0EEEvSR_.numbered_sgpr, 0
	.set _ZN7rocprim17ROCPRIM_400000_NS6detail17trampoline_kernelINS0_14default_configENS1_32segmented_reduce_config_selectorIN3c108BFloat16EEEZNS1_21segmented_reduce_implIS3_PKS6_PS6_PKiS6_N6hipcub16HIPCUB_304000_NS6detail27convert_result_type_wrapperISA_SB_N2at6native12_GLOBAL__N_19CustomMinEEEEE10hipError_tPvRmT0_T1_jT2_SS_T4_T3_P12ihipStream_tbEUlT_E_NS1_11comp_targetILNS1_3genE10ELNS1_11target_archE1201ELNS1_3gpuE5ELNS1_3repE0EEENS1_30default_config_static_selectorELNS0_4arch9wavefront6targetE0EEEvSR_.num_named_barrier, 0
	.set _ZN7rocprim17ROCPRIM_400000_NS6detail17trampoline_kernelINS0_14default_configENS1_32segmented_reduce_config_selectorIN3c108BFloat16EEEZNS1_21segmented_reduce_implIS3_PKS6_PS6_PKiS6_N6hipcub16HIPCUB_304000_NS6detail27convert_result_type_wrapperISA_SB_N2at6native12_GLOBAL__N_19CustomMinEEEEE10hipError_tPvRmT0_T1_jT2_SS_T4_T3_P12ihipStream_tbEUlT_E_NS1_11comp_targetILNS1_3genE10ELNS1_11target_archE1201ELNS1_3gpuE5ELNS1_3repE0EEENS1_30default_config_static_selectorELNS0_4arch9wavefront6targetE0EEEvSR_.private_seg_size, 0
	.set _ZN7rocprim17ROCPRIM_400000_NS6detail17trampoline_kernelINS0_14default_configENS1_32segmented_reduce_config_selectorIN3c108BFloat16EEEZNS1_21segmented_reduce_implIS3_PKS6_PS6_PKiS6_N6hipcub16HIPCUB_304000_NS6detail27convert_result_type_wrapperISA_SB_N2at6native12_GLOBAL__N_19CustomMinEEEEE10hipError_tPvRmT0_T1_jT2_SS_T4_T3_P12ihipStream_tbEUlT_E_NS1_11comp_targetILNS1_3genE10ELNS1_11target_archE1201ELNS1_3gpuE5ELNS1_3repE0EEENS1_30default_config_static_selectorELNS0_4arch9wavefront6targetE0EEEvSR_.uses_vcc, 0
	.set _ZN7rocprim17ROCPRIM_400000_NS6detail17trampoline_kernelINS0_14default_configENS1_32segmented_reduce_config_selectorIN3c108BFloat16EEEZNS1_21segmented_reduce_implIS3_PKS6_PS6_PKiS6_N6hipcub16HIPCUB_304000_NS6detail27convert_result_type_wrapperISA_SB_N2at6native12_GLOBAL__N_19CustomMinEEEEE10hipError_tPvRmT0_T1_jT2_SS_T4_T3_P12ihipStream_tbEUlT_E_NS1_11comp_targetILNS1_3genE10ELNS1_11target_archE1201ELNS1_3gpuE5ELNS1_3repE0EEENS1_30default_config_static_selectorELNS0_4arch9wavefront6targetE0EEEvSR_.uses_flat_scratch, 0
	.set _ZN7rocprim17ROCPRIM_400000_NS6detail17trampoline_kernelINS0_14default_configENS1_32segmented_reduce_config_selectorIN3c108BFloat16EEEZNS1_21segmented_reduce_implIS3_PKS6_PS6_PKiS6_N6hipcub16HIPCUB_304000_NS6detail27convert_result_type_wrapperISA_SB_N2at6native12_GLOBAL__N_19CustomMinEEEEE10hipError_tPvRmT0_T1_jT2_SS_T4_T3_P12ihipStream_tbEUlT_E_NS1_11comp_targetILNS1_3genE10ELNS1_11target_archE1201ELNS1_3gpuE5ELNS1_3repE0EEENS1_30default_config_static_selectorELNS0_4arch9wavefront6targetE0EEEvSR_.has_dyn_sized_stack, 0
	.set _ZN7rocprim17ROCPRIM_400000_NS6detail17trampoline_kernelINS0_14default_configENS1_32segmented_reduce_config_selectorIN3c108BFloat16EEEZNS1_21segmented_reduce_implIS3_PKS6_PS6_PKiS6_N6hipcub16HIPCUB_304000_NS6detail27convert_result_type_wrapperISA_SB_N2at6native12_GLOBAL__N_19CustomMinEEEEE10hipError_tPvRmT0_T1_jT2_SS_T4_T3_P12ihipStream_tbEUlT_E_NS1_11comp_targetILNS1_3genE10ELNS1_11target_archE1201ELNS1_3gpuE5ELNS1_3repE0EEENS1_30default_config_static_selectorELNS0_4arch9wavefront6targetE0EEEvSR_.has_recursion, 0
	.set _ZN7rocprim17ROCPRIM_400000_NS6detail17trampoline_kernelINS0_14default_configENS1_32segmented_reduce_config_selectorIN3c108BFloat16EEEZNS1_21segmented_reduce_implIS3_PKS6_PS6_PKiS6_N6hipcub16HIPCUB_304000_NS6detail27convert_result_type_wrapperISA_SB_N2at6native12_GLOBAL__N_19CustomMinEEEEE10hipError_tPvRmT0_T1_jT2_SS_T4_T3_P12ihipStream_tbEUlT_E_NS1_11comp_targetILNS1_3genE10ELNS1_11target_archE1201ELNS1_3gpuE5ELNS1_3repE0EEENS1_30default_config_static_selectorELNS0_4arch9wavefront6targetE0EEEvSR_.has_indirect_call, 0
	.section	.AMDGPU.csdata,"",@progbits
; Kernel info:
; codeLenInByte = 0
; TotalNumSgprs: 0
; NumVgprs: 0
; ScratchSize: 0
; MemoryBound: 0
; FloatMode: 240
; IeeeMode: 1
; LDSByteSize: 0 bytes/workgroup (compile time only)
; SGPRBlocks: 0
; VGPRBlocks: 0
; NumSGPRsForWavesPerEU: 1
; NumVGPRsForWavesPerEU: 1
; Occupancy: 16
; WaveLimiterHint : 0
; COMPUTE_PGM_RSRC2:SCRATCH_EN: 0
; COMPUTE_PGM_RSRC2:USER_SGPR: 6
; COMPUTE_PGM_RSRC2:TRAP_HANDLER: 0
; COMPUTE_PGM_RSRC2:TGID_X_EN: 1
; COMPUTE_PGM_RSRC2:TGID_Y_EN: 0
; COMPUTE_PGM_RSRC2:TGID_Z_EN: 0
; COMPUTE_PGM_RSRC2:TIDIG_COMP_CNT: 0
	.section	.text._ZN7rocprim17ROCPRIM_400000_NS6detail17trampoline_kernelINS0_14default_configENS1_32segmented_reduce_config_selectorIN3c108BFloat16EEEZNS1_21segmented_reduce_implIS3_PKS6_PS6_PKiS6_N6hipcub16HIPCUB_304000_NS6detail27convert_result_type_wrapperISA_SB_N2at6native12_GLOBAL__N_19CustomMinEEEEE10hipError_tPvRmT0_T1_jT2_SS_T4_T3_P12ihipStream_tbEUlT_E_NS1_11comp_targetILNS1_3genE4ELNS1_11target_archE910ELNS1_3gpuE8ELNS1_3repE0EEENS1_30default_config_static_selectorELNS0_4arch9wavefront6targetE0EEEvSR_,"axG",@progbits,_ZN7rocprim17ROCPRIM_400000_NS6detail17trampoline_kernelINS0_14default_configENS1_32segmented_reduce_config_selectorIN3c108BFloat16EEEZNS1_21segmented_reduce_implIS3_PKS6_PS6_PKiS6_N6hipcub16HIPCUB_304000_NS6detail27convert_result_type_wrapperISA_SB_N2at6native12_GLOBAL__N_19CustomMinEEEEE10hipError_tPvRmT0_T1_jT2_SS_T4_T3_P12ihipStream_tbEUlT_E_NS1_11comp_targetILNS1_3genE4ELNS1_11target_archE910ELNS1_3gpuE8ELNS1_3repE0EEENS1_30default_config_static_selectorELNS0_4arch9wavefront6targetE0EEEvSR_,comdat
	.globl	_ZN7rocprim17ROCPRIM_400000_NS6detail17trampoline_kernelINS0_14default_configENS1_32segmented_reduce_config_selectorIN3c108BFloat16EEEZNS1_21segmented_reduce_implIS3_PKS6_PS6_PKiS6_N6hipcub16HIPCUB_304000_NS6detail27convert_result_type_wrapperISA_SB_N2at6native12_GLOBAL__N_19CustomMinEEEEE10hipError_tPvRmT0_T1_jT2_SS_T4_T3_P12ihipStream_tbEUlT_E_NS1_11comp_targetILNS1_3genE4ELNS1_11target_archE910ELNS1_3gpuE8ELNS1_3repE0EEENS1_30default_config_static_selectorELNS0_4arch9wavefront6targetE0EEEvSR_ ; -- Begin function _ZN7rocprim17ROCPRIM_400000_NS6detail17trampoline_kernelINS0_14default_configENS1_32segmented_reduce_config_selectorIN3c108BFloat16EEEZNS1_21segmented_reduce_implIS3_PKS6_PS6_PKiS6_N6hipcub16HIPCUB_304000_NS6detail27convert_result_type_wrapperISA_SB_N2at6native12_GLOBAL__N_19CustomMinEEEEE10hipError_tPvRmT0_T1_jT2_SS_T4_T3_P12ihipStream_tbEUlT_E_NS1_11comp_targetILNS1_3genE4ELNS1_11target_archE910ELNS1_3gpuE8ELNS1_3repE0EEENS1_30default_config_static_selectorELNS0_4arch9wavefront6targetE0EEEvSR_
	.p2align	8
	.type	_ZN7rocprim17ROCPRIM_400000_NS6detail17trampoline_kernelINS0_14default_configENS1_32segmented_reduce_config_selectorIN3c108BFloat16EEEZNS1_21segmented_reduce_implIS3_PKS6_PS6_PKiS6_N6hipcub16HIPCUB_304000_NS6detail27convert_result_type_wrapperISA_SB_N2at6native12_GLOBAL__N_19CustomMinEEEEE10hipError_tPvRmT0_T1_jT2_SS_T4_T3_P12ihipStream_tbEUlT_E_NS1_11comp_targetILNS1_3genE4ELNS1_11target_archE910ELNS1_3gpuE8ELNS1_3repE0EEENS1_30default_config_static_selectorELNS0_4arch9wavefront6targetE0EEEvSR_,@function
_ZN7rocprim17ROCPRIM_400000_NS6detail17trampoline_kernelINS0_14default_configENS1_32segmented_reduce_config_selectorIN3c108BFloat16EEEZNS1_21segmented_reduce_implIS3_PKS6_PS6_PKiS6_N6hipcub16HIPCUB_304000_NS6detail27convert_result_type_wrapperISA_SB_N2at6native12_GLOBAL__N_19CustomMinEEEEE10hipError_tPvRmT0_T1_jT2_SS_T4_T3_P12ihipStream_tbEUlT_E_NS1_11comp_targetILNS1_3genE4ELNS1_11target_archE910ELNS1_3gpuE8ELNS1_3repE0EEENS1_30default_config_static_selectorELNS0_4arch9wavefront6targetE0EEEvSR_: ; @_ZN7rocprim17ROCPRIM_400000_NS6detail17trampoline_kernelINS0_14default_configENS1_32segmented_reduce_config_selectorIN3c108BFloat16EEEZNS1_21segmented_reduce_implIS3_PKS6_PS6_PKiS6_N6hipcub16HIPCUB_304000_NS6detail27convert_result_type_wrapperISA_SB_N2at6native12_GLOBAL__N_19CustomMinEEEEE10hipError_tPvRmT0_T1_jT2_SS_T4_T3_P12ihipStream_tbEUlT_E_NS1_11comp_targetILNS1_3genE4ELNS1_11target_archE910ELNS1_3gpuE8ELNS1_3repE0EEENS1_30default_config_static_selectorELNS0_4arch9wavefront6targetE0EEEvSR_
; %bb.0:
	.section	.rodata,"a",@progbits
	.p2align	6, 0x0
	.amdhsa_kernel _ZN7rocprim17ROCPRIM_400000_NS6detail17trampoline_kernelINS0_14default_configENS1_32segmented_reduce_config_selectorIN3c108BFloat16EEEZNS1_21segmented_reduce_implIS3_PKS6_PS6_PKiS6_N6hipcub16HIPCUB_304000_NS6detail27convert_result_type_wrapperISA_SB_N2at6native12_GLOBAL__N_19CustomMinEEEEE10hipError_tPvRmT0_T1_jT2_SS_T4_T3_P12ihipStream_tbEUlT_E_NS1_11comp_targetILNS1_3genE4ELNS1_11target_archE910ELNS1_3gpuE8ELNS1_3repE0EEENS1_30default_config_static_selectorELNS0_4arch9wavefront6targetE0EEEvSR_
		.amdhsa_group_segment_fixed_size 0
		.amdhsa_private_segment_fixed_size 0
		.amdhsa_kernarg_size 48
		.amdhsa_user_sgpr_count 6
		.amdhsa_user_sgpr_private_segment_buffer 1
		.amdhsa_user_sgpr_dispatch_ptr 0
		.amdhsa_user_sgpr_queue_ptr 0
		.amdhsa_user_sgpr_kernarg_segment_ptr 1
		.amdhsa_user_sgpr_dispatch_id 0
		.amdhsa_user_sgpr_flat_scratch_init 0
		.amdhsa_user_sgpr_private_segment_size 0
		.amdhsa_wavefront_size32 1
		.amdhsa_uses_dynamic_stack 0
		.amdhsa_system_sgpr_private_segment_wavefront_offset 0
		.amdhsa_system_sgpr_workgroup_id_x 1
		.amdhsa_system_sgpr_workgroup_id_y 0
		.amdhsa_system_sgpr_workgroup_id_z 0
		.amdhsa_system_sgpr_workgroup_info 0
		.amdhsa_system_vgpr_workitem_id 0
		.amdhsa_next_free_vgpr 1
		.amdhsa_next_free_sgpr 1
		.amdhsa_reserve_vcc 0
		.amdhsa_reserve_flat_scratch 0
		.amdhsa_float_round_mode_32 0
		.amdhsa_float_round_mode_16_64 0
		.amdhsa_float_denorm_mode_32 3
		.amdhsa_float_denorm_mode_16_64 3
		.amdhsa_dx10_clamp 1
		.amdhsa_ieee_mode 1
		.amdhsa_fp16_overflow 0
		.amdhsa_workgroup_processor_mode 1
		.amdhsa_memory_ordered 1
		.amdhsa_forward_progress 1
		.amdhsa_shared_vgpr_count 0
		.amdhsa_exception_fp_ieee_invalid_op 0
		.amdhsa_exception_fp_denorm_src 0
		.amdhsa_exception_fp_ieee_div_zero 0
		.amdhsa_exception_fp_ieee_overflow 0
		.amdhsa_exception_fp_ieee_underflow 0
		.amdhsa_exception_fp_ieee_inexact 0
		.amdhsa_exception_int_div_zero 0
	.end_amdhsa_kernel
	.section	.text._ZN7rocprim17ROCPRIM_400000_NS6detail17trampoline_kernelINS0_14default_configENS1_32segmented_reduce_config_selectorIN3c108BFloat16EEEZNS1_21segmented_reduce_implIS3_PKS6_PS6_PKiS6_N6hipcub16HIPCUB_304000_NS6detail27convert_result_type_wrapperISA_SB_N2at6native12_GLOBAL__N_19CustomMinEEEEE10hipError_tPvRmT0_T1_jT2_SS_T4_T3_P12ihipStream_tbEUlT_E_NS1_11comp_targetILNS1_3genE4ELNS1_11target_archE910ELNS1_3gpuE8ELNS1_3repE0EEENS1_30default_config_static_selectorELNS0_4arch9wavefront6targetE0EEEvSR_,"axG",@progbits,_ZN7rocprim17ROCPRIM_400000_NS6detail17trampoline_kernelINS0_14default_configENS1_32segmented_reduce_config_selectorIN3c108BFloat16EEEZNS1_21segmented_reduce_implIS3_PKS6_PS6_PKiS6_N6hipcub16HIPCUB_304000_NS6detail27convert_result_type_wrapperISA_SB_N2at6native12_GLOBAL__N_19CustomMinEEEEE10hipError_tPvRmT0_T1_jT2_SS_T4_T3_P12ihipStream_tbEUlT_E_NS1_11comp_targetILNS1_3genE4ELNS1_11target_archE910ELNS1_3gpuE8ELNS1_3repE0EEENS1_30default_config_static_selectorELNS0_4arch9wavefront6targetE0EEEvSR_,comdat
.Lfunc_end131:
	.size	_ZN7rocprim17ROCPRIM_400000_NS6detail17trampoline_kernelINS0_14default_configENS1_32segmented_reduce_config_selectorIN3c108BFloat16EEEZNS1_21segmented_reduce_implIS3_PKS6_PS6_PKiS6_N6hipcub16HIPCUB_304000_NS6detail27convert_result_type_wrapperISA_SB_N2at6native12_GLOBAL__N_19CustomMinEEEEE10hipError_tPvRmT0_T1_jT2_SS_T4_T3_P12ihipStream_tbEUlT_E_NS1_11comp_targetILNS1_3genE4ELNS1_11target_archE910ELNS1_3gpuE8ELNS1_3repE0EEENS1_30default_config_static_selectorELNS0_4arch9wavefront6targetE0EEEvSR_, .Lfunc_end131-_ZN7rocprim17ROCPRIM_400000_NS6detail17trampoline_kernelINS0_14default_configENS1_32segmented_reduce_config_selectorIN3c108BFloat16EEEZNS1_21segmented_reduce_implIS3_PKS6_PS6_PKiS6_N6hipcub16HIPCUB_304000_NS6detail27convert_result_type_wrapperISA_SB_N2at6native12_GLOBAL__N_19CustomMinEEEEE10hipError_tPvRmT0_T1_jT2_SS_T4_T3_P12ihipStream_tbEUlT_E_NS1_11comp_targetILNS1_3genE4ELNS1_11target_archE910ELNS1_3gpuE8ELNS1_3repE0EEENS1_30default_config_static_selectorELNS0_4arch9wavefront6targetE0EEEvSR_
                                        ; -- End function
	.set _ZN7rocprim17ROCPRIM_400000_NS6detail17trampoline_kernelINS0_14default_configENS1_32segmented_reduce_config_selectorIN3c108BFloat16EEEZNS1_21segmented_reduce_implIS3_PKS6_PS6_PKiS6_N6hipcub16HIPCUB_304000_NS6detail27convert_result_type_wrapperISA_SB_N2at6native12_GLOBAL__N_19CustomMinEEEEE10hipError_tPvRmT0_T1_jT2_SS_T4_T3_P12ihipStream_tbEUlT_E_NS1_11comp_targetILNS1_3genE4ELNS1_11target_archE910ELNS1_3gpuE8ELNS1_3repE0EEENS1_30default_config_static_selectorELNS0_4arch9wavefront6targetE0EEEvSR_.num_vgpr, 0
	.set _ZN7rocprim17ROCPRIM_400000_NS6detail17trampoline_kernelINS0_14default_configENS1_32segmented_reduce_config_selectorIN3c108BFloat16EEEZNS1_21segmented_reduce_implIS3_PKS6_PS6_PKiS6_N6hipcub16HIPCUB_304000_NS6detail27convert_result_type_wrapperISA_SB_N2at6native12_GLOBAL__N_19CustomMinEEEEE10hipError_tPvRmT0_T1_jT2_SS_T4_T3_P12ihipStream_tbEUlT_E_NS1_11comp_targetILNS1_3genE4ELNS1_11target_archE910ELNS1_3gpuE8ELNS1_3repE0EEENS1_30default_config_static_selectorELNS0_4arch9wavefront6targetE0EEEvSR_.num_agpr, 0
	.set _ZN7rocprim17ROCPRIM_400000_NS6detail17trampoline_kernelINS0_14default_configENS1_32segmented_reduce_config_selectorIN3c108BFloat16EEEZNS1_21segmented_reduce_implIS3_PKS6_PS6_PKiS6_N6hipcub16HIPCUB_304000_NS6detail27convert_result_type_wrapperISA_SB_N2at6native12_GLOBAL__N_19CustomMinEEEEE10hipError_tPvRmT0_T1_jT2_SS_T4_T3_P12ihipStream_tbEUlT_E_NS1_11comp_targetILNS1_3genE4ELNS1_11target_archE910ELNS1_3gpuE8ELNS1_3repE0EEENS1_30default_config_static_selectorELNS0_4arch9wavefront6targetE0EEEvSR_.numbered_sgpr, 0
	.set _ZN7rocprim17ROCPRIM_400000_NS6detail17trampoline_kernelINS0_14default_configENS1_32segmented_reduce_config_selectorIN3c108BFloat16EEEZNS1_21segmented_reduce_implIS3_PKS6_PS6_PKiS6_N6hipcub16HIPCUB_304000_NS6detail27convert_result_type_wrapperISA_SB_N2at6native12_GLOBAL__N_19CustomMinEEEEE10hipError_tPvRmT0_T1_jT2_SS_T4_T3_P12ihipStream_tbEUlT_E_NS1_11comp_targetILNS1_3genE4ELNS1_11target_archE910ELNS1_3gpuE8ELNS1_3repE0EEENS1_30default_config_static_selectorELNS0_4arch9wavefront6targetE0EEEvSR_.num_named_barrier, 0
	.set _ZN7rocprim17ROCPRIM_400000_NS6detail17trampoline_kernelINS0_14default_configENS1_32segmented_reduce_config_selectorIN3c108BFloat16EEEZNS1_21segmented_reduce_implIS3_PKS6_PS6_PKiS6_N6hipcub16HIPCUB_304000_NS6detail27convert_result_type_wrapperISA_SB_N2at6native12_GLOBAL__N_19CustomMinEEEEE10hipError_tPvRmT0_T1_jT2_SS_T4_T3_P12ihipStream_tbEUlT_E_NS1_11comp_targetILNS1_3genE4ELNS1_11target_archE910ELNS1_3gpuE8ELNS1_3repE0EEENS1_30default_config_static_selectorELNS0_4arch9wavefront6targetE0EEEvSR_.private_seg_size, 0
	.set _ZN7rocprim17ROCPRIM_400000_NS6detail17trampoline_kernelINS0_14default_configENS1_32segmented_reduce_config_selectorIN3c108BFloat16EEEZNS1_21segmented_reduce_implIS3_PKS6_PS6_PKiS6_N6hipcub16HIPCUB_304000_NS6detail27convert_result_type_wrapperISA_SB_N2at6native12_GLOBAL__N_19CustomMinEEEEE10hipError_tPvRmT0_T1_jT2_SS_T4_T3_P12ihipStream_tbEUlT_E_NS1_11comp_targetILNS1_3genE4ELNS1_11target_archE910ELNS1_3gpuE8ELNS1_3repE0EEENS1_30default_config_static_selectorELNS0_4arch9wavefront6targetE0EEEvSR_.uses_vcc, 0
	.set _ZN7rocprim17ROCPRIM_400000_NS6detail17trampoline_kernelINS0_14default_configENS1_32segmented_reduce_config_selectorIN3c108BFloat16EEEZNS1_21segmented_reduce_implIS3_PKS6_PS6_PKiS6_N6hipcub16HIPCUB_304000_NS6detail27convert_result_type_wrapperISA_SB_N2at6native12_GLOBAL__N_19CustomMinEEEEE10hipError_tPvRmT0_T1_jT2_SS_T4_T3_P12ihipStream_tbEUlT_E_NS1_11comp_targetILNS1_3genE4ELNS1_11target_archE910ELNS1_3gpuE8ELNS1_3repE0EEENS1_30default_config_static_selectorELNS0_4arch9wavefront6targetE0EEEvSR_.uses_flat_scratch, 0
	.set _ZN7rocprim17ROCPRIM_400000_NS6detail17trampoline_kernelINS0_14default_configENS1_32segmented_reduce_config_selectorIN3c108BFloat16EEEZNS1_21segmented_reduce_implIS3_PKS6_PS6_PKiS6_N6hipcub16HIPCUB_304000_NS6detail27convert_result_type_wrapperISA_SB_N2at6native12_GLOBAL__N_19CustomMinEEEEE10hipError_tPvRmT0_T1_jT2_SS_T4_T3_P12ihipStream_tbEUlT_E_NS1_11comp_targetILNS1_3genE4ELNS1_11target_archE910ELNS1_3gpuE8ELNS1_3repE0EEENS1_30default_config_static_selectorELNS0_4arch9wavefront6targetE0EEEvSR_.has_dyn_sized_stack, 0
	.set _ZN7rocprim17ROCPRIM_400000_NS6detail17trampoline_kernelINS0_14default_configENS1_32segmented_reduce_config_selectorIN3c108BFloat16EEEZNS1_21segmented_reduce_implIS3_PKS6_PS6_PKiS6_N6hipcub16HIPCUB_304000_NS6detail27convert_result_type_wrapperISA_SB_N2at6native12_GLOBAL__N_19CustomMinEEEEE10hipError_tPvRmT0_T1_jT2_SS_T4_T3_P12ihipStream_tbEUlT_E_NS1_11comp_targetILNS1_3genE4ELNS1_11target_archE910ELNS1_3gpuE8ELNS1_3repE0EEENS1_30default_config_static_selectorELNS0_4arch9wavefront6targetE0EEEvSR_.has_recursion, 0
	.set _ZN7rocprim17ROCPRIM_400000_NS6detail17trampoline_kernelINS0_14default_configENS1_32segmented_reduce_config_selectorIN3c108BFloat16EEEZNS1_21segmented_reduce_implIS3_PKS6_PS6_PKiS6_N6hipcub16HIPCUB_304000_NS6detail27convert_result_type_wrapperISA_SB_N2at6native12_GLOBAL__N_19CustomMinEEEEE10hipError_tPvRmT0_T1_jT2_SS_T4_T3_P12ihipStream_tbEUlT_E_NS1_11comp_targetILNS1_3genE4ELNS1_11target_archE910ELNS1_3gpuE8ELNS1_3repE0EEENS1_30default_config_static_selectorELNS0_4arch9wavefront6targetE0EEEvSR_.has_indirect_call, 0
	.section	.AMDGPU.csdata,"",@progbits
; Kernel info:
; codeLenInByte = 0
; TotalNumSgprs: 0
; NumVgprs: 0
; ScratchSize: 0
; MemoryBound: 0
; FloatMode: 240
; IeeeMode: 1
; LDSByteSize: 0 bytes/workgroup (compile time only)
; SGPRBlocks: 0
; VGPRBlocks: 0
; NumSGPRsForWavesPerEU: 1
; NumVGPRsForWavesPerEU: 1
; Occupancy: 16
; WaveLimiterHint : 0
; COMPUTE_PGM_RSRC2:SCRATCH_EN: 0
; COMPUTE_PGM_RSRC2:USER_SGPR: 6
; COMPUTE_PGM_RSRC2:TRAP_HANDLER: 0
; COMPUTE_PGM_RSRC2:TGID_X_EN: 1
; COMPUTE_PGM_RSRC2:TGID_Y_EN: 0
; COMPUTE_PGM_RSRC2:TGID_Z_EN: 0
; COMPUTE_PGM_RSRC2:TIDIG_COMP_CNT: 0
	.section	.text._ZN7rocprim17ROCPRIM_400000_NS6detail17trampoline_kernelINS0_14default_configENS1_32segmented_reduce_config_selectorIN3c108BFloat16EEEZNS1_21segmented_reduce_implIS3_PKS6_PS6_PKiS6_N6hipcub16HIPCUB_304000_NS6detail27convert_result_type_wrapperISA_SB_N2at6native12_GLOBAL__N_19CustomMinEEEEE10hipError_tPvRmT0_T1_jT2_SS_T4_T3_P12ihipStream_tbEUlT_E_NS1_11comp_targetILNS1_3genE3ELNS1_11target_archE908ELNS1_3gpuE7ELNS1_3repE0EEENS1_30default_config_static_selectorELNS0_4arch9wavefront6targetE0EEEvSR_,"axG",@progbits,_ZN7rocprim17ROCPRIM_400000_NS6detail17trampoline_kernelINS0_14default_configENS1_32segmented_reduce_config_selectorIN3c108BFloat16EEEZNS1_21segmented_reduce_implIS3_PKS6_PS6_PKiS6_N6hipcub16HIPCUB_304000_NS6detail27convert_result_type_wrapperISA_SB_N2at6native12_GLOBAL__N_19CustomMinEEEEE10hipError_tPvRmT0_T1_jT2_SS_T4_T3_P12ihipStream_tbEUlT_E_NS1_11comp_targetILNS1_3genE3ELNS1_11target_archE908ELNS1_3gpuE7ELNS1_3repE0EEENS1_30default_config_static_selectorELNS0_4arch9wavefront6targetE0EEEvSR_,comdat
	.globl	_ZN7rocprim17ROCPRIM_400000_NS6detail17trampoline_kernelINS0_14default_configENS1_32segmented_reduce_config_selectorIN3c108BFloat16EEEZNS1_21segmented_reduce_implIS3_PKS6_PS6_PKiS6_N6hipcub16HIPCUB_304000_NS6detail27convert_result_type_wrapperISA_SB_N2at6native12_GLOBAL__N_19CustomMinEEEEE10hipError_tPvRmT0_T1_jT2_SS_T4_T3_P12ihipStream_tbEUlT_E_NS1_11comp_targetILNS1_3genE3ELNS1_11target_archE908ELNS1_3gpuE7ELNS1_3repE0EEENS1_30default_config_static_selectorELNS0_4arch9wavefront6targetE0EEEvSR_ ; -- Begin function _ZN7rocprim17ROCPRIM_400000_NS6detail17trampoline_kernelINS0_14default_configENS1_32segmented_reduce_config_selectorIN3c108BFloat16EEEZNS1_21segmented_reduce_implIS3_PKS6_PS6_PKiS6_N6hipcub16HIPCUB_304000_NS6detail27convert_result_type_wrapperISA_SB_N2at6native12_GLOBAL__N_19CustomMinEEEEE10hipError_tPvRmT0_T1_jT2_SS_T4_T3_P12ihipStream_tbEUlT_E_NS1_11comp_targetILNS1_3genE3ELNS1_11target_archE908ELNS1_3gpuE7ELNS1_3repE0EEENS1_30default_config_static_selectorELNS0_4arch9wavefront6targetE0EEEvSR_
	.p2align	8
	.type	_ZN7rocprim17ROCPRIM_400000_NS6detail17trampoline_kernelINS0_14default_configENS1_32segmented_reduce_config_selectorIN3c108BFloat16EEEZNS1_21segmented_reduce_implIS3_PKS6_PS6_PKiS6_N6hipcub16HIPCUB_304000_NS6detail27convert_result_type_wrapperISA_SB_N2at6native12_GLOBAL__N_19CustomMinEEEEE10hipError_tPvRmT0_T1_jT2_SS_T4_T3_P12ihipStream_tbEUlT_E_NS1_11comp_targetILNS1_3genE3ELNS1_11target_archE908ELNS1_3gpuE7ELNS1_3repE0EEENS1_30default_config_static_selectorELNS0_4arch9wavefront6targetE0EEEvSR_,@function
_ZN7rocprim17ROCPRIM_400000_NS6detail17trampoline_kernelINS0_14default_configENS1_32segmented_reduce_config_selectorIN3c108BFloat16EEEZNS1_21segmented_reduce_implIS3_PKS6_PS6_PKiS6_N6hipcub16HIPCUB_304000_NS6detail27convert_result_type_wrapperISA_SB_N2at6native12_GLOBAL__N_19CustomMinEEEEE10hipError_tPvRmT0_T1_jT2_SS_T4_T3_P12ihipStream_tbEUlT_E_NS1_11comp_targetILNS1_3genE3ELNS1_11target_archE908ELNS1_3gpuE7ELNS1_3repE0EEENS1_30default_config_static_selectorELNS0_4arch9wavefront6targetE0EEEvSR_: ; @_ZN7rocprim17ROCPRIM_400000_NS6detail17trampoline_kernelINS0_14default_configENS1_32segmented_reduce_config_selectorIN3c108BFloat16EEEZNS1_21segmented_reduce_implIS3_PKS6_PS6_PKiS6_N6hipcub16HIPCUB_304000_NS6detail27convert_result_type_wrapperISA_SB_N2at6native12_GLOBAL__N_19CustomMinEEEEE10hipError_tPvRmT0_T1_jT2_SS_T4_T3_P12ihipStream_tbEUlT_E_NS1_11comp_targetILNS1_3genE3ELNS1_11target_archE908ELNS1_3gpuE7ELNS1_3repE0EEENS1_30default_config_static_selectorELNS0_4arch9wavefront6targetE0EEEvSR_
; %bb.0:
	.section	.rodata,"a",@progbits
	.p2align	6, 0x0
	.amdhsa_kernel _ZN7rocprim17ROCPRIM_400000_NS6detail17trampoline_kernelINS0_14default_configENS1_32segmented_reduce_config_selectorIN3c108BFloat16EEEZNS1_21segmented_reduce_implIS3_PKS6_PS6_PKiS6_N6hipcub16HIPCUB_304000_NS6detail27convert_result_type_wrapperISA_SB_N2at6native12_GLOBAL__N_19CustomMinEEEEE10hipError_tPvRmT0_T1_jT2_SS_T4_T3_P12ihipStream_tbEUlT_E_NS1_11comp_targetILNS1_3genE3ELNS1_11target_archE908ELNS1_3gpuE7ELNS1_3repE0EEENS1_30default_config_static_selectorELNS0_4arch9wavefront6targetE0EEEvSR_
		.amdhsa_group_segment_fixed_size 0
		.amdhsa_private_segment_fixed_size 0
		.amdhsa_kernarg_size 48
		.amdhsa_user_sgpr_count 6
		.amdhsa_user_sgpr_private_segment_buffer 1
		.amdhsa_user_sgpr_dispatch_ptr 0
		.amdhsa_user_sgpr_queue_ptr 0
		.amdhsa_user_sgpr_kernarg_segment_ptr 1
		.amdhsa_user_sgpr_dispatch_id 0
		.amdhsa_user_sgpr_flat_scratch_init 0
		.amdhsa_user_sgpr_private_segment_size 0
		.amdhsa_wavefront_size32 1
		.amdhsa_uses_dynamic_stack 0
		.amdhsa_system_sgpr_private_segment_wavefront_offset 0
		.amdhsa_system_sgpr_workgroup_id_x 1
		.amdhsa_system_sgpr_workgroup_id_y 0
		.amdhsa_system_sgpr_workgroup_id_z 0
		.amdhsa_system_sgpr_workgroup_info 0
		.amdhsa_system_vgpr_workitem_id 0
		.amdhsa_next_free_vgpr 1
		.amdhsa_next_free_sgpr 1
		.amdhsa_reserve_vcc 0
		.amdhsa_reserve_flat_scratch 0
		.amdhsa_float_round_mode_32 0
		.amdhsa_float_round_mode_16_64 0
		.amdhsa_float_denorm_mode_32 3
		.amdhsa_float_denorm_mode_16_64 3
		.amdhsa_dx10_clamp 1
		.amdhsa_ieee_mode 1
		.amdhsa_fp16_overflow 0
		.amdhsa_workgroup_processor_mode 1
		.amdhsa_memory_ordered 1
		.amdhsa_forward_progress 1
		.amdhsa_shared_vgpr_count 0
		.amdhsa_exception_fp_ieee_invalid_op 0
		.amdhsa_exception_fp_denorm_src 0
		.amdhsa_exception_fp_ieee_div_zero 0
		.amdhsa_exception_fp_ieee_overflow 0
		.amdhsa_exception_fp_ieee_underflow 0
		.amdhsa_exception_fp_ieee_inexact 0
		.amdhsa_exception_int_div_zero 0
	.end_amdhsa_kernel
	.section	.text._ZN7rocprim17ROCPRIM_400000_NS6detail17trampoline_kernelINS0_14default_configENS1_32segmented_reduce_config_selectorIN3c108BFloat16EEEZNS1_21segmented_reduce_implIS3_PKS6_PS6_PKiS6_N6hipcub16HIPCUB_304000_NS6detail27convert_result_type_wrapperISA_SB_N2at6native12_GLOBAL__N_19CustomMinEEEEE10hipError_tPvRmT0_T1_jT2_SS_T4_T3_P12ihipStream_tbEUlT_E_NS1_11comp_targetILNS1_3genE3ELNS1_11target_archE908ELNS1_3gpuE7ELNS1_3repE0EEENS1_30default_config_static_selectorELNS0_4arch9wavefront6targetE0EEEvSR_,"axG",@progbits,_ZN7rocprim17ROCPRIM_400000_NS6detail17trampoline_kernelINS0_14default_configENS1_32segmented_reduce_config_selectorIN3c108BFloat16EEEZNS1_21segmented_reduce_implIS3_PKS6_PS6_PKiS6_N6hipcub16HIPCUB_304000_NS6detail27convert_result_type_wrapperISA_SB_N2at6native12_GLOBAL__N_19CustomMinEEEEE10hipError_tPvRmT0_T1_jT2_SS_T4_T3_P12ihipStream_tbEUlT_E_NS1_11comp_targetILNS1_3genE3ELNS1_11target_archE908ELNS1_3gpuE7ELNS1_3repE0EEENS1_30default_config_static_selectorELNS0_4arch9wavefront6targetE0EEEvSR_,comdat
.Lfunc_end132:
	.size	_ZN7rocprim17ROCPRIM_400000_NS6detail17trampoline_kernelINS0_14default_configENS1_32segmented_reduce_config_selectorIN3c108BFloat16EEEZNS1_21segmented_reduce_implIS3_PKS6_PS6_PKiS6_N6hipcub16HIPCUB_304000_NS6detail27convert_result_type_wrapperISA_SB_N2at6native12_GLOBAL__N_19CustomMinEEEEE10hipError_tPvRmT0_T1_jT2_SS_T4_T3_P12ihipStream_tbEUlT_E_NS1_11comp_targetILNS1_3genE3ELNS1_11target_archE908ELNS1_3gpuE7ELNS1_3repE0EEENS1_30default_config_static_selectorELNS0_4arch9wavefront6targetE0EEEvSR_, .Lfunc_end132-_ZN7rocprim17ROCPRIM_400000_NS6detail17trampoline_kernelINS0_14default_configENS1_32segmented_reduce_config_selectorIN3c108BFloat16EEEZNS1_21segmented_reduce_implIS3_PKS6_PS6_PKiS6_N6hipcub16HIPCUB_304000_NS6detail27convert_result_type_wrapperISA_SB_N2at6native12_GLOBAL__N_19CustomMinEEEEE10hipError_tPvRmT0_T1_jT2_SS_T4_T3_P12ihipStream_tbEUlT_E_NS1_11comp_targetILNS1_3genE3ELNS1_11target_archE908ELNS1_3gpuE7ELNS1_3repE0EEENS1_30default_config_static_selectorELNS0_4arch9wavefront6targetE0EEEvSR_
                                        ; -- End function
	.set _ZN7rocprim17ROCPRIM_400000_NS6detail17trampoline_kernelINS0_14default_configENS1_32segmented_reduce_config_selectorIN3c108BFloat16EEEZNS1_21segmented_reduce_implIS3_PKS6_PS6_PKiS6_N6hipcub16HIPCUB_304000_NS6detail27convert_result_type_wrapperISA_SB_N2at6native12_GLOBAL__N_19CustomMinEEEEE10hipError_tPvRmT0_T1_jT2_SS_T4_T3_P12ihipStream_tbEUlT_E_NS1_11comp_targetILNS1_3genE3ELNS1_11target_archE908ELNS1_3gpuE7ELNS1_3repE0EEENS1_30default_config_static_selectorELNS0_4arch9wavefront6targetE0EEEvSR_.num_vgpr, 0
	.set _ZN7rocprim17ROCPRIM_400000_NS6detail17trampoline_kernelINS0_14default_configENS1_32segmented_reduce_config_selectorIN3c108BFloat16EEEZNS1_21segmented_reduce_implIS3_PKS6_PS6_PKiS6_N6hipcub16HIPCUB_304000_NS6detail27convert_result_type_wrapperISA_SB_N2at6native12_GLOBAL__N_19CustomMinEEEEE10hipError_tPvRmT0_T1_jT2_SS_T4_T3_P12ihipStream_tbEUlT_E_NS1_11comp_targetILNS1_3genE3ELNS1_11target_archE908ELNS1_3gpuE7ELNS1_3repE0EEENS1_30default_config_static_selectorELNS0_4arch9wavefront6targetE0EEEvSR_.num_agpr, 0
	.set _ZN7rocprim17ROCPRIM_400000_NS6detail17trampoline_kernelINS0_14default_configENS1_32segmented_reduce_config_selectorIN3c108BFloat16EEEZNS1_21segmented_reduce_implIS3_PKS6_PS6_PKiS6_N6hipcub16HIPCUB_304000_NS6detail27convert_result_type_wrapperISA_SB_N2at6native12_GLOBAL__N_19CustomMinEEEEE10hipError_tPvRmT0_T1_jT2_SS_T4_T3_P12ihipStream_tbEUlT_E_NS1_11comp_targetILNS1_3genE3ELNS1_11target_archE908ELNS1_3gpuE7ELNS1_3repE0EEENS1_30default_config_static_selectorELNS0_4arch9wavefront6targetE0EEEvSR_.numbered_sgpr, 0
	.set _ZN7rocprim17ROCPRIM_400000_NS6detail17trampoline_kernelINS0_14default_configENS1_32segmented_reduce_config_selectorIN3c108BFloat16EEEZNS1_21segmented_reduce_implIS3_PKS6_PS6_PKiS6_N6hipcub16HIPCUB_304000_NS6detail27convert_result_type_wrapperISA_SB_N2at6native12_GLOBAL__N_19CustomMinEEEEE10hipError_tPvRmT0_T1_jT2_SS_T4_T3_P12ihipStream_tbEUlT_E_NS1_11comp_targetILNS1_3genE3ELNS1_11target_archE908ELNS1_3gpuE7ELNS1_3repE0EEENS1_30default_config_static_selectorELNS0_4arch9wavefront6targetE0EEEvSR_.num_named_barrier, 0
	.set _ZN7rocprim17ROCPRIM_400000_NS6detail17trampoline_kernelINS0_14default_configENS1_32segmented_reduce_config_selectorIN3c108BFloat16EEEZNS1_21segmented_reduce_implIS3_PKS6_PS6_PKiS6_N6hipcub16HIPCUB_304000_NS6detail27convert_result_type_wrapperISA_SB_N2at6native12_GLOBAL__N_19CustomMinEEEEE10hipError_tPvRmT0_T1_jT2_SS_T4_T3_P12ihipStream_tbEUlT_E_NS1_11comp_targetILNS1_3genE3ELNS1_11target_archE908ELNS1_3gpuE7ELNS1_3repE0EEENS1_30default_config_static_selectorELNS0_4arch9wavefront6targetE0EEEvSR_.private_seg_size, 0
	.set _ZN7rocprim17ROCPRIM_400000_NS6detail17trampoline_kernelINS0_14default_configENS1_32segmented_reduce_config_selectorIN3c108BFloat16EEEZNS1_21segmented_reduce_implIS3_PKS6_PS6_PKiS6_N6hipcub16HIPCUB_304000_NS6detail27convert_result_type_wrapperISA_SB_N2at6native12_GLOBAL__N_19CustomMinEEEEE10hipError_tPvRmT0_T1_jT2_SS_T4_T3_P12ihipStream_tbEUlT_E_NS1_11comp_targetILNS1_3genE3ELNS1_11target_archE908ELNS1_3gpuE7ELNS1_3repE0EEENS1_30default_config_static_selectorELNS0_4arch9wavefront6targetE0EEEvSR_.uses_vcc, 0
	.set _ZN7rocprim17ROCPRIM_400000_NS6detail17trampoline_kernelINS0_14default_configENS1_32segmented_reduce_config_selectorIN3c108BFloat16EEEZNS1_21segmented_reduce_implIS3_PKS6_PS6_PKiS6_N6hipcub16HIPCUB_304000_NS6detail27convert_result_type_wrapperISA_SB_N2at6native12_GLOBAL__N_19CustomMinEEEEE10hipError_tPvRmT0_T1_jT2_SS_T4_T3_P12ihipStream_tbEUlT_E_NS1_11comp_targetILNS1_3genE3ELNS1_11target_archE908ELNS1_3gpuE7ELNS1_3repE0EEENS1_30default_config_static_selectorELNS0_4arch9wavefront6targetE0EEEvSR_.uses_flat_scratch, 0
	.set _ZN7rocprim17ROCPRIM_400000_NS6detail17trampoline_kernelINS0_14default_configENS1_32segmented_reduce_config_selectorIN3c108BFloat16EEEZNS1_21segmented_reduce_implIS3_PKS6_PS6_PKiS6_N6hipcub16HIPCUB_304000_NS6detail27convert_result_type_wrapperISA_SB_N2at6native12_GLOBAL__N_19CustomMinEEEEE10hipError_tPvRmT0_T1_jT2_SS_T4_T3_P12ihipStream_tbEUlT_E_NS1_11comp_targetILNS1_3genE3ELNS1_11target_archE908ELNS1_3gpuE7ELNS1_3repE0EEENS1_30default_config_static_selectorELNS0_4arch9wavefront6targetE0EEEvSR_.has_dyn_sized_stack, 0
	.set _ZN7rocprim17ROCPRIM_400000_NS6detail17trampoline_kernelINS0_14default_configENS1_32segmented_reduce_config_selectorIN3c108BFloat16EEEZNS1_21segmented_reduce_implIS3_PKS6_PS6_PKiS6_N6hipcub16HIPCUB_304000_NS6detail27convert_result_type_wrapperISA_SB_N2at6native12_GLOBAL__N_19CustomMinEEEEE10hipError_tPvRmT0_T1_jT2_SS_T4_T3_P12ihipStream_tbEUlT_E_NS1_11comp_targetILNS1_3genE3ELNS1_11target_archE908ELNS1_3gpuE7ELNS1_3repE0EEENS1_30default_config_static_selectorELNS0_4arch9wavefront6targetE0EEEvSR_.has_recursion, 0
	.set _ZN7rocprim17ROCPRIM_400000_NS6detail17trampoline_kernelINS0_14default_configENS1_32segmented_reduce_config_selectorIN3c108BFloat16EEEZNS1_21segmented_reduce_implIS3_PKS6_PS6_PKiS6_N6hipcub16HIPCUB_304000_NS6detail27convert_result_type_wrapperISA_SB_N2at6native12_GLOBAL__N_19CustomMinEEEEE10hipError_tPvRmT0_T1_jT2_SS_T4_T3_P12ihipStream_tbEUlT_E_NS1_11comp_targetILNS1_3genE3ELNS1_11target_archE908ELNS1_3gpuE7ELNS1_3repE0EEENS1_30default_config_static_selectorELNS0_4arch9wavefront6targetE0EEEvSR_.has_indirect_call, 0
	.section	.AMDGPU.csdata,"",@progbits
; Kernel info:
; codeLenInByte = 0
; TotalNumSgprs: 0
; NumVgprs: 0
; ScratchSize: 0
; MemoryBound: 0
; FloatMode: 240
; IeeeMode: 1
; LDSByteSize: 0 bytes/workgroup (compile time only)
; SGPRBlocks: 0
; VGPRBlocks: 0
; NumSGPRsForWavesPerEU: 1
; NumVGPRsForWavesPerEU: 1
; Occupancy: 16
; WaveLimiterHint : 0
; COMPUTE_PGM_RSRC2:SCRATCH_EN: 0
; COMPUTE_PGM_RSRC2:USER_SGPR: 6
; COMPUTE_PGM_RSRC2:TRAP_HANDLER: 0
; COMPUTE_PGM_RSRC2:TGID_X_EN: 1
; COMPUTE_PGM_RSRC2:TGID_Y_EN: 0
; COMPUTE_PGM_RSRC2:TGID_Z_EN: 0
; COMPUTE_PGM_RSRC2:TIDIG_COMP_CNT: 0
	.section	.text._ZN7rocprim17ROCPRIM_400000_NS6detail17trampoline_kernelINS0_14default_configENS1_32segmented_reduce_config_selectorIN3c108BFloat16EEEZNS1_21segmented_reduce_implIS3_PKS6_PS6_PKiS6_N6hipcub16HIPCUB_304000_NS6detail27convert_result_type_wrapperISA_SB_N2at6native12_GLOBAL__N_19CustomMinEEEEE10hipError_tPvRmT0_T1_jT2_SS_T4_T3_P12ihipStream_tbEUlT_E_NS1_11comp_targetILNS1_3genE2ELNS1_11target_archE906ELNS1_3gpuE6ELNS1_3repE0EEENS1_30default_config_static_selectorELNS0_4arch9wavefront6targetE0EEEvSR_,"axG",@progbits,_ZN7rocprim17ROCPRIM_400000_NS6detail17trampoline_kernelINS0_14default_configENS1_32segmented_reduce_config_selectorIN3c108BFloat16EEEZNS1_21segmented_reduce_implIS3_PKS6_PS6_PKiS6_N6hipcub16HIPCUB_304000_NS6detail27convert_result_type_wrapperISA_SB_N2at6native12_GLOBAL__N_19CustomMinEEEEE10hipError_tPvRmT0_T1_jT2_SS_T4_T3_P12ihipStream_tbEUlT_E_NS1_11comp_targetILNS1_3genE2ELNS1_11target_archE906ELNS1_3gpuE6ELNS1_3repE0EEENS1_30default_config_static_selectorELNS0_4arch9wavefront6targetE0EEEvSR_,comdat
	.globl	_ZN7rocprim17ROCPRIM_400000_NS6detail17trampoline_kernelINS0_14default_configENS1_32segmented_reduce_config_selectorIN3c108BFloat16EEEZNS1_21segmented_reduce_implIS3_PKS6_PS6_PKiS6_N6hipcub16HIPCUB_304000_NS6detail27convert_result_type_wrapperISA_SB_N2at6native12_GLOBAL__N_19CustomMinEEEEE10hipError_tPvRmT0_T1_jT2_SS_T4_T3_P12ihipStream_tbEUlT_E_NS1_11comp_targetILNS1_3genE2ELNS1_11target_archE906ELNS1_3gpuE6ELNS1_3repE0EEENS1_30default_config_static_selectorELNS0_4arch9wavefront6targetE0EEEvSR_ ; -- Begin function _ZN7rocprim17ROCPRIM_400000_NS6detail17trampoline_kernelINS0_14default_configENS1_32segmented_reduce_config_selectorIN3c108BFloat16EEEZNS1_21segmented_reduce_implIS3_PKS6_PS6_PKiS6_N6hipcub16HIPCUB_304000_NS6detail27convert_result_type_wrapperISA_SB_N2at6native12_GLOBAL__N_19CustomMinEEEEE10hipError_tPvRmT0_T1_jT2_SS_T4_T3_P12ihipStream_tbEUlT_E_NS1_11comp_targetILNS1_3genE2ELNS1_11target_archE906ELNS1_3gpuE6ELNS1_3repE0EEENS1_30default_config_static_selectorELNS0_4arch9wavefront6targetE0EEEvSR_
	.p2align	8
	.type	_ZN7rocprim17ROCPRIM_400000_NS6detail17trampoline_kernelINS0_14default_configENS1_32segmented_reduce_config_selectorIN3c108BFloat16EEEZNS1_21segmented_reduce_implIS3_PKS6_PS6_PKiS6_N6hipcub16HIPCUB_304000_NS6detail27convert_result_type_wrapperISA_SB_N2at6native12_GLOBAL__N_19CustomMinEEEEE10hipError_tPvRmT0_T1_jT2_SS_T4_T3_P12ihipStream_tbEUlT_E_NS1_11comp_targetILNS1_3genE2ELNS1_11target_archE906ELNS1_3gpuE6ELNS1_3repE0EEENS1_30default_config_static_selectorELNS0_4arch9wavefront6targetE0EEEvSR_,@function
_ZN7rocprim17ROCPRIM_400000_NS6detail17trampoline_kernelINS0_14default_configENS1_32segmented_reduce_config_selectorIN3c108BFloat16EEEZNS1_21segmented_reduce_implIS3_PKS6_PS6_PKiS6_N6hipcub16HIPCUB_304000_NS6detail27convert_result_type_wrapperISA_SB_N2at6native12_GLOBAL__N_19CustomMinEEEEE10hipError_tPvRmT0_T1_jT2_SS_T4_T3_P12ihipStream_tbEUlT_E_NS1_11comp_targetILNS1_3genE2ELNS1_11target_archE906ELNS1_3gpuE6ELNS1_3repE0EEENS1_30default_config_static_selectorELNS0_4arch9wavefront6targetE0EEEvSR_: ; @_ZN7rocprim17ROCPRIM_400000_NS6detail17trampoline_kernelINS0_14default_configENS1_32segmented_reduce_config_selectorIN3c108BFloat16EEEZNS1_21segmented_reduce_implIS3_PKS6_PS6_PKiS6_N6hipcub16HIPCUB_304000_NS6detail27convert_result_type_wrapperISA_SB_N2at6native12_GLOBAL__N_19CustomMinEEEEE10hipError_tPvRmT0_T1_jT2_SS_T4_T3_P12ihipStream_tbEUlT_E_NS1_11comp_targetILNS1_3genE2ELNS1_11target_archE906ELNS1_3gpuE6ELNS1_3repE0EEENS1_30default_config_static_selectorELNS0_4arch9wavefront6targetE0EEEvSR_
; %bb.0:
	.section	.rodata,"a",@progbits
	.p2align	6, 0x0
	.amdhsa_kernel _ZN7rocprim17ROCPRIM_400000_NS6detail17trampoline_kernelINS0_14default_configENS1_32segmented_reduce_config_selectorIN3c108BFloat16EEEZNS1_21segmented_reduce_implIS3_PKS6_PS6_PKiS6_N6hipcub16HIPCUB_304000_NS6detail27convert_result_type_wrapperISA_SB_N2at6native12_GLOBAL__N_19CustomMinEEEEE10hipError_tPvRmT0_T1_jT2_SS_T4_T3_P12ihipStream_tbEUlT_E_NS1_11comp_targetILNS1_3genE2ELNS1_11target_archE906ELNS1_3gpuE6ELNS1_3repE0EEENS1_30default_config_static_selectorELNS0_4arch9wavefront6targetE0EEEvSR_
		.amdhsa_group_segment_fixed_size 0
		.amdhsa_private_segment_fixed_size 0
		.amdhsa_kernarg_size 48
		.amdhsa_user_sgpr_count 6
		.amdhsa_user_sgpr_private_segment_buffer 1
		.amdhsa_user_sgpr_dispatch_ptr 0
		.amdhsa_user_sgpr_queue_ptr 0
		.amdhsa_user_sgpr_kernarg_segment_ptr 1
		.amdhsa_user_sgpr_dispatch_id 0
		.amdhsa_user_sgpr_flat_scratch_init 0
		.amdhsa_user_sgpr_private_segment_size 0
		.amdhsa_wavefront_size32 1
		.amdhsa_uses_dynamic_stack 0
		.amdhsa_system_sgpr_private_segment_wavefront_offset 0
		.amdhsa_system_sgpr_workgroup_id_x 1
		.amdhsa_system_sgpr_workgroup_id_y 0
		.amdhsa_system_sgpr_workgroup_id_z 0
		.amdhsa_system_sgpr_workgroup_info 0
		.amdhsa_system_vgpr_workitem_id 0
		.amdhsa_next_free_vgpr 1
		.amdhsa_next_free_sgpr 1
		.amdhsa_reserve_vcc 0
		.amdhsa_reserve_flat_scratch 0
		.amdhsa_float_round_mode_32 0
		.amdhsa_float_round_mode_16_64 0
		.amdhsa_float_denorm_mode_32 3
		.amdhsa_float_denorm_mode_16_64 3
		.amdhsa_dx10_clamp 1
		.amdhsa_ieee_mode 1
		.amdhsa_fp16_overflow 0
		.amdhsa_workgroup_processor_mode 1
		.amdhsa_memory_ordered 1
		.amdhsa_forward_progress 1
		.amdhsa_shared_vgpr_count 0
		.amdhsa_exception_fp_ieee_invalid_op 0
		.amdhsa_exception_fp_denorm_src 0
		.amdhsa_exception_fp_ieee_div_zero 0
		.amdhsa_exception_fp_ieee_overflow 0
		.amdhsa_exception_fp_ieee_underflow 0
		.amdhsa_exception_fp_ieee_inexact 0
		.amdhsa_exception_int_div_zero 0
	.end_amdhsa_kernel
	.section	.text._ZN7rocprim17ROCPRIM_400000_NS6detail17trampoline_kernelINS0_14default_configENS1_32segmented_reduce_config_selectorIN3c108BFloat16EEEZNS1_21segmented_reduce_implIS3_PKS6_PS6_PKiS6_N6hipcub16HIPCUB_304000_NS6detail27convert_result_type_wrapperISA_SB_N2at6native12_GLOBAL__N_19CustomMinEEEEE10hipError_tPvRmT0_T1_jT2_SS_T4_T3_P12ihipStream_tbEUlT_E_NS1_11comp_targetILNS1_3genE2ELNS1_11target_archE906ELNS1_3gpuE6ELNS1_3repE0EEENS1_30default_config_static_selectorELNS0_4arch9wavefront6targetE0EEEvSR_,"axG",@progbits,_ZN7rocprim17ROCPRIM_400000_NS6detail17trampoline_kernelINS0_14default_configENS1_32segmented_reduce_config_selectorIN3c108BFloat16EEEZNS1_21segmented_reduce_implIS3_PKS6_PS6_PKiS6_N6hipcub16HIPCUB_304000_NS6detail27convert_result_type_wrapperISA_SB_N2at6native12_GLOBAL__N_19CustomMinEEEEE10hipError_tPvRmT0_T1_jT2_SS_T4_T3_P12ihipStream_tbEUlT_E_NS1_11comp_targetILNS1_3genE2ELNS1_11target_archE906ELNS1_3gpuE6ELNS1_3repE0EEENS1_30default_config_static_selectorELNS0_4arch9wavefront6targetE0EEEvSR_,comdat
.Lfunc_end133:
	.size	_ZN7rocprim17ROCPRIM_400000_NS6detail17trampoline_kernelINS0_14default_configENS1_32segmented_reduce_config_selectorIN3c108BFloat16EEEZNS1_21segmented_reduce_implIS3_PKS6_PS6_PKiS6_N6hipcub16HIPCUB_304000_NS6detail27convert_result_type_wrapperISA_SB_N2at6native12_GLOBAL__N_19CustomMinEEEEE10hipError_tPvRmT0_T1_jT2_SS_T4_T3_P12ihipStream_tbEUlT_E_NS1_11comp_targetILNS1_3genE2ELNS1_11target_archE906ELNS1_3gpuE6ELNS1_3repE0EEENS1_30default_config_static_selectorELNS0_4arch9wavefront6targetE0EEEvSR_, .Lfunc_end133-_ZN7rocprim17ROCPRIM_400000_NS6detail17trampoline_kernelINS0_14default_configENS1_32segmented_reduce_config_selectorIN3c108BFloat16EEEZNS1_21segmented_reduce_implIS3_PKS6_PS6_PKiS6_N6hipcub16HIPCUB_304000_NS6detail27convert_result_type_wrapperISA_SB_N2at6native12_GLOBAL__N_19CustomMinEEEEE10hipError_tPvRmT0_T1_jT2_SS_T4_T3_P12ihipStream_tbEUlT_E_NS1_11comp_targetILNS1_3genE2ELNS1_11target_archE906ELNS1_3gpuE6ELNS1_3repE0EEENS1_30default_config_static_selectorELNS0_4arch9wavefront6targetE0EEEvSR_
                                        ; -- End function
	.set _ZN7rocprim17ROCPRIM_400000_NS6detail17trampoline_kernelINS0_14default_configENS1_32segmented_reduce_config_selectorIN3c108BFloat16EEEZNS1_21segmented_reduce_implIS3_PKS6_PS6_PKiS6_N6hipcub16HIPCUB_304000_NS6detail27convert_result_type_wrapperISA_SB_N2at6native12_GLOBAL__N_19CustomMinEEEEE10hipError_tPvRmT0_T1_jT2_SS_T4_T3_P12ihipStream_tbEUlT_E_NS1_11comp_targetILNS1_3genE2ELNS1_11target_archE906ELNS1_3gpuE6ELNS1_3repE0EEENS1_30default_config_static_selectorELNS0_4arch9wavefront6targetE0EEEvSR_.num_vgpr, 0
	.set _ZN7rocprim17ROCPRIM_400000_NS6detail17trampoline_kernelINS0_14default_configENS1_32segmented_reduce_config_selectorIN3c108BFloat16EEEZNS1_21segmented_reduce_implIS3_PKS6_PS6_PKiS6_N6hipcub16HIPCUB_304000_NS6detail27convert_result_type_wrapperISA_SB_N2at6native12_GLOBAL__N_19CustomMinEEEEE10hipError_tPvRmT0_T1_jT2_SS_T4_T3_P12ihipStream_tbEUlT_E_NS1_11comp_targetILNS1_3genE2ELNS1_11target_archE906ELNS1_3gpuE6ELNS1_3repE0EEENS1_30default_config_static_selectorELNS0_4arch9wavefront6targetE0EEEvSR_.num_agpr, 0
	.set _ZN7rocprim17ROCPRIM_400000_NS6detail17trampoline_kernelINS0_14default_configENS1_32segmented_reduce_config_selectorIN3c108BFloat16EEEZNS1_21segmented_reduce_implIS3_PKS6_PS6_PKiS6_N6hipcub16HIPCUB_304000_NS6detail27convert_result_type_wrapperISA_SB_N2at6native12_GLOBAL__N_19CustomMinEEEEE10hipError_tPvRmT0_T1_jT2_SS_T4_T3_P12ihipStream_tbEUlT_E_NS1_11comp_targetILNS1_3genE2ELNS1_11target_archE906ELNS1_3gpuE6ELNS1_3repE0EEENS1_30default_config_static_selectorELNS0_4arch9wavefront6targetE0EEEvSR_.numbered_sgpr, 0
	.set _ZN7rocprim17ROCPRIM_400000_NS6detail17trampoline_kernelINS0_14default_configENS1_32segmented_reduce_config_selectorIN3c108BFloat16EEEZNS1_21segmented_reduce_implIS3_PKS6_PS6_PKiS6_N6hipcub16HIPCUB_304000_NS6detail27convert_result_type_wrapperISA_SB_N2at6native12_GLOBAL__N_19CustomMinEEEEE10hipError_tPvRmT0_T1_jT2_SS_T4_T3_P12ihipStream_tbEUlT_E_NS1_11comp_targetILNS1_3genE2ELNS1_11target_archE906ELNS1_3gpuE6ELNS1_3repE0EEENS1_30default_config_static_selectorELNS0_4arch9wavefront6targetE0EEEvSR_.num_named_barrier, 0
	.set _ZN7rocprim17ROCPRIM_400000_NS6detail17trampoline_kernelINS0_14default_configENS1_32segmented_reduce_config_selectorIN3c108BFloat16EEEZNS1_21segmented_reduce_implIS3_PKS6_PS6_PKiS6_N6hipcub16HIPCUB_304000_NS6detail27convert_result_type_wrapperISA_SB_N2at6native12_GLOBAL__N_19CustomMinEEEEE10hipError_tPvRmT0_T1_jT2_SS_T4_T3_P12ihipStream_tbEUlT_E_NS1_11comp_targetILNS1_3genE2ELNS1_11target_archE906ELNS1_3gpuE6ELNS1_3repE0EEENS1_30default_config_static_selectorELNS0_4arch9wavefront6targetE0EEEvSR_.private_seg_size, 0
	.set _ZN7rocprim17ROCPRIM_400000_NS6detail17trampoline_kernelINS0_14default_configENS1_32segmented_reduce_config_selectorIN3c108BFloat16EEEZNS1_21segmented_reduce_implIS3_PKS6_PS6_PKiS6_N6hipcub16HIPCUB_304000_NS6detail27convert_result_type_wrapperISA_SB_N2at6native12_GLOBAL__N_19CustomMinEEEEE10hipError_tPvRmT0_T1_jT2_SS_T4_T3_P12ihipStream_tbEUlT_E_NS1_11comp_targetILNS1_3genE2ELNS1_11target_archE906ELNS1_3gpuE6ELNS1_3repE0EEENS1_30default_config_static_selectorELNS0_4arch9wavefront6targetE0EEEvSR_.uses_vcc, 0
	.set _ZN7rocprim17ROCPRIM_400000_NS6detail17trampoline_kernelINS0_14default_configENS1_32segmented_reduce_config_selectorIN3c108BFloat16EEEZNS1_21segmented_reduce_implIS3_PKS6_PS6_PKiS6_N6hipcub16HIPCUB_304000_NS6detail27convert_result_type_wrapperISA_SB_N2at6native12_GLOBAL__N_19CustomMinEEEEE10hipError_tPvRmT0_T1_jT2_SS_T4_T3_P12ihipStream_tbEUlT_E_NS1_11comp_targetILNS1_3genE2ELNS1_11target_archE906ELNS1_3gpuE6ELNS1_3repE0EEENS1_30default_config_static_selectorELNS0_4arch9wavefront6targetE0EEEvSR_.uses_flat_scratch, 0
	.set _ZN7rocprim17ROCPRIM_400000_NS6detail17trampoline_kernelINS0_14default_configENS1_32segmented_reduce_config_selectorIN3c108BFloat16EEEZNS1_21segmented_reduce_implIS3_PKS6_PS6_PKiS6_N6hipcub16HIPCUB_304000_NS6detail27convert_result_type_wrapperISA_SB_N2at6native12_GLOBAL__N_19CustomMinEEEEE10hipError_tPvRmT0_T1_jT2_SS_T4_T3_P12ihipStream_tbEUlT_E_NS1_11comp_targetILNS1_3genE2ELNS1_11target_archE906ELNS1_3gpuE6ELNS1_3repE0EEENS1_30default_config_static_selectorELNS0_4arch9wavefront6targetE0EEEvSR_.has_dyn_sized_stack, 0
	.set _ZN7rocprim17ROCPRIM_400000_NS6detail17trampoline_kernelINS0_14default_configENS1_32segmented_reduce_config_selectorIN3c108BFloat16EEEZNS1_21segmented_reduce_implIS3_PKS6_PS6_PKiS6_N6hipcub16HIPCUB_304000_NS6detail27convert_result_type_wrapperISA_SB_N2at6native12_GLOBAL__N_19CustomMinEEEEE10hipError_tPvRmT0_T1_jT2_SS_T4_T3_P12ihipStream_tbEUlT_E_NS1_11comp_targetILNS1_3genE2ELNS1_11target_archE906ELNS1_3gpuE6ELNS1_3repE0EEENS1_30default_config_static_selectorELNS0_4arch9wavefront6targetE0EEEvSR_.has_recursion, 0
	.set _ZN7rocprim17ROCPRIM_400000_NS6detail17trampoline_kernelINS0_14default_configENS1_32segmented_reduce_config_selectorIN3c108BFloat16EEEZNS1_21segmented_reduce_implIS3_PKS6_PS6_PKiS6_N6hipcub16HIPCUB_304000_NS6detail27convert_result_type_wrapperISA_SB_N2at6native12_GLOBAL__N_19CustomMinEEEEE10hipError_tPvRmT0_T1_jT2_SS_T4_T3_P12ihipStream_tbEUlT_E_NS1_11comp_targetILNS1_3genE2ELNS1_11target_archE906ELNS1_3gpuE6ELNS1_3repE0EEENS1_30default_config_static_selectorELNS0_4arch9wavefront6targetE0EEEvSR_.has_indirect_call, 0
	.section	.AMDGPU.csdata,"",@progbits
; Kernel info:
; codeLenInByte = 0
; TotalNumSgprs: 0
; NumVgprs: 0
; ScratchSize: 0
; MemoryBound: 0
; FloatMode: 240
; IeeeMode: 1
; LDSByteSize: 0 bytes/workgroup (compile time only)
; SGPRBlocks: 0
; VGPRBlocks: 0
; NumSGPRsForWavesPerEU: 1
; NumVGPRsForWavesPerEU: 1
; Occupancy: 16
; WaveLimiterHint : 0
; COMPUTE_PGM_RSRC2:SCRATCH_EN: 0
; COMPUTE_PGM_RSRC2:USER_SGPR: 6
; COMPUTE_PGM_RSRC2:TRAP_HANDLER: 0
; COMPUTE_PGM_RSRC2:TGID_X_EN: 1
; COMPUTE_PGM_RSRC2:TGID_Y_EN: 0
; COMPUTE_PGM_RSRC2:TGID_Z_EN: 0
; COMPUTE_PGM_RSRC2:TIDIG_COMP_CNT: 0
	.section	.text._ZN7rocprim17ROCPRIM_400000_NS6detail17trampoline_kernelINS0_14default_configENS1_32segmented_reduce_config_selectorIN3c108BFloat16EEEZNS1_21segmented_reduce_implIS3_PKS6_PS6_PKiS6_N6hipcub16HIPCUB_304000_NS6detail27convert_result_type_wrapperISA_SB_N2at6native12_GLOBAL__N_19CustomMinEEEEE10hipError_tPvRmT0_T1_jT2_SS_T4_T3_P12ihipStream_tbEUlT_E_NS1_11comp_targetILNS1_3genE9ELNS1_11target_archE1100ELNS1_3gpuE3ELNS1_3repE0EEENS1_30default_config_static_selectorELNS0_4arch9wavefront6targetE0EEEvSR_,"axG",@progbits,_ZN7rocprim17ROCPRIM_400000_NS6detail17trampoline_kernelINS0_14default_configENS1_32segmented_reduce_config_selectorIN3c108BFloat16EEEZNS1_21segmented_reduce_implIS3_PKS6_PS6_PKiS6_N6hipcub16HIPCUB_304000_NS6detail27convert_result_type_wrapperISA_SB_N2at6native12_GLOBAL__N_19CustomMinEEEEE10hipError_tPvRmT0_T1_jT2_SS_T4_T3_P12ihipStream_tbEUlT_E_NS1_11comp_targetILNS1_3genE9ELNS1_11target_archE1100ELNS1_3gpuE3ELNS1_3repE0EEENS1_30default_config_static_selectorELNS0_4arch9wavefront6targetE0EEEvSR_,comdat
	.globl	_ZN7rocprim17ROCPRIM_400000_NS6detail17trampoline_kernelINS0_14default_configENS1_32segmented_reduce_config_selectorIN3c108BFloat16EEEZNS1_21segmented_reduce_implIS3_PKS6_PS6_PKiS6_N6hipcub16HIPCUB_304000_NS6detail27convert_result_type_wrapperISA_SB_N2at6native12_GLOBAL__N_19CustomMinEEEEE10hipError_tPvRmT0_T1_jT2_SS_T4_T3_P12ihipStream_tbEUlT_E_NS1_11comp_targetILNS1_3genE9ELNS1_11target_archE1100ELNS1_3gpuE3ELNS1_3repE0EEENS1_30default_config_static_selectorELNS0_4arch9wavefront6targetE0EEEvSR_ ; -- Begin function _ZN7rocprim17ROCPRIM_400000_NS6detail17trampoline_kernelINS0_14default_configENS1_32segmented_reduce_config_selectorIN3c108BFloat16EEEZNS1_21segmented_reduce_implIS3_PKS6_PS6_PKiS6_N6hipcub16HIPCUB_304000_NS6detail27convert_result_type_wrapperISA_SB_N2at6native12_GLOBAL__N_19CustomMinEEEEE10hipError_tPvRmT0_T1_jT2_SS_T4_T3_P12ihipStream_tbEUlT_E_NS1_11comp_targetILNS1_3genE9ELNS1_11target_archE1100ELNS1_3gpuE3ELNS1_3repE0EEENS1_30default_config_static_selectorELNS0_4arch9wavefront6targetE0EEEvSR_
	.p2align	8
	.type	_ZN7rocprim17ROCPRIM_400000_NS6detail17trampoline_kernelINS0_14default_configENS1_32segmented_reduce_config_selectorIN3c108BFloat16EEEZNS1_21segmented_reduce_implIS3_PKS6_PS6_PKiS6_N6hipcub16HIPCUB_304000_NS6detail27convert_result_type_wrapperISA_SB_N2at6native12_GLOBAL__N_19CustomMinEEEEE10hipError_tPvRmT0_T1_jT2_SS_T4_T3_P12ihipStream_tbEUlT_E_NS1_11comp_targetILNS1_3genE9ELNS1_11target_archE1100ELNS1_3gpuE3ELNS1_3repE0EEENS1_30default_config_static_selectorELNS0_4arch9wavefront6targetE0EEEvSR_,@function
_ZN7rocprim17ROCPRIM_400000_NS6detail17trampoline_kernelINS0_14default_configENS1_32segmented_reduce_config_selectorIN3c108BFloat16EEEZNS1_21segmented_reduce_implIS3_PKS6_PS6_PKiS6_N6hipcub16HIPCUB_304000_NS6detail27convert_result_type_wrapperISA_SB_N2at6native12_GLOBAL__N_19CustomMinEEEEE10hipError_tPvRmT0_T1_jT2_SS_T4_T3_P12ihipStream_tbEUlT_E_NS1_11comp_targetILNS1_3genE9ELNS1_11target_archE1100ELNS1_3gpuE3ELNS1_3repE0EEENS1_30default_config_static_selectorELNS0_4arch9wavefront6targetE0EEEvSR_: ; @_ZN7rocprim17ROCPRIM_400000_NS6detail17trampoline_kernelINS0_14default_configENS1_32segmented_reduce_config_selectorIN3c108BFloat16EEEZNS1_21segmented_reduce_implIS3_PKS6_PS6_PKiS6_N6hipcub16HIPCUB_304000_NS6detail27convert_result_type_wrapperISA_SB_N2at6native12_GLOBAL__N_19CustomMinEEEEE10hipError_tPvRmT0_T1_jT2_SS_T4_T3_P12ihipStream_tbEUlT_E_NS1_11comp_targetILNS1_3genE9ELNS1_11target_archE1100ELNS1_3gpuE3ELNS1_3repE0EEENS1_30default_config_static_selectorELNS0_4arch9wavefront6targetE0EEEvSR_
; %bb.0:
	.section	.rodata,"a",@progbits
	.p2align	6, 0x0
	.amdhsa_kernel _ZN7rocprim17ROCPRIM_400000_NS6detail17trampoline_kernelINS0_14default_configENS1_32segmented_reduce_config_selectorIN3c108BFloat16EEEZNS1_21segmented_reduce_implIS3_PKS6_PS6_PKiS6_N6hipcub16HIPCUB_304000_NS6detail27convert_result_type_wrapperISA_SB_N2at6native12_GLOBAL__N_19CustomMinEEEEE10hipError_tPvRmT0_T1_jT2_SS_T4_T3_P12ihipStream_tbEUlT_E_NS1_11comp_targetILNS1_3genE9ELNS1_11target_archE1100ELNS1_3gpuE3ELNS1_3repE0EEENS1_30default_config_static_selectorELNS0_4arch9wavefront6targetE0EEEvSR_
		.amdhsa_group_segment_fixed_size 0
		.amdhsa_private_segment_fixed_size 0
		.amdhsa_kernarg_size 48
		.amdhsa_user_sgpr_count 6
		.amdhsa_user_sgpr_private_segment_buffer 1
		.amdhsa_user_sgpr_dispatch_ptr 0
		.amdhsa_user_sgpr_queue_ptr 0
		.amdhsa_user_sgpr_kernarg_segment_ptr 1
		.amdhsa_user_sgpr_dispatch_id 0
		.amdhsa_user_sgpr_flat_scratch_init 0
		.amdhsa_user_sgpr_private_segment_size 0
		.amdhsa_wavefront_size32 1
		.amdhsa_uses_dynamic_stack 0
		.amdhsa_system_sgpr_private_segment_wavefront_offset 0
		.amdhsa_system_sgpr_workgroup_id_x 1
		.amdhsa_system_sgpr_workgroup_id_y 0
		.amdhsa_system_sgpr_workgroup_id_z 0
		.amdhsa_system_sgpr_workgroup_info 0
		.amdhsa_system_vgpr_workitem_id 0
		.amdhsa_next_free_vgpr 1
		.amdhsa_next_free_sgpr 1
		.amdhsa_reserve_vcc 0
		.amdhsa_reserve_flat_scratch 0
		.amdhsa_float_round_mode_32 0
		.amdhsa_float_round_mode_16_64 0
		.amdhsa_float_denorm_mode_32 3
		.amdhsa_float_denorm_mode_16_64 3
		.amdhsa_dx10_clamp 1
		.amdhsa_ieee_mode 1
		.amdhsa_fp16_overflow 0
		.amdhsa_workgroup_processor_mode 1
		.amdhsa_memory_ordered 1
		.amdhsa_forward_progress 1
		.amdhsa_shared_vgpr_count 0
		.amdhsa_exception_fp_ieee_invalid_op 0
		.amdhsa_exception_fp_denorm_src 0
		.amdhsa_exception_fp_ieee_div_zero 0
		.amdhsa_exception_fp_ieee_overflow 0
		.amdhsa_exception_fp_ieee_underflow 0
		.amdhsa_exception_fp_ieee_inexact 0
		.amdhsa_exception_int_div_zero 0
	.end_amdhsa_kernel
	.section	.text._ZN7rocprim17ROCPRIM_400000_NS6detail17trampoline_kernelINS0_14default_configENS1_32segmented_reduce_config_selectorIN3c108BFloat16EEEZNS1_21segmented_reduce_implIS3_PKS6_PS6_PKiS6_N6hipcub16HIPCUB_304000_NS6detail27convert_result_type_wrapperISA_SB_N2at6native12_GLOBAL__N_19CustomMinEEEEE10hipError_tPvRmT0_T1_jT2_SS_T4_T3_P12ihipStream_tbEUlT_E_NS1_11comp_targetILNS1_3genE9ELNS1_11target_archE1100ELNS1_3gpuE3ELNS1_3repE0EEENS1_30default_config_static_selectorELNS0_4arch9wavefront6targetE0EEEvSR_,"axG",@progbits,_ZN7rocprim17ROCPRIM_400000_NS6detail17trampoline_kernelINS0_14default_configENS1_32segmented_reduce_config_selectorIN3c108BFloat16EEEZNS1_21segmented_reduce_implIS3_PKS6_PS6_PKiS6_N6hipcub16HIPCUB_304000_NS6detail27convert_result_type_wrapperISA_SB_N2at6native12_GLOBAL__N_19CustomMinEEEEE10hipError_tPvRmT0_T1_jT2_SS_T4_T3_P12ihipStream_tbEUlT_E_NS1_11comp_targetILNS1_3genE9ELNS1_11target_archE1100ELNS1_3gpuE3ELNS1_3repE0EEENS1_30default_config_static_selectorELNS0_4arch9wavefront6targetE0EEEvSR_,comdat
.Lfunc_end134:
	.size	_ZN7rocprim17ROCPRIM_400000_NS6detail17trampoline_kernelINS0_14default_configENS1_32segmented_reduce_config_selectorIN3c108BFloat16EEEZNS1_21segmented_reduce_implIS3_PKS6_PS6_PKiS6_N6hipcub16HIPCUB_304000_NS6detail27convert_result_type_wrapperISA_SB_N2at6native12_GLOBAL__N_19CustomMinEEEEE10hipError_tPvRmT0_T1_jT2_SS_T4_T3_P12ihipStream_tbEUlT_E_NS1_11comp_targetILNS1_3genE9ELNS1_11target_archE1100ELNS1_3gpuE3ELNS1_3repE0EEENS1_30default_config_static_selectorELNS0_4arch9wavefront6targetE0EEEvSR_, .Lfunc_end134-_ZN7rocprim17ROCPRIM_400000_NS6detail17trampoline_kernelINS0_14default_configENS1_32segmented_reduce_config_selectorIN3c108BFloat16EEEZNS1_21segmented_reduce_implIS3_PKS6_PS6_PKiS6_N6hipcub16HIPCUB_304000_NS6detail27convert_result_type_wrapperISA_SB_N2at6native12_GLOBAL__N_19CustomMinEEEEE10hipError_tPvRmT0_T1_jT2_SS_T4_T3_P12ihipStream_tbEUlT_E_NS1_11comp_targetILNS1_3genE9ELNS1_11target_archE1100ELNS1_3gpuE3ELNS1_3repE0EEENS1_30default_config_static_selectorELNS0_4arch9wavefront6targetE0EEEvSR_
                                        ; -- End function
	.set _ZN7rocprim17ROCPRIM_400000_NS6detail17trampoline_kernelINS0_14default_configENS1_32segmented_reduce_config_selectorIN3c108BFloat16EEEZNS1_21segmented_reduce_implIS3_PKS6_PS6_PKiS6_N6hipcub16HIPCUB_304000_NS6detail27convert_result_type_wrapperISA_SB_N2at6native12_GLOBAL__N_19CustomMinEEEEE10hipError_tPvRmT0_T1_jT2_SS_T4_T3_P12ihipStream_tbEUlT_E_NS1_11comp_targetILNS1_3genE9ELNS1_11target_archE1100ELNS1_3gpuE3ELNS1_3repE0EEENS1_30default_config_static_selectorELNS0_4arch9wavefront6targetE0EEEvSR_.num_vgpr, 0
	.set _ZN7rocprim17ROCPRIM_400000_NS6detail17trampoline_kernelINS0_14default_configENS1_32segmented_reduce_config_selectorIN3c108BFloat16EEEZNS1_21segmented_reduce_implIS3_PKS6_PS6_PKiS6_N6hipcub16HIPCUB_304000_NS6detail27convert_result_type_wrapperISA_SB_N2at6native12_GLOBAL__N_19CustomMinEEEEE10hipError_tPvRmT0_T1_jT2_SS_T4_T3_P12ihipStream_tbEUlT_E_NS1_11comp_targetILNS1_3genE9ELNS1_11target_archE1100ELNS1_3gpuE3ELNS1_3repE0EEENS1_30default_config_static_selectorELNS0_4arch9wavefront6targetE0EEEvSR_.num_agpr, 0
	.set _ZN7rocprim17ROCPRIM_400000_NS6detail17trampoline_kernelINS0_14default_configENS1_32segmented_reduce_config_selectorIN3c108BFloat16EEEZNS1_21segmented_reduce_implIS3_PKS6_PS6_PKiS6_N6hipcub16HIPCUB_304000_NS6detail27convert_result_type_wrapperISA_SB_N2at6native12_GLOBAL__N_19CustomMinEEEEE10hipError_tPvRmT0_T1_jT2_SS_T4_T3_P12ihipStream_tbEUlT_E_NS1_11comp_targetILNS1_3genE9ELNS1_11target_archE1100ELNS1_3gpuE3ELNS1_3repE0EEENS1_30default_config_static_selectorELNS0_4arch9wavefront6targetE0EEEvSR_.numbered_sgpr, 0
	.set _ZN7rocprim17ROCPRIM_400000_NS6detail17trampoline_kernelINS0_14default_configENS1_32segmented_reduce_config_selectorIN3c108BFloat16EEEZNS1_21segmented_reduce_implIS3_PKS6_PS6_PKiS6_N6hipcub16HIPCUB_304000_NS6detail27convert_result_type_wrapperISA_SB_N2at6native12_GLOBAL__N_19CustomMinEEEEE10hipError_tPvRmT0_T1_jT2_SS_T4_T3_P12ihipStream_tbEUlT_E_NS1_11comp_targetILNS1_3genE9ELNS1_11target_archE1100ELNS1_3gpuE3ELNS1_3repE0EEENS1_30default_config_static_selectorELNS0_4arch9wavefront6targetE0EEEvSR_.num_named_barrier, 0
	.set _ZN7rocprim17ROCPRIM_400000_NS6detail17trampoline_kernelINS0_14default_configENS1_32segmented_reduce_config_selectorIN3c108BFloat16EEEZNS1_21segmented_reduce_implIS3_PKS6_PS6_PKiS6_N6hipcub16HIPCUB_304000_NS6detail27convert_result_type_wrapperISA_SB_N2at6native12_GLOBAL__N_19CustomMinEEEEE10hipError_tPvRmT0_T1_jT2_SS_T4_T3_P12ihipStream_tbEUlT_E_NS1_11comp_targetILNS1_3genE9ELNS1_11target_archE1100ELNS1_3gpuE3ELNS1_3repE0EEENS1_30default_config_static_selectorELNS0_4arch9wavefront6targetE0EEEvSR_.private_seg_size, 0
	.set _ZN7rocprim17ROCPRIM_400000_NS6detail17trampoline_kernelINS0_14default_configENS1_32segmented_reduce_config_selectorIN3c108BFloat16EEEZNS1_21segmented_reduce_implIS3_PKS6_PS6_PKiS6_N6hipcub16HIPCUB_304000_NS6detail27convert_result_type_wrapperISA_SB_N2at6native12_GLOBAL__N_19CustomMinEEEEE10hipError_tPvRmT0_T1_jT2_SS_T4_T3_P12ihipStream_tbEUlT_E_NS1_11comp_targetILNS1_3genE9ELNS1_11target_archE1100ELNS1_3gpuE3ELNS1_3repE0EEENS1_30default_config_static_selectorELNS0_4arch9wavefront6targetE0EEEvSR_.uses_vcc, 0
	.set _ZN7rocprim17ROCPRIM_400000_NS6detail17trampoline_kernelINS0_14default_configENS1_32segmented_reduce_config_selectorIN3c108BFloat16EEEZNS1_21segmented_reduce_implIS3_PKS6_PS6_PKiS6_N6hipcub16HIPCUB_304000_NS6detail27convert_result_type_wrapperISA_SB_N2at6native12_GLOBAL__N_19CustomMinEEEEE10hipError_tPvRmT0_T1_jT2_SS_T4_T3_P12ihipStream_tbEUlT_E_NS1_11comp_targetILNS1_3genE9ELNS1_11target_archE1100ELNS1_3gpuE3ELNS1_3repE0EEENS1_30default_config_static_selectorELNS0_4arch9wavefront6targetE0EEEvSR_.uses_flat_scratch, 0
	.set _ZN7rocprim17ROCPRIM_400000_NS6detail17trampoline_kernelINS0_14default_configENS1_32segmented_reduce_config_selectorIN3c108BFloat16EEEZNS1_21segmented_reduce_implIS3_PKS6_PS6_PKiS6_N6hipcub16HIPCUB_304000_NS6detail27convert_result_type_wrapperISA_SB_N2at6native12_GLOBAL__N_19CustomMinEEEEE10hipError_tPvRmT0_T1_jT2_SS_T4_T3_P12ihipStream_tbEUlT_E_NS1_11comp_targetILNS1_3genE9ELNS1_11target_archE1100ELNS1_3gpuE3ELNS1_3repE0EEENS1_30default_config_static_selectorELNS0_4arch9wavefront6targetE0EEEvSR_.has_dyn_sized_stack, 0
	.set _ZN7rocprim17ROCPRIM_400000_NS6detail17trampoline_kernelINS0_14default_configENS1_32segmented_reduce_config_selectorIN3c108BFloat16EEEZNS1_21segmented_reduce_implIS3_PKS6_PS6_PKiS6_N6hipcub16HIPCUB_304000_NS6detail27convert_result_type_wrapperISA_SB_N2at6native12_GLOBAL__N_19CustomMinEEEEE10hipError_tPvRmT0_T1_jT2_SS_T4_T3_P12ihipStream_tbEUlT_E_NS1_11comp_targetILNS1_3genE9ELNS1_11target_archE1100ELNS1_3gpuE3ELNS1_3repE0EEENS1_30default_config_static_selectorELNS0_4arch9wavefront6targetE0EEEvSR_.has_recursion, 0
	.set _ZN7rocprim17ROCPRIM_400000_NS6detail17trampoline_kernelINS0_14default_configENS1_32segmented_reduce_config_selectorIN3c108BFloat16EEEZNS1_21segmented_reduce_implIS3_PKS6_PS6_PKiS6_N6hipcub16HIPCUB_304000_NS6detail27convert_result_type_wrapperISA_SB_N2at6native12_GLOBAL__N_19CustomMinEEEEE10hipError_tPvRmT0_T1_jT2_SS_T4_T3_P12ihipStream_tbEUlT_E_NS1_11comp_targetILNS1_3genE9ELNS1_11target_archE1100ELNS1_3gpuE3ELNS1_3repE0EEENS1_30default_config_static_selectorELNS0_4arch9wavefront6targetE0EEEvSR_.has_indirect_call, 0
	.section	.AMDGPU.csdata,"",@progbits
; Kernel info:
; codeLenInByte = 0
; TotalNumSgprs: 0
; NumVgprs: 0
; ScratchSize: 0
; MemoryBound: 0
; FloatMode: 240
; IeeeMode: 1
; LDSByteSize: 0 bytes/workgroup (compile time only)
; SGPRBlocks: 0
; VGPRBlocks: 0
; NumSGPRsForWavesPerEU: 1
; NumVGPRsForWavesPerEU: 1
; Occupancy: 16
; WaveLimiterHint : 0
; COMPUTE_PGM_RSRC2:SCRATCH_EN: 0
; COMPUTE_PGM_RSRC2:USER_SGPR: 6
; COMPUTE_PGM_RSRC2:TRAP_HANDLER: 0
; COMPUTE_PGM_RSRC2:TGID_X_EN: 1
; COMPUTE_PGM_RSRC2:TGID_Y_EN: 0
; COMPUTE_PGM_RSRC2:TGID_Z_EN: 0
; COMPUTE_PGM_RSRC2:TIDIG_COMP_CNT: 0
	.section	.text._ZN7rocprim17ROCPRIM_400000_NS6detail17trampoline_kernelINS0_14default_configENS1_32segmented_reduce_config_selectorIN3c108BFloat16EEEZNS1_21segmented_reduce_implIS3_PKS6_PS6_PKiS6_N6hipcub16HIPCUB_304000_NS6detail27convert_result_type_wrapperISA_SB_N2at6native12_GLOBAL__N_19CustomMinEEEEE10hipError_tPvRmT0_T1_jT2_SS_T4_T3_P12ihipStream_tbEUlT_E_NS1_11comp_targetILNS1_3genE8ELNS1_11target_archE1030ELNS1_3gpuE2ELNS1_3repE0EEENS1_30default_config_static_selectorELNS0_4arch9wavefront6targetE0EEEvSR_,"axG",@progbits,_ZN7rocprim17ROCPRIM_400000_NS6detail17trampoline_kernelINS0_14default_configENS1_32segmented_reduce_config_selectorIN3c108BFloat16EEEZNS1_21segmented_reduce_implIS3_PKS6_PS6_PKiS6_N6hipcub16HIPCUB_304000_NS6detail27convert_result_type_wrapperISA_SB_N2at6native12_GLOBAL__N_19CustomMinEEEEE10hipError_tPvRmT0_T1_jT2_SS_T4_T3_P12ihipStream_tbEUlT_E_NS1_11comp_targetILNS1_3genE8ELNS1_11target_archE1030ELNS1_3gpuE2ELNS1_3repE0EEENS1_30default_config_static_selectorELNS0_4arch9wavefront6targetE0EEEvSR_,comdat
	.globl	_ZN7rocprim17ROCPRIM_400000_NS6detail17trampoline_kernelINS0_14default_configENS1_32segmented_reduce_config_selectorIN3c108BFloat16EEEZNS1_21segmented_reduce_implIS3_PKS6_PS6_PKiS6_N6hipcub16HIPCUB_304000_NS6detail27convert_result_type_wrapperISA_SB_N2at6native12_GLOBAL__N_19CustomMinEEEEE10hipError_tPvRmT0_T1_jT2_SS_T4_T3_P12ihipStream_tbEUlT_E_NS1_11comp_targetILNS1_3genE8ELNS1_11target_archE1030ELNS1_3gpuE2ELNS1_3repE0EEENS1_30default_config_static_selectorELNS0_4arch9wavefront6targetE0EEEvSR_ ; -- Begin function _ZN7rocprim17ROCPRIM_400000_NS6detail17trampoline_kernelINS0_14default_configENS1_32segmented_reduce_config_selectorIN3c108BFloat16EEEZNS1_21segmented_reduce_implIS3_PKS6_PS6_PKiS6_N6hipcub16HIPCUB_304000_NS6detail27convert_result_type_wrapperISA_SB_N2at6native12_GLOBAL__N_19CustomMinEEEEE10hipError_tPvRmT0_T1_jT2_SS_T4_T3_P12ihipStream_tbEUlT_E_NS1_11comp_targetILNS1_3genE8ELNS1_11target_archE1030ELNS1_3gpuE2ELNS1_3repE0EEENS1_30default_config_static_selectorELNS0_4arch9wavefront6targetE0EEEvSR_
	.p2align	8
	.type	_ZN7rocprim17ROCPRIM_400000_NS6detail17trampoline_kernelINS0_14default_configENS1_32segmented_reduce_config_selectorIN3c108BFloat16EEEZNS1_21segmented_reduce_implIS3_PKS6_PS6_PKiS6_N6hipcub16HIPCUB_304000_NS6detail27convert_result_type_wrapperISA_SB_N2at6native12_GLOBAL__N_19CustomMinEEEEE10hipError_tPvRmT0_T1_jT2_SS_T4_T3_P12ihipStream_tbEUlT_E_NS1_11comp_targetILNS1_3genE8ELNS1_11target_archE1030ELNS1_3gpuE2ELNS1_3repE0EEENS1_30default_config_static_selectorELNS0_4arch9wavefront6targetE0EEEvSR_,@function
_ZN7rocprim17ROCPRIM_400000_NS6detail17trampoline_kernelINS0_14default_configENS1_32segmented_reduce_config_selectorIN3c108BFloat16EEEZNS1_21segmented_reduce_implIS3_PKS6_PS6_PKiS6_N6hipcub16HIPCUB_304000_NS6detail27convert_result_type_wrapperISA_SB_N2at6native12_GLOBAL__N_19CustomMinEEEEE10hipError_tPvRmT0_T1_jT2_SS_T4_T3_P12ihipStream_tbEUlT_E_NS1_11comp_targetILNS1_3genE8ELNS1_11target_archE1030ELNS1_3gpuE2ELNS1_3repE0EEENS1_30default_config_static_selectorELNS0_4arch9wavefront6targetE0EEEvSR_: ; @_ZN7rocprim17ROCPRIM_400000_NS6detail17trampoline_kernelINS0_14default_configENS1_32segmented_reduce_config_selectorIN3c108BFloat16EEEZNS1_21segmented_reduce_implIS3_PKS6_PS6_PKiS6_N6hipcub16HIPCUB_304000_NS6detail27convert_result_type_wrapperISA_SB_N2at6native12_GLOBAL__N_19CustomMinEEEEE10hipError_tPvRmT0_T1_jT2_SS_T4_T3_P12ihipStream_tbEUlT_E_NS1_11comp_targetILNS1_3genE8ELNS1_11target_archE1030ELNS1_3gpuE2ELNS1_3repE0EEENS1_30default_config_static_selectorELNS0_4arch9wavefront6targetE0EEEvSR_
; %bb.0:
	s_clause 0x2
	s_load_dwordx8 s[12:19], s[4:5], 0x0
	s_load_dword s8, s[4:5], 0x28
	s_load_dwordx2 s[0:1], s[4:5], 0x20
	s_mov_b32 s7, 0
	v_cmp_eq_u32_e32 vcc_lo, 0, v0
	s_mov_b32 s20, s7
	s_waitcnt lgkmcnt(0)
	s_lshl_b64 s[2:3], s[16:17], 2
	s_lshr_b32 s9, s8, 16
	s_add_u32 s4, s18, s2
	s_addc_u32 s5, s19, s3
	s_add_u32 s8, s0, s2
	s_addc_u32 s10, s1, s3
	s_lshl_b64 s[0:1], s[6:7], 2
	s_add_u32 s2, s4, s0
	s_addc_u32 s3, s5, s1
	s_add_u32 s0, s8, s0
	s_addc_u32 s1, s10, s1
	s_load_dword s10, s[2:3], 0x0
	s_load_dword s21, s[0:1], 0x0
	s_mov_b32 s0, -1
	s_waitcnt lgkmcnt(0)
	s_cmp_gt_i32 s21, s10
	s_cbranch_scc1 .LBB135_2
; %bb.1:
	s_mov_b32 s0, 0
	s_and_b32 s20, vcc_lo, exec_lo
.LBB135_2:
	s_andn2_b32 vcc_lo, exec_lo, s0
	s_cbranch_vccnz .LBB135_67
; %bb.3:
	s_add_i32 s0, s10, 0x800
	s_cmp_le_i32 s0, s21
	s_cbranch_scc0 .LBB135_68
; %bb.4:
	s_ashr_i32 s11, s10, 31
	v_lshlrev_b32_e32 v10, 1, v0
	s_lshl_b64 s[2:3], s[10:11], 1
	s_add_u32 s2, s12, s2
	s_addc_u32 s3, s13, s3
	v_add_co_u32 v1, s1, s2, v10
	v_add_co_ci_u32_e64 v2, null, s3, 0, s1
	global_load_ushort v9, v10, s[2:3]
	v_add_co_u32 v11, vcc_lo, 0x800, v1
	v_add_co_ci_u32_e64 v12, null, 0, v2, vcc_lo
	s_clause 0x6
	global_load_ushort v8, v10, s[2:3] offset:512
	global_load_ushort v7, v10, s[2:3] offset:1024
	;; [unrolled: 1-line block ×3, first 2 shown]
	global_load_ushort v5, v[11:12], off
	global_load_ushort v3, v[11:12], off offset:512
	global_load_ushort v2, v[11:12], off offset:1024
	global_load_ushort v1, v[11:12], off offset:1536
	s_mov_b32 s1, exec_lo
	s_waitcnt vmcnt(7)
	v_lshlrev_b32_e32 v11, 16, v9
	v_mov_b32_e32 v4, v9
	v_cmpx_o_f32_e32 v11, v11
	s_cbranch_execz .LBB135_8
; %bb.5:
	s_waitcnt vmcnt(6)
	v_lshlrev_b32_e32 v12, 16, v8
	v_mov_b32_e32 v4, v8
	s_mov_b32 s2, exec_lo
	v_cmpx_o_f32_e32 v12, v12
; %bb.6:
	v_cmp_lt_f32_e32 vcc_lo, v12, v11
	v_cndmask_b32_e32 v4, v9, v8, vcc_lo
	v_lshlrev_b32_e32 v12, 16, v4
; %bb.7:
	s_or_b32 exec_lo, exec_lo, s2
	v_mov_b32_e32 v11, v12
.LBB135_8:
	s_or_b32 exec_lo, exec_lo, s1
	s_mov_b32 s1, exec_lo
	v_cmpx_o_f32_e32 v11, v11
	s_cbranch_execz .LBB135_12
; %bb.9:
	s_waitcnt vmcnt(5)
	v_lshlrev_b32_e32 v12, 16, v7
	v_mov_b32_e32 v13, v7
	s_mov_b32 s2, exec_lo
	v_cmpx_o_f32_e32 v12, v12
; %bb.10:
	v_cmp_gt_f32_e32 vcc_lo, v11, v12
	v_cndmask_b32_e32 v13, v4, v7, vcc_lo
	v_lshlrev_b32_e32 v12, 16, v13
; %bb.11:
	s_or_b32 exec_lo, exec_lo, s2
	v_mov_b32_e32 v11, v12
	v_mov_b32_e32 v4, v13
.LBB135_12:
	s_or_b32 exec_lo, exec_lo, s1
	s_mov_b32 s1, exec_lo
	v_cmpx_o_f32_e32 v11, v11
	s_cbranch_execz .LBB135_16
; %bb.13:
	s_waitcnt vmcnt(4)
	v_lshlrev_b32_e32 v12, 16, v6
	v_mov_b32_e32 v13, v6
	s_mov_b32 s2, exec_lo
	v_cmpx_o_f32_e32 v12, v12
; %bb.14:
	v_cmp_gt_f32_e32 vcc_lo, v11, v12
	v_cndmask_b32_e32 v13, v4, v6, vcc_lo
	v_lshlrev_b32_e32 v12, 16, v13
; %bb.15:
	s_or_b32 exec_lo, exec_lo, s2
	v_mov_b32_e32 v11, v12
	v_mov_b32_e32 v4, v13
.LBB135_16:
	;; [unrolled: 19-line block ×5, first 2 shown]
	s_or_b32 exec_lo, exec_lo, s1
	s_mov_b32 s1, exec_lo
	v_cmpx_o_f32_e32 v11, v11
	s_cbranch_execz .LBB135_32
; %bb.29:
	s_waitcnt vmcnt(0)
	v_lshlrev_b32_e32 v13, 16, v1
	v_mov_b32_e32 v12, v1
	s_mov_b32 s2, exec_lo
	v_cmpx_o_f32_e32 v13, v13
; %bb.30:
	v_cmp_gt_f32_e32 vcc_lo, v11, v13
	v_cndmask_b32_e32 v12, v4, v1, vcc_lo
; %bb.31:
	s_or_b32 exec_lo, exec_lo, s2
	v_mov_b32_e32 v4, v12
.LBB135_32:
	s_or_b32 exec_lo, exec_lo, s1
	s_add_i32 s1, s10, 0x1000
	s_cmp_ge_i32 s1, s21
	s_cbranch_scc1 .LBB135_69
; %bb.33:
	v_add_co_u32 v11, s1, s12, v10
	v_add_co_ci_u32_e64 v12, null, s13, 0, s1
	s_branch .LBB135_36
.LBB135_34:                             ;   in Loop: Header=BB135_36 Depth=1
	s_or_b32 exec_lo, exec_lo, s2
	v_mov_b32_e32 v4, v14
.LBB135_35:                             ;   in Loop: Header=BB135_36 Depth=1
	s_or_b32 exec_lo, exec_lo, s1
	s_add_i32 s1, s0, 0x1000
	s_addk_i32 s0, 0x800
	s_cmp_lt_i32 s1, s21
	s_cbranch_scc0 .LBB135_69
.LBB135_36:                             ; =>This Inner Loop Header: Depth=1
	s_ashr_i32 s1, s0, 31
	s_lshl_b64 s[2:3], s[0:1], 1
	s_mov_b32 s1, exec_lo
	s_waitcnt vmcnt(0)
	v_add_co_u32 v1, vcc_lo, v11, s2
	v_add_co_ci_u32_e64 v2, null, s3, v12, vcc_lo
	v_add_co_u32 v13, vcc_lo, 0x800, v1
	v_add_co_ci_u32_e64 v14, null, 0, v2, vcc_lo
	s_clause 0x7
	global_load_ushort v9, v[1:2], off
	global_load_ushort v8, v[1:2], off offset:512
	global_load_ushort v7, v[1:2], off offset:1024
	global_load_ushort v6, v[1:2], off offset:1536
	global_load_ushort v5, v[13:14], off
	global_load_ushort v3, v[13:14], off offset:512
	global_load_ushort v2, v[13:14], off offset:1024
	;; [unrolled: 1-line block ×3, first 2 shown]
	v_lshlrev_b32_e32 v13, 16, v4
	v_cmpx_o_f32_e32 v13, v13
	s_cbranch_execz .LBB135_40
; %bb.37:                               ;   in Loop: Header=BB135_36 Depth=1
	s_waitcnt vmcnt(7)
	v_lshlrev_b32_e32 v14, 16, v9
	v_mov_b32_e32 v15, v9
	s_mov_b32 s2, exec_lo
	v_cmpx_o_f32_e32 v14, v14
; %bb.38:                               ;   in Loop: Header=BB135_36 Depth=1
	v_cmp_lt_f32_e32 vcc_lo, v14, v13
	v_cndmask_b32_e32 v15, v4, v9, vcc_lo
	v_lshlrev_b32_e32 v14, 16, v15
; %bb.39:                               ;   in Loop: Header=BB135_36 Depth=1
	s_or_b32 exec_lo, exec_lo, s2
	v_mov_b32_e32 v13, v14
	v_mov_b32_e32 v4, v15
.LBB135_40:                             ;   in Loop: Header=BB135_36 Depth=1
	s_or_b32 exec_lo, exec_lo, s1
	s_mov_b32 s1, exec_lo
	v_cmpx_o_f32_e32 v13, v13
	s_cbranch_execz .LBB135_44
; %bb.41:                               ;   in Loop: Header=BB135_36 Depth=1
	s_waitcnt vmcnt(6)
	v_lshlrev_b32_e32 v14, 16, v8
	v_mov_b32_e32 v15, v8
	s_mov_b32 s2, exec_lo
	v_cmpx_o_f32_e32 v14, v14
; %bb.42:                               ;   in Loop: Header=BB135_36 Depth=1
	v_cmp_gt_f32_e32 vcc_lo, v13, v14
	v_cndmask_b32_e32 v15, v4, v8, vcc_lo
	v_lshlrev_b32_e32 v14, 16, v15
; %bb.43:                               ;   in Loop: Header=BB135_36 Depth=1
	s_or_b32 exec_lo, exec_lo, s2
	v_mov_b32_e32 v13, v14
	v_mov_b32_e32 v4, v15
.LBB135_44:                             ;   in Loop: Header=BB135_36 Depth=1
	s_or_b32 exec_lo, exec_lo, s1
	s_mov_b32 s1, exec_lo
	v_cmpx_o_f32_e32 v13, v13
	s_cbranch_execz .LBB135_48
; %bb.45:                               ;   in Loop: Header=BB135_36 Depth=1
	s_waitcnt vmcnt(5)
	v_lshlrev_b32_e32 v14, 16, v7
	v_mov_b32_e32 v15, v7
	s_mov_b32 s2, exec_lo
	v_cmpx_o_f32_e32 v14, v14
; %bb.46:                               ;   in Loop: Header=BB135_36 Depth=1
	v_cmp_gt_f32_e32 vcc_lo, v13, v14
	v_cndmask_b32_e32 v15, v4, v7, vcc_lo
	v_lshlrev_b32_e32 v14, 16, v15
; %bb.47:                               ;   in Loop: Header=BB135_36 Depth=1
	s_or_b32 exec_lo, exec_lo, s2
	v_mov_b32_e32 v13, v14
	v_mov_b32_e32 v4, v15
.LBB135_48:                             ;   in Loop: Header=BB135_36 Depth=1
	;; [unrolled: 19-line block ×6, first 2 shown]
	s_or_b32 exec_lo, exec_lo, s1
	s_mov_b32 s1, exec_lo
	v_cmpx_o_f32_e32 v13, v13
	s_cbranch_execz .LBB135_35
; %bb.65:                               ;   in Loop: Header=BB135_36 Depth=1
	s_waitcnt vmcnt(0)
	v_lshlrev_b32_e32 v15, 16, v1
	v_mov_b32_e32 v14, v1
	s_mov_b32 s2, exec_lo
	v_cmpx_o_f32_e32 v15, v15
	s_cbranch_execz .LBB135_34
; %bb.66:                               ;   in Loop: Header=BB135_36 Depth=1
	v_cmp_gt_f32_e32 vcc_lo, v13, v15
	v_cndmask_b32_e32 v14, v4, v1, vcc_lo
	s_branch .LBB135_34
.LBB135_67:
	v_mov_b32_e32 v1, s9
	s_and_saveexec_b32 s0, s20
	s_cbranch_execnz .LBB135_279
	s_branch .LBB135_280
.LBB135_68:
                                        ; implicit-def: $vgpr2
	s_cbranch_execnz .LBB135_170
	s_branch .LBB135_272
.LBB135_69:
	s_ashr_i32 s1, s0, 31
	s_sub_i32 s11, s21, s0
	s_lshl_b64 s[0:1], s[0:1], 1
	v_cmp_gt_u32_e64 s8, s11, v0
	s_add_u32 s18, s12, s0
	s_addc_u32 s19, s13, s1
	s_and_saveexec_b32 s0, s8
	s_cbranch_execz .LBB135_71
; %bb.70:
	global_load_ushort v9, v10, s[18:19]
.LBB135_71:
	s_or_b32 exec_lo, exec_lo, s0
	v_or_b32_e32 v11, 0x100, v0
	v_cmp_gt_u32_e64 s5, s11, v11
	s_and_saveexec_b32 s0, s5
	s_cbranch_execz .LBB135_73
; %bb.72:
	global_load_ushort v8, v10, s[18:19] offset:512
.LBB135_73:
	s_or_b32 exec_lo, exec_lo, s0
	v_or_b32_e32 v11, 0x200, v0
	v_cmp_gt_u32_e64 s4, s11, v11
	s_and_saveexec_b32 s0, s4
	s_cbranch_execz .LBB135_75
; %bb.74:
	global_load_ushort v7, v10, s[18:19] offset:1024
.LBB135_75:
	;; [unrolled: 8-line block ×3, first 2 shown]
	s_or_b32 exec_lo, exec_lo, s0
	v_or_b32_e32 v10, 0x400, v0
	v_cmp_gt_u32_e64 s2, s11, v10
	s_and_saveexec_b32 s0, s2
	s_cbranch_execz .LBB135_79
; %bb.78:
	s_waitcnt vmcnt(3)
	v_lshlrev_b32_e32 v5, 1, v10
	global_load_ushort v5, v5, s[18:19]
.LBB135_79:
	s_or_b32 exec_lo, exec_lo, s0
	v_or_b32_e32 v10, 0x500, v0
	v_cmp_gt_u32_e64 s1, s11, v10
	s_and_saveexec_b32 s0, s1
	s_cbranch_execz .LBB135_81
; %bb.80:
	s_waitcnt vmcnt(2)
	v_lshlrev_b32_e32 v3, 1, v10
	global_load_ushort v3, v3, s[18:19]
.LBB135_81:
	;; [unrolled: 10-line block ×3, first 2 shown]
	s_or_b32 exec_lo, exec_lo, s22
	v_or_b32_e32 v10, 0x700, v0
	v_cmp_gt_u32_e32 vcc_lo, s11, v10
	s_and_saveexec_b32 s11, vcc_lo
	s_cbranch_execnz .LBB135_92
; %bb.84:
	s_or_b32 exec_lo, exec_lo, s11
	s_and_saveexec_b32 s11, s8
	s_cbranch_execnz .LBB135_93
.LBB135_85:
	s_or_b32 exec_lo, exec_lo, s11
	s_and_saveexec_b32 s8, s5
	s_cbranch_execnz .LBB135_98
.LBB135_86:
	s_or_b32 exec_lo, exec_lo, s8
	s_and_saveexec_b32 s5, s4
	s_cbranch_execnz .LBB135_103
.LBB135_87:
	s_or_b32 exec_lo, exec_lo, s5
	s_and_saveexec_b32 s4, s3
	s_cbranch_execnz .LBB135_108
.LBB135_88:
	s_or_b32 exec_lo, exec_lo, s4
	s_and_saveexec_b32 s3, s2
	s_cbranch_execnz .LBB135_113
.LBB135_89:
	s_or_b32 exec_lo, exec_lo, s3
	s_and_saveexec_b32 s2, s1
	s_cbranch_execnz .LBB135_118
.LBB135_90:
	s_or_b32 exec_lo, exec_lo, s2
	s_and_saveexec_b32 s1, s0
	s_cbranch_execnz .LBB135_123
.LBB135_91:
	s_or_b32 exec_lo, exec_lo, s1
	s_and_saveexec_b32 s0, vcc_lo
	s_cbranch_execnz .LBB135_128
	s_branch .LBB135_133
.LBB135_92:
	s_waitcnt vmcnt(0)
	v_lshlrev_b32_e32 v1, 1, v10
	global_load_ushort v1, v1, s[18:19]
	s_or_b32 exec_lo, exec_lo, s11
	s_and_saveexec_b32 s11, s8
	s_cbranch_execz .LBB135_85
.LBB135_93:
	v_lshlrev_b32_e32 v10, 16, v4
	s_mov_b32 s18, exec_lo
	v_cmpx_o_f32_e32 v10, v10
	s_cbranch_execz .LBB135_97
; %bb.94:
	s_waitcnt vmcnt(0)
	v_lshlrev_b32_e32 v11, 16, v9
	s_mov_b32 s19, exec_lo
	v_cmpx_o_f32_e32 v11, v11
; %bb.95:
	v_cmp_lt_f32_e64 s8, v11, v10
	v_cndmask_b32_e64 v9, v4, v9, s8
; %bb.96:
	s_or_b32 exec_lo, exec_lo, s19
	v_mov_b32_e32 v4, v9
.LBB135_97:
	s_or_b32 exec_lo, exec_lo, s18
	s_or_b32 exec_lo, exec_lo, s11
	s_and_saveexec_b32 s8, s5
	s_cbranch_execz .LBB135_86
.LBB135_98:
	s_waitcnt vmcnt(0)
	v_lshlrev_b32_e32 v9, 16, v4
	s_mov_b32 s11, exec_lo
	v_cmpx_o_f32_e32 v9, v9
	s_cbranch_execz .LBB135_102
; %bb.99:
	v_lshlrev_b32_e32 v10, 16, v8
	s_mov_b32 s18, exec_lo
	v_cmpx_o_f32_e32 v10, v10
; %bb.100:
	v_cmp_lt_f32_e64 s5, v10, v9
	v_cndmask_b32_e64 v8, v4, v8, s5
; %bb.101:
	s_or_b32 exec_lo, exec_lo, s18
	v_mov_b32_e32 v4, v8
.LBB135_102:
	s_or_b32 exec_lo, exec_lo, s11
	s_or_b32 exec_lo, exec_lo, s8
	s_and_saveexec_b32 s5, s4
	s_cbranch_execz .LBB135_87
.LBB135_103:
	s_waitcnt vmcnt(0)
	v_lshlrev_b32_e32 v8, 16, v4
	s_mov_b32 s8, exec_lo
	v_cmpx_o_f32_e32 v8, v8
	s_cbranch_execz .LBB135_107
; %bb.104:
	v_lshlrev_b32_e32 v9, 16, v7
	s_mov_b32 s11, exec_lo
	v_cmpx_o_f32_e32 v9, v9
; %bb.105:
	v_cmp_lt_f32_e64 s4, v9, v8
	v_cndmask_b32_e64 v7, v4, v7, s4
; %bb.106:
	s_or_b32 exec_lo, exec_lo, s11
	v_mov_b32_e32 v4, v7
.LBB135_107:
	s_or_b32 exec_lo, exec_lo, s8
	s_or_b32 exec_lo, exec_lo, s5
	s_and_saveexec_b32 s4, s3
	s_cbranch_execz .LBB135_88
.LBB135_108:
	s_waitcnt vmcnt(0)
	v_lshlrev_b32_e32 v7, 16, v4
	s_mov_b32 s5, exec_lo
	v_cmpx_o_f32_e32 v7, v7
	s_cbranch_execz .LBB135_112
; %bb.109:
	v_lshlrev_b32_e32 v8, 16, v6
	s_mov_b32 s8, exec_lo
	v_cmpx_o_f32_e32 v8, v8
; %bb.110:
	v_cmp_lt_f32_e64 s3, v8, v7
	v_cndmask_b32_e64 v6, v4, v6, s3
; %bb.111:
	s_or_b32 exec_lo, exec_lo, s8
	v_mov_b32_e32 v4, v6
.LBB135_112:
	s_or_b32 exec_lo, exec_lo, s5
	s_or_b32 exec_lo, exec_lo, s4
	s_and_saveexec_b32 s3, s2
	s_cbranch_execz .LBB135_89
.LBB135_113:
	s_waitcnt vmcnt(0)
	v_lshlrev_b32_e32 v6, 16, v4
	s_mov_b32 s4, exec_lo
	v_cmpx_o_f32_e32 v6, v6
	s_cbranch_execz .LBB135_117
; %bb.114:
	v_lshlrev_b32_e32 v7, 16, v5
	s_mov_b32 s5, exec_lo
	v_cmpx_o_f32_e32 v7, v7
; %bb.115:
	v_cmp_lt_f32_e64 s2, v7, v6
	v_cndmask_b32_e64 v5, v4, v5, s2
; %bb.116:
	s_or_b32 exec_lo, exec_lo, s5
	v_mov_b32_e32 v4, v5
.LBB135_117:
	s_or_b32 exec_lo, exec_lo, s4
	s_or_b32 exec_lo, exec_lo, s3
	s_and_saveexec_b32 s2, s1
	s_cbranch_execz .LBB135_90
.LBB135_118:
	s_waitcnt vmcnt(0)
	v_lshlrev_b32_e32 v5, 16, v4
	s_mov_b32 s3, exec_lo
	v_cmpx_o_f32_e32 v5, v5
	s_cbranch_execz .LBB135_122
; %bb.119:
	v_lshlrev_b32_e32 v6, 16, v3
	s_mov_b32 s4, exec_lo
	v_cmpx_o_f32_e32 v6, v6
; %bb.120:
	v_cmp_lt_f32_e64 s1, v6, v5
	v_cndmask_b32_e64 v3, v4, v3, s1
; %bb.121:
	s_or_b32 exec_lo, exec_lo, s4
	v_mov_b32_e32 v4, v3
.LBB135_122:
	s_or_b32 exec_lo, exec_lo, s3
	s_or_b32 exec_lo, exec_lo, s2
	s_and_saveexec_b32 s1, s0
	s_cbranch_execz .LBB135_91
.LBB135_123:
	s_waitcnt vmcnt(0)
	v_lshlrev_b32_e32 v3, 16, v4
	s_mov_b32 s2, exec_lo
	v_cmpx_o_f32_e32 v3, v3
	s_cbranch_execz .LBB135_127
; %bb.124:
	v_lshlrev_b32_e32 v5, 16, v2
	s_mov_b32 s3, exec_lo
	v_cmpx_o_f32_e32 v5, v5
; %bb.125:
	v_cmp_lt_f32_e64 s0, v5, v3
	v_cndmask_b32_e64 v2, v4, v2, s0
; %bb.126:
	s_or_b32 exec_lo, exec_lo, s3
	v_mov_b32_e32 v4, v2
.LBB135_127:
	s_or_b32 exec_lo, exec_lo, s2
	s_or_b32 exec_lo, exec_lo, s1
	s_and_saveexec_b32 s0, vcc_lo
	s_cbranch_execz .LBB135_133
.LBB135_128:
	s_waitcnt vmcnt(0)
	v_lshlrev_b32_e32 v2, 16, v4
	s_mov_b32 s1, exec_lo
	v_cmpx_o_f32_e32 v2, v2
	s_cbranch_execz .LBB135_132
; %bb.129:
	v_lshlrev_b32_e32 v3, 16, v1
	s_mov_b32 s2, exec_lo
	v_cmpx_o_f32_e32 v3, v3
; %bb.130:
	v_cmp_lt_f32_e32 vcc_lo, v3, v2
	v_cndmask_b32_e32 v1, v4, v1, vcc_lo
; %bb.131:
	s_or_b32 exec_lo, exec_lo, s2
	v_mov_b32_e32 v4, v1
.LBB135_132:
	s_or_b32 exec_lo, exec_lo, s1
.LBB135_133:
	s_or_b32 exec_lo, exec_lo, s0
	s_waitcnt vmcnt(0)
	v_and_b32_e32 v3, 0xffff, v4
	s_mov_b32 s0, exec_lo
	v_mov_b32_dpp v1, v3 quad_perm:[1,0,3,2] row_mask:0xf bank_mask:0xf
	v_lshlrev_b32_e32 v2, 16, v1
	v_cmpx_o_f32_e32 v2, v2
	s_xor_b32 s0, exec_lo, s0
	s_cbranch_execz .LBB135_137
; %bb.134:
	v_lshlrev_b32_e32 v3, 16, v3
	s_mov_b32 s1, exec_lo
	v_cmpx_o_f32_e32 v3, v3
; %bb.135:
	v_cmp_lt_f32_e32 vcc_lo, v3, v2
	v_cndmask_b32_e32 v4, v1, v4, vcc_lo
; %bb.136:
	s_or_b32 exec_lo, exec_lo, s1
	v_mov_b32_e32 v1, v4
.LBB135_137:
	s_or_b32 exec_lo, exec_lo, s0
	v_and_b32_e32 v4, 0xffff, v1
	s_mov_b32 s0, exec_lo
	v_mov_b32_dpp v2, v4 quad_perm:[2,3,0,1] row_mask:0xf bank_mask:0xf
	v_lshlrev_b32_e32 v3, 16, v2
	v_cmpx_o_f32_e32 v3, v3
	s_cbranch_execz .LBB135_141
; %bb.138:
	v_lshlrev_b32_e32 v4, 16, v4
	s_mov_b32 s1, exec_lo
	v_cmpx_o_f32_e32 v4, v4
; %bb.139:
	v_cmp_lt_f32_e32 vcc_lo, v4, v3
	v_cndmask_b32_e32 v1, v2, v1, vcc_lo
; %bb.140:
	s_or_b32 exec_lo, exec_lo, s1
	v_mov_b32_e32 v2, v1
.LBB135_141:
	s_or_b32 exec_lo, exec_lo, s0
	v_and_b32_e32 v4, 0xffff, v2
	s_mov_b32 s0, exec_lo
	v_mov_b32_dpp v1, v4 row_ror:4 row_mask:0xf bank_mask:0xf
	v_lshlrev_b32_e32 v3, 16, v1
	v_cmpx_o_f32_e32 v3, v3
	s_cbranch_execz .LBB135_145
; %bb.142:
	v_lshlrev_b32_e32 v4, 16, v4
	s_mov_b32 s1, exec_lo
	v_cmpx_o_f32_e32 v4, v4
; %bb.143:
	v_cmp_lt_f32_e32 vcc_lo, v4, v3
	v_cndmask_b32_e32 v2, v1, v2, vcc_lo
; %bb.144:
	s_or_b32 exec_lo, exec_lo, s1
	v_mov_b32_e32 v1, v2
.LBB135_145:
	s_or_b32 exec_lo, exec_lo, s0
	v_and_b32_e32 v4, 0xffff, v1
	s_mov_b32 s0, exec_lo
	v_mov_b32_dpp v2, v4 row_ror:8 row_mask:0xf bank_mask:0xf
	v_lshlrev_b32_e32 v3, 16, v2
	v_cmpx_o_f32_e32 v3, v3
	s_cbranch_execz .LBB135_149
; %bb.146:
	v_lshlrev_b32_e32 v4, 16, v4
	s_mov_b32 s1, exec_lo
	v_cmpx_o_f32_e32 v4, v4
; %bb.147:
	v_cmp_lt_f32_e32 vcc_lo, v4, v3
	v_cndmask_b32_e32 v1, v2, v1, vcc_lo
; %bb.148:
	s_or_b32 exec_lo, exec_lo, s1
	v_mov_b32_e32 v2, v1
.LBB135_149:
	s_or_b32 exec_lo, exec_lo, s0
	v_and_b32_e32 v4, 0xffff, v2
	s_mov_b32 s0, exec_lo
	ds_swizzle_b32 v1, v4 offset:swizzle(BROADCAST,32,15)
	s_waitcnt lgkmcnt(0)
	v_lshlrev_b32_e32 v3, 16, v1
	v_cmpx_o_f32_e32 v3, v3
	s_cbranch_execz .LBB135_153
; %bb.150:
	v_lshlrev_b32_e32 v4, 16, v4
	s_mov_b32 s1, exec_lo
	v_cmpx_o_f32_e32 v4, v4
; %bb.151:
	v_cmp_lt_f32_e32 vcc_lo, v4, v3
	v_cndmask_b32_e32 v2, v1, v2, vcc_lo
; %bb.152:
	s_or_b32 exec_lo, exec_lo, s1
	v_mov_b32_e32 v1, v2
.LBB135_153:
	s_or_b32 exec_lo, exec_lo, s0
	v_and_b32_e32 v1, 0xffff, v1
	v_mov_b32_e32 v2, 0
	s_mov_b32 s0, exec_lo
	ds_bpermute_b32 v2, v2, v1 offset:124
	v_mbcnt_lo_u32_b32 v1, -1, 0
	v_cmpx_eq_u32_e32 0, v1
	s_cbranch_execz .LBB135_155
; %bb.154:
	v_lshrrev_b32_e32 v3, 4, v0
	v_and_b32_e32 v3, 14, v3
	s_waitcnt lgkmcnt(0)
	ds_write_b16 v3, v2
.LBB135_155:
	s_or_b32 exec_lo, exec_lo, s0
	s_mov_b32 s0, exec_lo
	s_waitcnt lgkmcnt(0)
	s_barrier
	buffer_gl0_inv
	v_cmpx_gt_u32_e32 32, v0
	s_cbranch_execz .LBB135_169
; %bb.156:
	v_and_b32_e32 v3, 7, v1
	s_mov_b32 s1, exec_lo
	v_lshlrev_b32_e32 v2, 1, v3
	v_cmp_ne_u32_e32 vcc_lo, 7, v3
	ds_read_u16 v2, v2
	v_add_co_ci_u32_e64 v4, null, 0, v1, vcc_lo
	v_lshlrev_b32_e32 v4, 2, v4
	s_waitcnt lgkmcnt(0)
	v_and_b32_e32 v5, 0xffff, v2
	ds_bpermute_b32 v4, v4, v5
	v_lshlrev_b32_e32 v5, 16, v2
	v_cmpx_o_f32_e32 v5, v5
	s_cbranch_execz .LBB135_160
; %bb.157:
	s_waitcnt lgkmcnt(0)
	v_lshlrev_b32_e32 v6, 16, v4
	s_mov_b32 s2, exec_lo
	v_cmpx_o_f32_e32 v6, v6
; %bb.158:
	v_cmp_lt_f32_e32 vcc_lo, v6, v5
	v_cndmask_b32_e32 v4, v2, v4, vcc_lo
; %bb.159:
	s_or_b32 exec_lo, exec_lo, s2
	v_mov_b32_e32 v2, v4
.LBB135_160:
	s_or_b32 exec_lo, exec_lo, s1
	v_cmp_gt_u32_e32 vcc_lo, 6, v3
	s_waitcnt lgkmcnt(0)
	v_and_b32_e32 v4, 0xffff, v2
	s_mov_b32 s1, exec_lo
	v_cndmask_b32_e64 v3, 0, 2, vcc_lo
	v_add_lshl_u32 v3, v3, v1, 2
	v_lshlrev_b32_e32 v1, 2, v1
	ds_bpermute_b32 v3, v3, v4
	v_lshlrev_b32_e32 v4, 16, v2
	v_cmpx_o_f32_e32 v4, v4
	s_cbranch_execz .LBB135_164
; %bb.161:
	s_waitcnt lgkmcnt(0)
	v_lshlrev_b32_e32 v5, 16, v3
	s_mov_b32 s2, exec_lo
	v_cmpx_o_f32_e32 v5, v5
; %bb.162:
	v_cmp_lt_f32_e32 vcc_lo, v5, v4
	v_cndmask_b32_e32 v3, v2, v3, vcc_lo
; %bb.163:
	s_or_b32 exec_lo, exec_lo, s2
	v_mov_b32_e32 v2, v3
.LBB135_164:
	s_or_b32 exec_lo, exec_lo, s1
	v_or_b32_e32 v1, 16, v1
	s_waitcnt lgkmcnt(0)
	v_and_b32_e32 v3, 0xffff, v2
	s_mov_b32 s1, exec_lo
	ds_bpermute_b32 v1, v1, v3
	v_lshlrev_b32_e32 v3, 16, v2
	v_cmpx_o_f32_e32 v3, v3
	s_cbranch_execz .LBB135_168
; %bb.165:
	s_waitcnt lgkmcnt(0)
	v_lshlrev_b32_e32 v4, 16, v1
	s_mov_b32 s2, exec_lo
	v_cmpx_o_f32_e32 v4, v4
; %bb.166:
	v_cmp_lt_f32_e32 vcc_lo, v4, v3
	v_cndmask_b32_e32 v1, v2, v1, vcc_lo
; %bb.167:
	s_or_b32 exec_lo, exec_lo, s2
	v_mov_b32_e32 v2, v1
.LBB135_168:
	s_or_b32 exec_lo, exec_lo, s1
.LBB135_169:
	s_or_b32 exec_lo, exec_lo, s0
	s_branch .LBB135_272
.LBB135_170:
	s_sub_i32 s0, s21, s10
	s_mov_b32 s1, exec_lo
                                        ; implicit-def: $vgpr4
	v_cmpx_gt_u32_e64 s0, v0
	s_cbranch_execz .LBB135_180
; %bb.171:
	s_waitcnt lgkmcnt(0)
	v_add_nc_u32_e32 v1, s10, v0
	s_mov_b32 s2, exec_lo
	v_ashrrev_i32_e32 v2, 31, v1
	v_lshlrev_b64 v[2:3], 1, v[1:2]
	v_add_nc_u32_e32 v1, 0x100, v1
	v_add_co_u32 v2, vcc_lo, s12, v2
	v_add_co_ci_u32_e64 v3, null, s13, v3, vcc_lo
	global_load_ushort v4, v[2:3], off
	v_cmpx_gt_i32_e64 s21, v1
	s_cbranch_execz .LBB135_179
; %bb.172:
	s_mov_b32 s3, 0
	s_inst_prefetch 0x1
	s_branch .LBB135_175
	.p2align	6
.LBB135_173:                            ;   in Loop: Header=BB135_175 Depth=1
	s_or_b32 exec_lo, exec_lo, s5
	v_mov_b32_e32 v4, v2
.LBB135_174:                            ;   in Loop: Header=BB135_175 Depth=1
	s_or_b32 exec_lo, exec_lo, s4
	v_add_nc_u32_e32 v1, 0x100, v1
	v_cmp_le_i32_e32 vcc_lo, s21, v1
	s_or_b32 s3, vcc_lo, s3
	s_andn2_b32 exec_lo, exec_lo, s3
	s_cbranch_execz .LBB135_178
.LBB135_175:                            ; =>This Inner Loop Header: Depth=1
	s_waitcnt vmcnt(0)
	v_lshlrev_b32_e32 v3, 16, v4
	s_mov_b32 s4, exec_lo
	v_cmpx_o_f32_e32 v3, v3
	s_cbranch_execz .LBB135_174
; %bb.176:                              ;   in Loop: Header=BB135_175 Depth=1
	v_ashrrev_i32_e32 v2, 31, v1
	s_mov_b32 s5, exec_lo
	v_lshlrev_b64 v[5:6], 1, v[1:2]
	v_add_co_u32 v5, vcc_lo, s12, v5
	v_add_co_ci_u32_e64 v6, null, s13, v6, vcc_lo
	global_load_ushort v2, v[5:6], off
	s_waitcnt vmcnt(0)
	v_lshlrev_b32_e32 v5, 16, v2
	v_cmpx_o_f32_e32 v5, v5
	s_cbranch_execz .LBB135_173
; %bb.177:                              ;   in Loop: Header=BB135_175 Depth=1
	v_cmp_lt_f32_e32 vcc_lo, v5, v3
	v_cndmask_b32_e32 v2, v4, v2, vcc_lo
	s_branch .LBB135_173
.LBB135_178:
	s_inst_prefetch 0x2
	s_or_b32 exec_lo, exec_lo, s3
.LBB135_179:
	s_or_b32 exec_lo, exec_lo, s2
.LBB135_180:
	s_or_b32 exec_lo, exec_lo, s1
	v_lshrrev_b32_e32 v3, 5, v0
	s_waitcnt lgkmcnt(0)
	v_mbcnt_lo_u32_b32 v1, -1, 0
	s_waitcnt vmcnt(0)
	v_and_b32_e32 v5, 0xffff, v4
	s_cmpk_lt_u32 s0, 0x100
	s_mov_b32 s1, -1
                                        ; implicit-def: $vgpr2
	s_cbranch_scc0 .LBB135_234
; %bb.181:
	v_cmp_ne_u32_e32 vcc_lo, 31, v1
	v_mov_b32_e32 v8, v5
	v_add_co_ci_u32_e64 v2, null, 0, v1, vcc_lo
	v_lshlrev_b32_e32 v2, 2, v2
	ds_bpermute_b32 v7, v2, v5
	v_and_b32_e32 v2, 0xe0, v0
	v_sub_nc_u32_e64 v6, s0, v2 clamp
	v_add_nc_u32_e32 v2, 1, v1
	v_cmp_lt_u32_e32 vcc_lo, v2, v6
	v_mov_b32_e32 v2, v4
	s_and_saveexec_b32 s1, vcc_lo
	s_cbranch_execz .LBB135_187
; %bb.182:
	v_lshlrev_b32_e32 v8, 16, v5
	v_mov_b32_e32 v2, v4
	s_mov_b32 s2, exec_lo
	v_cmpx_o_f32_e32 v8, v8
	s_cbranch_execz .LBB135_186
; %bb.183:
	s_waitcnt lgkmcnt(0)
	v_lshlrev_b32_e32 v2, 16, v7
	s_mov_b32 s3, exec_lo
	v_cmpx_o_f32_e32 v2, v2
; %bb.184:
	v_cmp_lt_f32_e32 vcc_lo, v2, v8
	v_cndmask_b32_e32 v7, v4, v7, vcc_lo
; %bb.185:
	s_or_b32 exec_lo, exec_lo, s3
	v_mov_b32_e32 v2, v7
.LBB135_186:
	s_or_b32 exec_lo, exec_lo, s2
	v_and_b32_e32 v8, 0xffff, v2
.LBB135_187:
	s_or_b32 exec_lo, exec_lo, s1
	v_cmp_gt_u32_e32 vcc_lo, 30, v1
	v_add_nc_u32_e32 v9, 2, v1
	s_mov_b32 s1, exec_lo
	s_waitcnt lgkmcnt(0)
	v_cndmask_b32_e64 v7, 0, 2, vcc_lo
	v_add_lshl_u32 v7, v7, v1, 2
	ds_bpermute_b32 v7, v7, v8
	v_cmpx_lt_u32_e64 v9, v6
	s_cbranch_execz .LBB135_193
; %bb.188:
	v_lshlrev_b32_e32 v8, 16, v8
	s_mov_b32 s2, exec_lo
	v_cmpx_o_f32_e32 v8, v8
	s_cbranch_execz .LBB135_192
; %bb.189:
	s_waitcnt lgkmcnt(0)
	v_lshlrev_b32_e32 v9, 16, v7
	s_mov_b32 s3, exec_lo
	v_cmpx_o_f32_e32 v9, v9
; %bb.190:
	v_cmp_lt_f32_e32 vcc_lo, v9, v8
	v_cndmask_b32_e32 v7, v2, v7, vcc_lo
; %bb.191:
	s_or_b32 exec_lo, exec_lo, s3
	v_mov_b32_e32 v2, v7
.LBB135_192:
	s_or_b32 exec_lo, exec_lo, s2
	v_and_b32_e32 v8, 0xffff, v2
.LBB135_193:
	s_or_b32 exec_lo, exec_lo, s1
	v_cmp_gt_u32_e32 vcc_lo, 28, v1
	v_add_nc_u32_e32 v9, 4, v1
	s_mov_b32 s1, exec_lo
	s_waitcnt lgkmcnt(0)
	v_cndmask_b32_e64 v7, 0, 4, vcc_lo
	v_add_lshl_u32 v7, v7, v1, 2
	ds_bpermute_b32 v7, v7, v8
	v_cmpx_lt_u32_e64 v9, v6
	s_cbranch_execz .LBB135_199
; %bb.194:
	v_lshlrev_b32_e32 v8, 16, v8
	s_mov_b32 s2, exec_lo
	v_cmpx_o_f32_e32 v8, v8
	s_cbranch_execz .LBB135_198
; %bb.195:
	s_waitcnt lgkmcnt(0)
	v_lshlrev_b32_e32 v9, 16, v7
	s_mov_b32 s3, exec_lo
	v_cmpx_o_f32_e32 v9, v9
; %bb.196:
	v_cmp_lt_f32_e32 vcc_lo, v9, v8
	v_cndmask_b32_e32 v7, v2, v7, vcc_lo
; %bb.197:
	s_or_b32 exec_lo, exec_lo, s3
	v_mov_b32_e32 v2, v7
.LBB135_198:
	s_or_b32 exec_lo, exec_lo, s2
	v_and_b32_e32 v8, 0xffff, v2
.LBB135_199:
	;; [unrolled: 30-line block ×3, first 2 shown]
	s_or_b32 exec_lo, exec_lo, s1
	s_waitcnt lgkmcnt(0)
	v_lshlrev_b32_e32 v7, 2, v1
	v_add_nc_u32_e32 v10, 16, v1
	s_mov_b32 s1, exec_lo
	v_or_b32_e32 v9, 64, v7
	ds_bpermute_b32 v9, v9, v8
	v_cmpx_lt_u32_e64 v10, v6
	s_cbranch_execz .LBB135_211
; %bb.206:
	v_lshlrev_b32_e32 v6, 16, v8
	s_mov_b32 s2, exec_lo
	v_cmpx_o_f32_e32 v6, v6
	s_cbranch_execz .LBB135_210
; %bb.207:
	s_waitcnt lgkmcnt(0)
	v_lshlrev_b32_e32 v8, 16, v9
	s_mov_b32 s3, exec_lo
	v_cmpx_o_f32_e32 v8, v8
; %bb.208:
	v_cmp_lt_f32_e32 vcc_lo, v8, v6
	v_cndmask_b32_e32 v9, v2, v9, vcc_lo
; %bb.209:
	s_or_b32 exec_lo, exec_lo, s3
	v_mov_b32_e32 v2, v9
.LBB135_210:
	s_or_b32 exec_lo, exec_lo, s2
.LBB135_211:
	s_or_b32 exec_lo, exec_lo, s1
	s_mov_b32 s1, exec_lo
	v_cmpx_eq_u32_e32 0, v1
; %bb.212:
	v_lshlrev_b32_e32 v6, 1, v3
	ds_write_b16 v6, v2
; %bb.213:
	s_or_b32 exec_lo, exec_lo, s1
	s_mov_b32 s1, exec_lo
	s_waitcnt lgkmcnt(0)
	s_barrier
	buffer_gl0_inv
	v_cmpx_gt_u32_e32 8, v0
	s_cbranch_execz .LBB135_233
; %bb.214:
	v_lshlrev_b32_e32 v2, 1, v1
	v_and_b32_e32 v6, 7, v1
	s_add_i32 s0, s0, 31
	s_mov_b32 s2, exec_lo
	s_lshr_b32 s0, s0, 5
	ds_read_u16 v2, v2
	v_cmp_ne_u32_e32 vcc_lo, 7, v6
	v_add_nc_u32_e32 v10, 1, v6
	v_add_co_ci_u32_e64 v8, null, 0, v1, vcc_lo
	v_lshlrev_b32_e32 v9, 2, v8
	s_waitcnt lgkmcnt(0)
	v_and_b32_e32 v8, 0xffff, v2
	ds_bpermute_b32 v9, v9, v8
	v_cmpx_gt_u32_e64 s0, v10
	s_cbranch_execz .LBB135_220
; %bb.215:
	v_lshlrev_b32_e32 v8, 16, v8
	s_mov_b32 s3, exec_lo
	v_cmpx_o_f32_e32 v8, v8
	s_cbranch_execz .LBB135_219
; %bb.216:
	s_waitcnt lgkmcnt(0)
	v_lshlrev_b32_e32 v10, 16, v9
	s_mov_b32 s4, exec_lo
	v_cmpx_o_f32_e32 v10, v10
; %bb.217:
	v_cmp_lt_f32_e32 vcc_lo, v10, v8
	v_cndmask_b32_e32 v9, v2, v9, vcc_lo
; %bb.218:
	s_or_b32 exec_lo, exec_lo, s4
	v_mov_b32_e32 v2, v9
.LBB135_219:
	s_or_b32 exec_lo, exec_lo, s3
	v_and_b32_e32 v8, 0xffff, v2
.LBB135_220:
	s_or_b32 exec_lo, exec_lo, s2
	v_cmp_gt_u32_e32 vcc_lo, 6, v6
	v_add_nc_u32_e32 v10, 2, v6
	s_mov_b32 s2, exec_lo
	s_waitcnt lgkmcnt(0)
	v_cndmask_b32_e64 v9, 0, 2, vcc_lo
	v_add_lshl_u32 v9, v9, v1, 2
	ds_bpermute_b32 v9, v9, v8
	v_cmpx_gt_u32_e64 s0, v10
	s_cbranch_execz .LBB135_226
; %bb.221:
	v_lshlrev_b32_e32 v8, 16, v8
	s_mov_b32 s3, exec_lo
	v_cmpx_o_f32_e32 v8, v8
	s_cbranch_execz .LBB135_225
; %bb.222:
	s_waitcnt lgkmcnt(0)
	v_lshlrev_b32_e32 v10, 16, v9
	s_mov_b32 s4, exec_lo
	v_cmpx_o_f32_e32 v10, v10
; %bb.223:
	v_cmp_lt_f32_e32 vcc_lo, v10, v8
	v_cndmask_b32_e32 v9, v2, v9, vcc_lo
; %bb.224:
	s_or_b32 exec_lo, exec_lo, s4
	v_mov_b32_e32 v2, v9
.LBB135_225:
	s_or_b32 exec_lo, exec_lo, s3
	v_and_b32_e32 v8, 0xffff, v2
.LBB135_226:
	s_or_b32 exec_lo, exec_lo, s2
	v_or_b32_e32 v7, 16, v7
	v_add_nc_u32_e32 v6, 4, v6
	ds_bpermute_b32 v7, v7, v8
	v_cmp_gt_u32_e32 vcc_lo, s0, v6
	s_and_saveexec_b32 s0, vcc_lo
	s_cbranch_execz .LBB135_232
; %bb.227:
	v_lshlrev_b32_e32 v6, 16, v8
	s_mov_b32 s2, exec_lo
	v_cmpx_o_f32_e32 v6, v6
	s_cbranch_execz .LBB135_231
; %bb.228:
	s_waitcnt lgkmcnt(0)
	v_lshlrev_b32_e32 v8, 16, v7
	s_mov_b32 s3, exec_lo
	v_cmpx_o_f32_e32 v8, v8
; %bb.229:
	v_cmp_lt_f32_e32 vcc_lo, v8, v6
	v_cndmask_b32_e32 v7, v2, v7, vcc_lo
; %bb.230:
	s_or_b32 exec_lo, exec_lo, s3
	v_mov_b32_e32 v2, v7
.LBB135_231:
	s_or_b32 exec_lo, exec_lo, s2
.LBB135_232:
	s_or_b32 exec_lo, exec_lo, s0
.LBB135_233:
	s_or_b32 exec_lo, exec_lo, s1
	s_mov_b32 s1, 0
.LBB135_234:
	s_and_b32 vcc_lo, exec_lo, s1
	s_cbranch_vccz .LBB135_272
; %bb.235:
	v_mov_b32_dpp v2, v5 quad_perm:[1,0,3,2] row_mask:0xf bank_mask:0xf
	s_mov_b32 s0, exec_lo
	v_lshlrev_b32_e32 v6, 16, v2
	v_cmpx_o_f32_e32 v6, v6
	s_cbranch_execz .LBB135_239
; %bb.236:
	v_lshlrev_b32_e32 v5, 16, v5
	s_mov_b32 s1, exec_lo
	v_cmpx_o_f32_e32 v5, v5
; %bb.237:
	v_cmp_lt_f32_e32 vcc_lo, v5, v6
	v_cndmask_b32_e32 v4, v2, v4, vcc_lo
; %bb.238:
	s_or_b32 exec_lo, exec_lo, s1
	v_mov_b32_e32 v2, v4
.LBB135_239:
	s_or_b32 exec_lo, exec_lo, s0
	v_and_b32_e32 v6, 0xffff, v2
	s_mov_b32 s0, exec_lo
	v_mov_b32_dpp v4, v6 quad_perm:[2,3,0,1] row_mask:0xf bank_mask:0xf
	v_lshlrev_b32_e32 v5, 16, v4
	v_cmpx_o_f32_e32 v5, v5
	s_cbranch_execz .LBB135_243
; %bb.240:
	v_lshlrev_b32_e32 v6, 16, v6
	s_mov_b32 s1, exec_lo
	v_cmpx_o_f32_e32 v6, v6
; %bb.241:
	v_cmp_lt_f32_e32 vcc_lo, v6, v5
	v_cndmask_b32_e32 v2, v4, v2, vcc_lo
; %bb.242:
	s_or_b32 exec_lo, exec_lo, s1
	v_mov_b32_e32 v4, v2
.LBB135_243:
	s_or_b32 exec_lo, exec_lo, s0
	v_and_b32_e32 v6, 0xffff, v4
	s_mov_b32 s0, exec_lo
	v_mov_b32_dpp v2, v6 row_ror:4 row_mask:0xf bank_mask:0xf
	v_lshlrev_b32_e32 v5, 16, v2
	v_cmpx_o_f32_e32 v5, v5
	s_cbranch_execz .LBB135_247
; %bb.244:
	v_lshlrev_b32_e32 v6, 16, v6
	s_mov_b32 s1, exec_lo
	v_cmpx_o_f32_e32 v6, v6
; %bb.245:
	v_cmp_lt_f32_e32 vcc_lo, v6, v5
	v_cndmask_b32_e32 v4, v2, v4, vcc_lo
; %bb.246:
	s_or_b32 exec_lo, exec_lo, s1
	v_mov_b32_e32 v2, v4
.LBB135_247:
	s_or_b32 exec_lo, exec_lo, s0
	v_and_b32_e32 v6, 0xffff, v2
	s_mov_b32 s0, exec_lo
	v_mov_b32_dpp v4, v6 row_ror:8 row_mask:0xf bank_mask:0xf
	v_lshlrev_b32_e32 v5, 16, v4
	v_cmpx_o_f32_e32 v5, v5
	s_cbranch_execz .LBB135_251
; %bb.248:
	v_lshlrev_b32_e32 v6, 16, v6
	s_mov_b32 s1, exec_lo
	v_cmpx_o_f32_e32 v6, v6
; %bb.249:
	v_cmp_lt_f32_e32 vcc_lo, v6, v5
	v_cndmask_b32_e32 v2, v4, v2, vcc_lo
; %bb.250:
	s_or_b32 exec_lo, exec_lo, s1
	v_mov_b32_e32 v4, v2
.LBB135_251:
	s_or_b32 exec_lo, exec_lo, s0
	v_and_b32_e32 v6, 0xffff, v4
	s_mov_b32 s0, exec_lo
	ds_swizzle_b32 v2, v6 offset:swizzle(BROADCAST,32,15)
	s_waitcnt lgkmcnt(0)
	v_lshlrev_b32_e32 v5, 16, v2
	v_cmpx_o_f32_e32 v5, v5
	s_cbranch_execz .LBB135_255
; %bb.252:
	v_lshlrev_b32_e32 v6, 16, v6
	s_mov_b32 s1, exec_lo
	v_cmpx_o_f32_e32 v6, v6
; %bb.253:
	v_cmp_lt_f32_e32 vcc_lo, v6, v5
	v_cndmask_b32_e32 v4, v2, v4, vcc_lo
; %bb.254:
	s_or_b32 exec_lo, exec_lo, s1
	v_mov_b32_e32 v2, v4
.LBB135_255:
	s_or_b32 exec_lo, exec_lo, s0
	v_and_b32_e32 v2, 0xffff, v2
	v_mov_b32_e32 v4, 0
	s_mov_b32 s0, exec_lo
	ds_bpermute_b32 v2, v4, v2 offset:124
	v_cmpx_eq_u32_e32 0, v1
	s_cbranch_execz .LBB135_257
; %bb.256:
	v_lshlrev_b32_e32 v3, 1, v3
	s_waitcnt lgkmcnt(0)
	ds_write_b16 v3, v2
.LBB135_257:
	s_or_b32 exec_lo, exec_lo, s0
	s_mov_b32 s0, exec_lo
	s_waitcnt lgkmcnt(0)
	s_barrier
	buffer_gl0_inv
	v_cmpx_gt_u32_e32 32, v0
	s_cbranch_execz .LBB135_271
; %bb.258:
	v_and_b32_e32 v3, 7, v1
	s_mov_b32 s1, exec_lo
	v_lshlrev_b32_e32 v2, 1, v3
	v_cmp_ne_u32_e32 vcc_lo, 7, v3
	ds_read_u16 v2, v2
	v_add_co_ci_u32_e64 v4, null, 0, v1, vcc_lo
	v_lshlrev_b32_e32 v4, 2, v4
	s_waitcnt lgkmcnt(0)
	v_and_b32_e32 v5, 0xffff, v2
	ds_bpermute_b32 v4, v4, v5
	v_lshlrev_b32_e32 v5, 16, v2
	v_cmpx_o_f32_e32 v5, v5
	s_cbranch_execz .LBB135_262
; %bb.259:
	s_waitcnt lgkmcnt(0)
	v_lshlrev_b32_e32 v6, 16, v4
	s_mov_b32 s2, exec_lo
	v_cmpx_o_f32_e32 v6, v6
; %bb.260:
	v_cmp_lt_f32_e32 vcc_lo, v6, v5
	v_cndmask_b32_e32 v4, v2, v4, vcc_lo
; %bb.261:
	s_or_b32 exec_lo, exec_lo, s2
	v_mov_b32_e32 v2, v4
.LBB135_262:
	s_or_b32 exec_lo, exec_lo, s1
	v_cmp_gt_u32_e32 vcc_lo, 6, v3
	s_waitcnt lgkmcnt(0)
	v_and_b32_e32 v4, 0xffff, v2
	s_mov_b32 s1, exec_lo
	v_cndmask_b32_e64 v3, 0, 2, vcc_lo
	v_add_lshl_u32 v3, v3, v1, 2
	v_lshlrev_b32_e32 v1, 2, v1
	ds_bpermute_b32 v3, v3, v4
	v_lshlrev_b32_e32 v4, 16, v2
	v_cmpx_o_f32_e32 v4, v4
	s_cbranch_execz .LBB135_266
; %bb.263:
	s_waitcnt lgkmcnt(0)
	v_lshlrev_b32_e32 v5, 16, v3
	s_mov_b32 s2, exec_lo
	v_cmpx_o_f32_e32 v5, v5
; %bb.264:
	v_cmp_lt_f32_e32 vcc_lo, v5, v4
	v_cndmask_b32_e32 v3, v2, v3, vcc_lo
; %bb.265:
	s_or_b32 exec_lo, exec_lo, s2
	v_mov_b32_e32 v2, v3
.LBB135_266:
	s_or_b32 exec_lo, exec_lo, s1
	v_or_b32_e32 v1, 16, v1
	s_waitcnt lgkmcnt(0)
	v_and_b32_e32 v3, 0xffff, v2
	s_mov_b32 s1, exec_lo
	ds_bpermute_b32 v1, v1, v3
	v_lshlrev_b32_e32 v3, 16, v2
	v_cmpx_o_f32_e32 v3, v3
	s_cbranch_execz .LBB135_270
; %bb.267:
	s_waitcnt lgkmcnt(0)
	v_lshlrev_b32_e32 v4, 16, v1
	s_mov_b32 s2, exec_lo
	v_cmpx_o_f32_e32 v4, v4
; %bb.268:
	v_cmp_lt_f32_e32 vcc_lo, v4, v3
	v_cndmask_b32_e32 v1, v2, v1, vcc_lo
; %bb.269:
	s_or_b32 exec_lo, exec_lo, s2
	v_mov_b32_e32 v2, v1
.LBB135_270:
	s_or_b32 exec_lo, exec_lo, s1
.LBB135_271:
	s_or_b32 exec_lo, exec_lo, s0
.LBB135_272:
	s_mov_b32 s0, exec_lo
                                        ; implicit-def: $vgpr1
	v_cmpx_eq_u32_e32 0, v0
	s_cbranch_execz .LBB135_278
; %bb.273:
	s_lshl_b32 s1, s9, 16
	s_waitcnt lgkmcnt(0)
	v_mov_b32_e32 v1, s9
	v_cmp_u_f32_e64 s2, s1, s1
	s_and_b32 vcc_lo, exec_lo, s2
	s_cbranch_vccnz .LBB135_277
; %bb.274:
	v_lshlrev_b32_e32 v0, 16, v2
	s_mov_b32 s2, exec_lo
	v_cmpx_o_f32_e32 v0, v0
; %bb.275:
	v_cmp_gt_f32_e32 vcc_lo, s1, v0
	v_cndmask_b32_e32 v2, s9, v2, vcc_lo
; %bb.276:
	s_or_b32 exec_lo, exec_lo, s2
	v_mov_b32_e32 v1, v2
.LBB135_277:
	s_or_b32 s20, s20, exec_lo
.LBB135_278:
	s_or_b32 exec_lo, exec_lo, s0
	s_and_saveexec_b32 s0, s20
	s_cbranch_execz .LBB135_280
.LBB135_279:
	s_lshl_b64 s[0:1], s[16:17], 1
	v_mov_b32_e32 v0, 0
	s_add_u32 s2, s14, s0
	s_addc_u32 s3, s15, s1
	s_lshl_b64 s[0:1], s[6:7], 1
	s_add_u32 s0, s2, s0
	s_addc_u32 s1, s3, s1
	s_waitcnt lgkmcnt(0)
	global_store_short v0, v1, s[0:1]
.LBB135_280:
	s_endpgm
	.section	.rodata,"a",@progbits
	.p2align	6, 0x0
	.amdhsa_kernel _ZN7rocprim17ROCPRIM_400000_NS6detail17trampoline_kernelINS0_14default_configENS1_32segmented_reduce_config_selectorIN3c108BFloat16EEEZNS1_21segmented_reduce_implIS3_PKS6_PS6_PKiS6_N6hipcub16HIPCUB_304000_NS6detail27convert_result_type_wrapperISA_SB_N2at6native12_GLOBAL__N_19CustomMinEEEEE10hipError_tPvRmT0_T1_jT2_SS_T4_T3_P12ihipStream_tbEUlT_E_NS1_11comp_targetILNS1_3genE8ELNS1_11target_archE1030ELNS1_3gpuE2ELNS1_3repE0EEENS1_30default_config_static_selectorELNS0_4arch9wavefront6targetE0EEEvSR_
		.amdhsa_group_segment_fixed_size 16
		.amdhsa_private_segment_fixed_size 0
		.amdhsa_kernarg_size 48
		.amdhsa_user_sgpr_count 6
		.amdhsa_user_sgpr_private_segment_buffer 1
		.amdhsa_user_sgpr_dispatch_ptr 0
		.amdhsa_user_sgpr_queue_ptr 0
		.amdhsa_user_sgpr_kernarg_segment_ptr 1
		.amdhsa_user_sgpr_dispatch_id 0
		.amdhsa_user_sgpr_flat_scratch_init 0
		.amdhsa_user_sgpr_private_segment_size 0
		.amdhsa_wavefront_size32 1
		.amdhsa_uses_dynamic_stack 0
		.amdhsa_system_sgpr_private_segment_wavefront_offset 0
		.amdhsa_system_sgpr_workgroup_id_x 1
		.amdhsa_system_sgpr_workgroup_id_y 0
		.amdhsa_system_sgpr_workgroup_id_z 0
		.amdhsa_system_sgpr_workgroup_info 0
		.amdhsa_system_vgpr_workitem_id 0
		.amdhsa_next_free_vgpr 16
		.amdhsa_next_free_sgpr 23
		.amdhsa_reserve_vcc 1
		.amdhsa_reserve_flat_scratch 0
		.amdhsa_float_round_mode_32 0
		.amdhsa_float_round_mode_16_64 0
		.amdhsa_float_denorm_mode_32 3
		.amdhsa_float_denorm_mode_16_64 3
		.amdhsa_dx10_clamp 1
		.amdhsa_ieee_mode 1
		.amdhsa_fp16_overflow 0
		.amdhsa_workgroup_processor_mode 1
		.amdhsa_memory_ordered 1
		.amdhsa_forward_progress 1
		.amdhsa_shared_vgpr_count 0
		.amdhsa_exception_fp_ieee_invalid_op 0
		.amdhsa_exception_fp_denorm_src 0
		.amdhsa_exception_fp_ieee_div_zero 0
		.amdhsa_exception_fp_ieee_overflow 0
		.amdhsa_exception_fp_ieee_underflow 0
		.amdhsa_exception_fp_ieee_inexact 0
		.amdhsa_exception_int_div_zero 0
	.end_amdhsa_kernel
	.section	.text._ZN7rocprim17ROCPRIM_400000_NS6detail17trampoline_kernelINS0_14default_configENS1_32segmented_reduce_config_selectorIN3c108BFloat16EEEZNS1_21segmented_reduce_implIS3_PKS6_PS6_PKiS6_N6hipcub16HIPCUB_304000_NS6detail27convert_result_type_wrapperISA_SB_N2at6native12_GLOBAL__N_19CustomMinEEEEE10hipError_tPvRmT0_T1_jT2_SS_T4_T3_P12ihipStream_tbEUlT_E_NS1_11comp_targetILNS1_3genE8ELNS1_11target_archE1030ELNS1_3gpuE2ELNS1_3repE0EEENS1_30default_config_static_selectorELNS0_4arch9wavefront6targetE0EEEvSR_,"axG",@progbits,_ZN7rocprim17ROCPRIM_400000_NS6detail17trampoline_kernelINS0_14default_configENS1_32segmented_reduce_config_selectorIN3c108BFloat16EEEZNS1_21segmented_reduce_implIS3_PKS6_PS6_PKiS6_N6hipcub16HIPCUB_304000_NS6detail27convert_result_type_wrapperISA_SB_N2at6native12_GLOBAL__N_19CustomMinEEEEE10hipError_tPvRmT0_T1_jT2_SS_T4_T3_P12ihipStream_tbEUlT_E_NS1_11comp_targetILNS1_3genE8ELNS1_11target_archE1030ELNS1_3gpuE2ELNS1_3repE0EEENS1_30default_config_static_selectorELNS0_4arch9wavefront6targetE0EEEvSR_,comdat
.Lfunc_end135:
	.size	_ZN7rocprim17ROCPRIM_400000_NS6detail17trampoline_kernelINS0_14default_configENS1_32segmented_reduce_config_selectorIN3c108BFloat16EEEZNS1_21segmented_reduce_implIS3_PKS6_PS6_PKiS6_N6hipcub16HIPCUB_304000_NS6detail27convert_result_type_wrapperISA_SB_N2at6native12_GLOBAL__N_19CustomMinEEEEE10hipError_tPvRmT0_T1_jT2_SS_T4_T3_P12ihipStream_tbEUlT_E_NS1_11comp_targetILNS1_3genE8ELNS1_11target_archE1030ELNS1_3gpuE2ELNS1_3repE0EEENS1_30default_config_static_selectorELNS0_4arch9wavefront6targetE0EEEvSR_, .Lfunc_end135-_ZN7rocprim17ROCPRIM_400000_NS6detail17trampoline_kernelINS0_14default_configENS1_32segmented_reduce_config_selectorIN3c108BFloat16EEEZNS1_21segmented_reduce_implIS3_PKS6_PS6_PKiS6_N6hipcub16HIPCUB_304000_NS6detail27convert_result_type_wrapperISA_SB_N2at6native12_GLOBAL__N_19CustomMinEEEEE10hipError_tPvRmT0_T1_jT2_SS_T4_T3_P12ihipStream_tbEUlT_E_NS1_11comp_targetILNS1_3genE8ELNS1_11target_archE1030ELNS1_3gpuE2ELNS1_3repE0EEENS1_30default_config_static_selectorELNS0_4arch9wavefront6targetE0EEEvSR_
                                        ; -- End function
	.set _ZN7rocprim17ROCPRIM_400000_NS6detail17trampoline_kernelINS0_14default_configENS1_32segmented_reduce_config_selectorIN3c108BFloat16EEEZNS1_21segmented_reduce_implIS3_PKS6_PS6_PKiS6_N6hipcub16HIPCUB_304000_NS6detail27convert_result_type_wrapperISA_SB_N2at6native12_GLOBAL__N_19CustomMinEEEEE10hipError_tPvRmT0_T1_jT2_SS_T4_T3_P12ihipStream_tbEUlT_E_NS1_11comp_targetILNS1_3genE8ELNS1_11target_archE1030ELNS1_3gpuE2ELNS1_3repE0EEENS1_30default_config_static_selectorELNS0_4arch9wavefront6targetE0EEEvSR_.num_vgpr, 16
	.set _ZN7rocprim17ROCPRIM_400000_NS6detail17trampoline_kernelINS0_14default_configENS1_32segmented_reduce_config_selectorIN3c108BFloat16EEEZNS1_21segmented_reduce_implIS3_PKS6_PS6_PKiS6_N6hipcub16HIPCUB_304000_NS6detail27convert_result_type_wrapperISA_SB_N2at6native12_GLOBAL__N_19CustomMinEEEEE10hipError_tPvRmT0_T1_jT2_SS_T4_T3_P12ihipStream_tbEUlT_E_NS1_11comp_targetILNS1_3genE8ELNS1_11target_archE1030ELNS1_3gpuE2ELNS1_3repE0EEENS1_30default_config_static_selectorELNS0_4arch9wavefront6targetE0EEEvSR_.num_agpr, 0
	.set _ZN7rocprim17ROCPRIM_400000_NS6detail17trampoline_kernelINS0_14default_configENS1_32segmented_reduce_config_selectorIN3c108BFloat16EEEZNS1_21segmented_reduce_implIS3_PKS6_PS6_PKiS6_N6hipcub16HIPCUB_304000_NS6detail27convert_result_type_wrapperISA_SB_N2at6native12_GLOBAL__N_19CustomMinEEEEE10hipError_tPvRmT0_T1_jT2_SS_T4_T3_P12ihipStream_tbEUlT_E_NS1_11comp_targetILNS1_3genE8ELNS1_11target_archE1030ELNS1_3gpuE2ELNS1_3repE0EEENS1_30default_config_static_selectorELNS0_4arch9wavefront6targetE0EEEvSR_.numbered_sgpr, 23
	.set _ZN7rocprim17ROCPRIM_400000_NS6detail17trampoline_kernelINS0_14default_configENS1_32segmented_reduce_config_selectorIN3c108BFloat16EEEZNS1_21segmented_reduce_implIS3_PKS6_PS6_PKiS6_N6hipcub16HIPCUB_304000_NS6detail27convert_result_type_wrapperISA_SB_N2at6native12_GLOBAL__N_19CustomMinEEEEE10hipError_tPvRmT0_T1_jT2_SS_T4_T3_P12ihipStream_tbEUlT_E_NS1_11comp_targetILNS1_3genE8ELNS1_11target_archE1030ELNS1_3gpuE2ELNS1_3repE0EEENS1_30default_config_static_selectorELNS0_4arch9wavefront6targetE0EEEvSR_.num_named_barrier, 0
	.set _ZN7rocprim17ROCPRIM_400000_NS6detail17trampoline_kernelINS0_14default_configENS1_32segmented_reduce_config_selectorIN3c108BFloat16EEEZNS1_21segmented_reduce_implIS3_PKS6_PS6_PKiS6_N6hipcub16HIPCUB_304000_NS6detail27convert_result_type_wrapperISA_SB_N2at6native12_GLOBAL__N_19CustomMinEEEEE10hipError_tPvRmT0_T1_jT2_SS_T4_T3_P12ihipStream_tbEUlT_E_NS1_11comp_targetILNS1_3genE8ELNS1_11target_archE1030ELNS1_3gpuE2ELNS1_3repE0EEENS1_30default_config_static_selectorELNS0_4arch9wavefront6targetE0EEEvSR_.private_seg_size, 0
	.set _ZN7rocprim17ROCPRIM_400000_NS6detail17trampoline_kernelINS0_14default_configENS1_32segmented_reduce_config_selectorIN3c108BFloat16EEEZNS1_21segmented_reduce_implIS3_PKS6_PS6_PKiS6_N6hipcub16HIPCUB_304000_NS6detail27convert_result_type_wrapperISA_SB_N2at6native12_GLOBAL__N_19CustomMinEEEEE10hipError_tPvRmT0_T1_jT2_SS_T4_T3_P12ihipStream_tbEUlT_E_NS1_11comp_targetILNS1_3genE8ELNS1_11target_archE1030ELNS1_3gpuE2ELNS1_3repE0EEENS1_30default_config_static_selectorELNS0_4arch9wavefront6targetE0EEEvSR_.uses_vcc, 1
	.set _ZN7rocprim17ROCPRIM_400000_NS6detail17trampoline_kernelINS0_14default_configENS1_32segmented_reduce_config_selectorIN3c108BFloat16EEEZNS1_21segmented_reduce_implIS3_PKS6_PS6_PKiS6_N6hipcub16HIPCUB_304000_NS6detail27convert_result_type_wrapperISA_SB_N2at6native12_GLOBAL__N_19CustomMinEEEEE10hipError_tPvRmT0_T1_jT2_SS_T4_T3_P12ihipStream_tbEUlT_E_NS1_11comp_targetILNS1_3genE8ELNS1_11target_archE1030ELNS1_3gpuE2ELNS1_3repE0EEENS1_30default_config_static_selectorELNS0_4arch9wavefront6targetE0EEEvSR_.uses_flat_scratch, 0
	.set _ZN7rocprim17ROCPRIM_400000_NS6detail17trampoline_kernelINS0_14default_configENS1_32segmented_reduce_config_selectorIN3c108BFloat16EEEZNS1_21segmented_reduce_implIS3_PKS6_PS6_PKiS6_N6hipcub16HIPCUB_304000_NS6detail27convert_result_type_wrapperISA_SB_N2at6native12_GLOBAL__N_19CustomMinEEEEE10hipError_tPvRmT0_T1_jT2_SS_T4_T3_P12ihipStream_tbEUlT_E_NS1_11comp_targetILNS1_3genE8ELNS1_11target_archE1030ELNS1_3gpuE2ELNS1_3repE0EEENS1_30default_config_static_selectorELNS0_4arch9wavefront6targetE0EEEvSR_.has_dyn_sized_stack, 0
	.set _ZN7rocprim17ROCPRIM_400000_NS6detail17trampoline_kernelINS0_14default_configENS1_32segmented_reduce_config_selectorIN3c108BFloat16EEEZNS1_21segmented_reduce_implIS3_PKS6_PS6_PKiS6_N6hipcub16HIPCUB_304000_NS6detail27convert_result_type_wrapperISA_SB_N2at6native12_GLOBAL__N_19CustomMinEEEEE10hipError_tPvRmT0_T1_jT2_SS_T4_T3_P12ihipStream_tbEUlT_E_NS1_11comp_targetILNS1_3genE8ELNS1_11target_archE1030ELNS1_3gpuE2ELNS1_3repE0EEENS1_30default_config_static_selectorELNS0_4arch9wavefront6targetE0EEEvSR_.has_recursion, 0
	.set _ZN7rocprim17ROCPRIM_400000_NS6detail17trampoline_kernelINS0_14default_configENS1_32segmented_reduce_config_selectorIN3c108BFloat16EEEZNS1_21segmented_reduce_implIS3_PKS6_PS6_PKiS6_N6hipcub16HIPCUB_304000_NS6detail27convert_result_type_wrapperISA_SB_N2at6native12_GLOBAL__N_19CustomMinEEEEE10hipError_tPvRmT0_T1_jT2_SS_T4_T3_P12ihipStream_tbEUlT_E_NS1_11comp_targetILNS1_3genE8ELNS1_11target_archE1030ELNS1_3gpuE2ELNS1_3repE0EEENS1_30default_config_static_selectorELNS0_4arch9wavefront6targetE0EEEvSR_.has_indirect_call, 0
	.section	.AMDGPU.csdata,"",@progbits
; Kernel info:
; codeLenInByte = 5172
; TotalNumSgprs: 25
; NumVgprs: 16
; ScratchSize: 0
; MemoryBound: 0
; FloatMode: 240
; IeeeMode: 1
; LDSByteSize: 16 bytes/workgroup (compile time only)
; SGPRBlocks: 0
; VGPRBlocks: 1
; NumSGPRsForWavesPerEU: 25
; NumVGPRsForWavesPerEU: 16
; Occupancy: 16
; WaveLimiterHint : 1
; COMPUTE_PGM_RSRC2:SCRATCH_EN: 0
; COMPUTE_PGM_RSRC2:USER_SGPR: 6
; COMPUTE_PGM_RSRC2:TRAP_HANDLER: 0
; COMPUTE_PGM_RSRC2:TGID_X_EN: 1
; COMPUTE_PGM_RSRC2:TGID_Y_EN: 0
; COMPUTE_PGM_RSRC2:TGID_Z_EN: 0
; COMPUTE_PGM_RSRC2:TIDIG_COMP_CNT: 0
	.section	.text._ZN7rocprim17ROCPRIM_400000_NS6detail17trampoline_kernelINS0_14default_configENS1_32segmented_reduce_config_selectorIN3c108BFloat16EEEZNS1_21segmented_reduce_implIS3_PKS6_PS6_PKiS6_N6hipcub16HIPCUB_304000_NS6detail27convert_result_type_wrapperISA_SB_N2at6native12_GLOBAL__N_110CustomProdEEEEE10hipError_tPvRmT0_T1_jT2_SS_T4_T3_P12ihipStream_tbEUlT_E_NS1_11comp_targetILNS1_3genE0ELNS1_11target_archE4294967295ELNS1_3gpuE0ELNS1_3repE0EEENS1_30default_config_static_selectorELNS0_4arch9wavefront6targetE0EEEvSR_,"axG",@progbits,_ZN7rocprim17ROCPRIM_400000_NS6detail17trampoline_kernelINS0_14default_configENS1_32segmented_reduce_config_selectorIN3c108BFloat16EEEZNS1_21segmented_reduce_implIS3_PKS6_PS6_PKiS6_N6hipcub16HIPCUB_304000_NS6detail27convert_result_type_wrapperISA_SB_N2at6native12_GLOBAL__N_110CustomProdEEEEE10hipError_tPvRmT0_T1_jT2_SS_T4_T3_P12ihipStream_tbEUlT_E_NS1_11comp_targetILNS1_3genE0ELNS1_11target_archE4294967295ELNS1_3gpuE0ELNS1_3repE0EEENS1_30default_config_static_selectorELNS0_4arch9wavefront6targetE0EEEvSR_,comdat
	.globl	_ZN7rocprim17ROCPRIM_400000_NS6detail17trampoline_kernelINS0_14default_configENS1_32segmented_reduce_config_selectorIN3c108BFloat16EEEZNS1_21segmented_reduce_implIS3_PKS6_PS6_PKiS6_N6hipcub16HIPCUB_304000_NS6detail27convert_result_type_wrapperISA_SB_N2at6native12_GLOBAL__N_110CustomProdEEEEE10hipError_tPvRmT0_T1_jT2_SS_T4_T3_P12ihipStream_tbEUlT_E_NS1_11comp_targetILNS1_3genE0ELNS1_11target_archE4294967295ELNS1_3gpuE0ELNS1_3repE0EEENS1_30default_config_static_selectorELNS0_4arch9wavefront6targetE0EEEvSR_ ; -- Begin function _ZN7rocprim17ROCPRIM_400000_NS6detail17trampoline_kernelINS0_14default_configENS1_32segmented_reduce_config_selectorIN3c108BFloat16EEEZNS1_21segmented_reduce_implIS3_PKS6_PS6_PKiS6_N6hipcub16HIPCUB_304000_NS6detail27convert_result_type_wrapperISA_SB_N2at6native12_GLOBAL__N_110CustomProdEEEEE10hipError_tPvRmT0_T1_jT2_SS_T4_T3_P12ihipStream_tbEUlT_E_NS1_11comp_targetILNS1_3genE0ELNS1_11target_archE4294967295ELNS1_3gpuE0ELNS1_3repE0EEENS1_30default_config_static_selectorELNS0_4arch9wavefront6targetE0EEEvSR_
	.p2align	8
	.type	_ZN7rocprim17ROCPRIM_400000_NS6detail17trampoline_kernelINS0_14default_configENS1_32segmented_reduce_config_selectorIN3c108BFloat16EEEZNS1_21segmented_reduce_implIS3_PKS6_PS6_PKiS6_N6hipcub16HIPCUB_304000_NS6detail27convert_result_type_wrapperISA_SB_N2at6native12_GLOBAL__N_110CustomProdEEEEE10hipError_tPvRmT0_T1_jT2_SS_T4_T3_P12ihipStream_tbEUlT_E_NS1_11comp_targetILNS1_3genE0ELNS1_11target_archE4294967295ELNS1_3gpuE0ELNS1_3repE0EEENS1_30default_config_static_selectorELNS0_4arch9wavefront6targetE0EEEvSR_,@function
_ZN7rocprim17ROCPRIM_400000_NS6detail17trampoline_kernelINS0_14default_configENS1_32segmented_reduce_config_selectorIN3c108BFloat16EEEZNS1_21segmented_reduce_implIS3_PKS6_PS6_PKiS6_N6hipcub16HIPCUB_304000_NS6detail27convert_result_type_wrapperISA_SB_N2at6native12_GLOBAL__N_110CustomProdEEEEE10hipError_tPvRmT0_T1_jT2_SS_T4_T3_P12ihipStream_tbEUlT_E_NS1_11comp_targetILNS1_3genE0ELNS1_11target_archE4294967295ELNS1_3gpuE0ELNS1_3repE0EEENS1_30default_config_static_selectorELNS0_4arch9wavefront6targetE0EEEvSR_: ; @_ZN7rocprim17ROCPRIM_400000_NS6detail17trampoline_kernelINS0_14default_configENS1_32segmented_reduce_config_selectorIN3c108BFloat16EEEZNS1_21segmented_reduce_implIS3_PKS6_PS6_PKiS6_N6hipcub16HIPCUB_304000_NS6detail27convert_result_type_wrapperISA_SB_N2at6native12_GLOBAL__N_110CustomProdEEEEE10hipError_tPvRmT0_T1_jT2_SS_T4_T3_P12ihipStream_tbEUlT_E_NS1_11comp_targetILNS1_3genE0ELNS1_11target_archE4294967295ELNS1_3gpuE0ELNS1_3repE0EEENS1_30default_config_static_selectorELNS0_4arch9wavefront6targetE0EEEvSR_
; %bb.0:
	.section	.rodata,"a",@progbits
	.p2align	6, 0x0
	.amdhsa_kernel _ZN7rocprim17ROCPRIM_400000_NS6detail17trampoline_kernelINS0_14default_configENS1_32segmented_reduce_config_selectorIN3c108BFloat16EEEZNS1_21segmented_reduce_implIS3_PKS6_PS6_PKiS6_N6hipcub16HIPCUB_304000_NS6detail27convert_result_type_wrapperISA_SB_N2at6native12_GLOBAL__N_110CustomProdEEEEE10hipError_tPvRmT0_T1_jT2_SS_T4_T3_P12ihipStream_tbEUlT_E_NS1_11comp_targetILNS1_3genE0ELNS1_11target_archE4294967295ELNS1_3gpuE0ELNS1_3repE0EEENS1_30default_config_static_selectorELNS0_4arch9wavefront6targetE0EEEvSR_
		.amdhsa_group_segment_fixed_size 0
		.amdhsa_private_segment_fixed_size 0
		.amdhsa_kernarg_size 48
		.amdhsa_user_sgpr_count 6
		.amdhsa_user_sgpr_private_segment_buffer 1
		.amdhsa_user_sgpr_dispatch_ptr 0
		.amdhsa_user_sgpr_queue_ptr 0
		.amdhsa_user_sgpr_kernarg_segment_ptr 1
		.amdhsa_user_sgpr_dispatch_id 0
		.amdhsa_user_sgpr_flat_scratch_init 0
		.amdhsa_user_sgpr_private_segment_size 0
		.amdhsa_wavefront_size32 1
		.amdhsa_uses_dynamic_stack 0
		.amdhsa_system_sgpr_private_segment_wavefront_offset 0
		.amdhsa_system_sgpr_workgroup_id_x 1
		.amdhsa_system_sgpr_workgroup_id_y 0
		.amdhsa_system_sgpr_workgroup_id_z 0
		.amdhsa_system_sgpr_workgroup_info 0
		.amdhsa_system_vgpr_workitem_id 0
		.amdhsa_next_free_vgpr 1
		.amdhsa_next_free_sgpr 1
		.amdhsa_reserve_vcc 0
		.amdhsa_reserve_flat_scratch 0
		.amdhsa_float_round_mode_32 0
		.amdhsa_float_round_mode_16_64 0
		.amdhsa_float_denorm_mode_32 3
		.amdhsa_float_denorm_mode_16_64 3
		.amdhsa_dx10_clamp 1
		.amdhsa_ieee_mode 1
		.amdhsa_fp16_overflow 0
		.amdhsa_workgroup_processor_mode 1
		.amdhsa_memory_ordered 1
		.amdhsa_forward_progress 1
		.amdhsa_shared_vgpr_count 0
		.amdhsa_exception_fp_ieee_invalid_op 0
		.amdhsa_exception_fp_denorm_src 0
		.amdhsa_exception_fp_ieee_div_zero 0
		.amdhsa_exception_fp_ieee_overflow 0
		.amdhsa_exception_fp_ieee_underflow 0
		.amdhsa_exception_fp_ieee_inexact 0
		.amdhsa_exception_int_div_zero 0
	.end_amdhsa_kernel
	.section	.text._ZN7rocprim17ROCPRIM_400000_NS6detail17trampoline_kernelINS0_14default_configENS1_32segmented_reduce_config_selectorIN3c108BFloat16EEEZNS1_21segmented_reduce_implIS3_PKS6_PS6_PKiS6_N6hipcub16HIPCUB_304000_NS6detail27convert_result_type_wrapperISA_SB_N2at6native12_GLOBAL__N_110CustomProdEEEEE10hipError_tPvRmT0_T1_jT2_SS_T4_T3_P12ihipStream_tbEUlT_E_NS1_11comp_targetILNS1_3genE0ELNS1_11target_archE4294967295ELNS1_3gpuE0ELNS1_3repE0EEENS1_30default_config_static_selectorELNS0_4arch9wavefront6targetE0EEEvSR_,"axG",@progbits,_ZN7rocprim17ROCPRIM_400000_NS6detail17trampoline_kernelINS0_14default_configENS1_32segmented_reduce_config_selectorIN3c108BFloat16EEEZNS1_21segmented_reduce_implIS3_PKS6_PS6_PKiS6_N6hipcub16HIPCUB_304000_NS6detail27convert_result_type_wrapperISA_SB_N2at6native12_GLOBAL__N_110CustomProdEEEEE10hipError_tPvRmT0_T1_jT2_SS_T4_T3_P12ihipStream_tbEUlT_E_NS1_11comp_targetILNS1_3genE0ELNS1_11target_archE4294967295ELNS1_3gpuE0ELNS1_3repE0EEENS1_30default_config_static_selectorELNS0_4arch9wavefront6targetE0EEEvSR_,comdat
.Lfunc_end136:
	.size	_ZN7rocprim17ROCPRIM_400000_NS6detail17trampoline_kernelINS0_14default_configENS1_32segmented_reduce_config_selectorIN3c108BFloat16EEEZNS1_21segmented_reduce_implIS3_PKS6_PS6_PKiS6_N6hipcub16HIPCUB_304000_NS6detail27convert_result_type_wrapperISA_SB_N2at6native12_GLOBAL__N_110CustomProdEEEEE10hipError_tPvRmT0_T1_jT2_SS_T4_T3_P12ihipStream_tbEUlT_E_NS1_11comp_targetILNS1_3genE0ELNS1_11target_archE4294967295ELNS1_3gpuE0ELNS1_3repE0EEENS1_30default_config_static_selectorELNS0_4arch9wavefront6targetE0EEEvSR_, .Lfunc_end136-_ZN7rocprim17ROCPRIM_400000_NS6detail17trampoline_kernelINS0_14default_configENS1_32segmented_reduce_config_selectorIN3c108BFloat16EEEZNS1_21segmented_reduce_implIS3_PKS6_PS6_PKiS6_N6hipcub16HIPCUB_304000_NS6detail27convert_result_type_wrapperISA_SB_N2at6native12_GLOBAL__N_110CustomProdEEEEE10hipError_tPvRmT0_T1_jT2_SS_T4_T3_P12ihipStream_tbEUlT_E_NS1_11comp_targetILNS1_3genE0ELNS1_11target_archE4294967295ELNS1_3gpuE0ELNS1_3repE0EEENS1_30default_config_static_selectorELNS0_4arch9wavefront6targetE0EEEvSR_
                                        ; -- End function
	.set _ZN7rocprim17ROCPRIM_400000_NS6detail17trampoline_kernelINS0_14default_configENS1_32segmented_reduce_config_selectorIN3c108BFloat16EEEZNS1_21segmented_reduce_implIS3_PKS6_PS6_PKiS6_N6hipcub16HIPCUB_304000_NS6detail27convert_result_type_wrapperISA_SB_N2at6native12_GLOBAL__N_110CustomProdEEEEE10hipError_tPvRmT0_T1_jT2_SS_T4_T3_P12ihipStream_tbEUlT_E_NS1_11comp_targetILNS1_3genE0ELNS1_11target_archE4294967295ELNS1_3gpuE0ELNS1_3repE0EEENS1_30default_config_static_selectorELNS0_4arch9wavefront6targetE0EEEvSR_.num_vgpr, 0
	.set _ZN7rocprim17ROCPRIM_400000_NS6detail17trampoline_kernelINS0_14default_configENS1_32segmented_reduce_config_selectorIN3c108BFloat16EEEZNS1_21segmented_reduce_implIS3_PKS6_PS6_PKiS6_N6hipcub16HIPCUB_304000_NS6detail27convert_result_type_wrapperISA_SB_N2at6native12_GLOBAL__N_110CustomProdEEEEE10hipError_tPvRmT0_T1_jT2_SS_T4_T3_P12ihipStream_tbEUlT_E_NS1_11comp_targetILNS1_3genE0ELNS1_11target_archE4294967295ELNS1_3gpuE0ELNS1_3repE0EEENS1_30default_config_static_selectorELNS0_4arch9wavefront6targetE0EEEvSR_.num_agpr, 0
	.set _ZN7rocprim17ROCPRIM_400000_NS6detail17trampoline_kernelINS0_14default_configENS1_32segmented_reduce_config_selectorIN3c108BFloat16EEEZNS1_21segmented_reduce_implIS3_PKS6_PS6_PKiS6_N6hipcub16HIPCUB_304000_NS6detail27convert_result_type_wrapperISA_SB_N2at6native12_GLOBAL__N_110CustomProdEEEEE10hipError_tPvRmT0_T1_jT2_SS_T4_T3_P12ihipStream_tbEUlT_E_NS1_11comp_targetILNS1_3genE0ELNS1_11target_archE4294967295ELNS1_3gpuE0ELNS1_3repE0EEENS1_30default_config_static_selectorELNS0_4arch9wavefront6targetE0EEEvSR_.numbered_sgpr, 0
	.set _ZN7rocprim17ROCPRIM_400000_NS6detail17trampoline_kernelINS0_14default_configENS1_32segmented_reduce_config_selectorIN3c108BFloat16EEEZNS1_21segmented_reduce_implIS3_PKS6_PS6_PKiS6_N6hipcub16HIPCUB_304000_NS6detail27convert_result_type_wrapperISA_SB_N2at6native12_GLOBAL__N_110CustomProdEEEEE10hipError_tPvRmT0_T1_jT2_SS_T4_T3_P12ihipStream_tbEUlT_E_NS1_11comp_targetILNS1_3genE0ELNS1_11target_archE4294967295ELNS1_3gpuE0ELNS1_3repE0EEENS1_30default_config_static_selectorELNS0_4arch9wavefront6targetE0EEEvSR_.num_named_barrier, 0
	.set _ZN7rocprim17ROCPRIM_400000_NS6detail17trampoline_kernelINS0_14default_configENS1_32segmented_reduce_config_selectorIN3c108BFloat16EEEZNS1_21segmented_reduce_implIS3_PKS6_PS6_PKiS6_N6hipcub16HIPCUB_304000_NS6detail27convert_result_type_wrapperISA_SB_N2at6native12_GLOBAL__N_110CustomProdEEEEE10hipError_tPvRmT0_T1_jT2_SS_T4_T3_P12ihipStream_tbEUlT_E_NS1_11comp_targetILNS1_3genE0ELNS1_11target_archE4294967295ELNS1_3gpuE0ELNS1_3repE0EEENS1_30default_config_static_selectorELNS0_4arch9wavefront6targetE0EEEvSR_.private_seg_size, 0
	.set _ZN7rocprim17ROCPRIM_400000_NS6detail17trampoline_kernelINS0_14default_configENS1_32segmented_reduce_config_selectorIN3c108BFloat16EEEZNS1_21segmented_reduce_implIS3_PKS6_PS6_PKiS6_N6hipcub16HIPCUB_304000_NS6detail27convert_result_type_wrapperISA_SB_N2at6native12_GLOBAL__N_110CustomProdEEEEE10hipError_tPvRmT0_T1_jT2_SS_T4_T3_P12ihipStream_tbEUlT_E_NS1_11comp_targetILNS1_3genE0ELNS1_11target_archE4294967295ELNS1_3gpuE0ELNS1_3repE0EEENS1_30default_config_static_selectorELNS0_4arch9wavefront6targetE0EEEvSR_.uses_vcc, 0
	.set _ZN7rocprim17ROCPRIM_400000_NS6detail17trampoline_kernelINS0_14default_configENS1_32segmented_reduce_config_selectorIN3c108BFloat16EEEZNS1_21segmented_reduce_implIS3_PKS6_PS6_PKiS6_N6hipcub16HIPCUB_304000_NS6detail27convert_result_type_wrapperISA_SB_N2at6native12_GLOBAL__N_110CustomProdEEEEE10hipError_tPvRmT0_T1_jT2_SS_T4_T3_P12ihipStream_tbEUlT_E_NS1_11comp_targetILNS1_3genE0ELNS1_11target_archE4294967295ELNS1_3gpuE0ELNS1_3repE0EEENS1_30default_config_static_selectorELNS0_4arch9wavefront6targetE0EEEvSR_.uses_flat_scratch, 0
	.set _ZN7rocprim17ROCPRIM_400000_NS6detail17trampoline_kernelINS0_14default_configENS1_32segmented_reduce_config_selectorIN3c108BFloat16EEEZNS1_21segmented_reduce_implIS3_PKS6_PS6_PKiS6_N6hipcub16HIPCUB_304000_NS6detail27convert_result_type_wrapperISA_SB_N2at6native12_GLOBAL__N_110CustomProdEEEEE10hipError_tPvRmT0_T1_jT2_SS_T4_T3_P12ihipStream_tbEUlT_E_NS1_11comp_targetILNS1_3genE0ELNS1_11target_archE4294967295ELNS1_3gpuE0ELNS1_3repE0EEENS1_30default_config_static_selectorELNS0_4arch9wavefront6targetE0EEEvSR_.has_dyn_sized_stack, 0
	.set _ZN7rocprim17ROCPRIM_400000_NS6detail17trampoline_kernelINS0_14default_configENS1_32segmented_reduce_config_selectorIN3c108BFloat16EEEZNS1_21segmented_reduce_implIS3_PKS6_PS6_PKiS6_N6hipcub16HIPCUB_304000_NS6detail27convert_result_type_wrapperISA_SB_N2at6native12_GLOBAL__N_110CustomProdEEEEE10hipError_tPvRmT0_T1_jT2_SS_T4_T3_P12ihipStream_tbEUlT_E_NS1_11comp_targetILNS1_3genE0ELNS1_11target_archE4294967295ELNS1_3gpuE0ELNS1_3repE0EEENS1_30default_config_static_selectorELNS0_4arch9wavefront6targetE0EEEvSR_.has_recursion, 0
	.set _ZN7rocprim17ROCPRIM_400000_NS6detail17trampoline_kernelINS0_14default_configENS1_32segmented_reduce_config_selectorIN3c108BFloat16EEEZNS1_21segmented_reduce_implIS3_PKS6_PS6_PKiS6_N6hipcub16HIPCUB_304000_NS6detail27convert_result_type_wrapperISA_SB_N2at6native12_GLOBAL__N_110CustomProdEEEEE10hipError_tPvRmT0_T1_jT2_SS_T4_T3_P12ihipStream_tbEUlT_E_NS1_11comp_targetILNS1_3genE0ELNS1_11target_archE4294967295ELNS1_3gpuE0ELNS1_3repE0EEENS1_30default_config_static_selectorELNS0_4arch9wavefront6targetE0EEEvSR_.has_indirect_call, 0
	.section	.AMDGPU.csdata,"",@progbits
; Kernel info:
; codeLenInByte = 0
; TotalNumSgprs: 0
; NumVgprs: 0
; ScratchSize: 0
; MemoryBound: 0
; FloatMode: 240
; IeeeMode: 1
; LDSByteSize: 0 bytes/workgroup (compile time only)
; SGPRBlocks: 0
; VGPRBlocks: 0
; NumSGPRsForWavesPerEU: 1
; NumVGPRsForWavesPerEU: 1
; Occupancy: 16
; WaveLimiterHint : 0
; COMPUTE_PGM_RSRC2:SCRATCH_EN: 0
; COMPUTE_PGM_RSRC2:USER_SGPR: 6
; COMPUTE_PGM_RSRC2:TRAP_HANDLER: 0
; COMPUTE_PGM_RSRC2:TGID_X_EN: 1
; COMPUTE_PGM_RSRC2:TGID_Y_EN: 0
; COMPUTE_PGM_RSRC2:TGID_Z_EN: 0
; COMPUTE_PGM_RSRC2:TIDIG_COMP_CNT: 0
	.section	.text._ZN7rocprim17ROCPRIM_400000_NS6detail17trampoline_kernelINS0_14default_configENS1_32segmented_reduce_config_selectorIN3c108BFloat16EEEZNS1_21segmented_reduce_implIS3_PKS6_PS6_PKiS6_N6hipcub16HIPCUB_304000_NS6detail27convert_result_type_wrapperISA_SB_N2at6native12_GLOBAL__N_110CustomProdEEEEE10hipError_tPvRmT0_T1_jT2_SS_T4_T3_P12ihipStream_tbEUlT_E_NS1_11comp_targetILNS1_3genE5ELNS1_11target_archE942ELNS1_3gpuE9ELNS1_3repE0EEENS1_30default_config_static_selectorELNS0_4arch9wavefront6targetE0EEEvSR_,"axG",@progbits,_ZN7rocprim17ROCPRIM_400000_NS6detail17trampoline_kernelINS0_14default_configENS1_32segmented_reduce_config_selectorIN3c108BFloat16EEEZNS1_21segmented_reduce_implIS3_PKS6_PS6_PKiS6_N6hipcub16HIPCUB_304000_NS6detail27convert_result_type_wrapperISA_SB_N2at6native12_GLOBAL__N_110CustomProdEEEEE10hipError_tPvRmT0_T1_jT2_SS_T4_T3_P12ihipStream_tbEUlT_E_NS1_11comp_targetILNS1_3genE5ELNS1_11target_archE942ELNS1_3gpuE9ELNS1_3repE0EEENS1_30default_config_static_selectorELNS0_4arch9wavefront6targetE0EEEvSR_,comdat
	.globl	_ZN7rocprim17ROCPRIM_400000_NS6detail17trampoline_kernelINS0_14default_configENS1_32segmented_reduce_config_selectorIN3c108BFloat16EEEZNS1_21segmented_reduce_implIS3_PKS6_PS6_PKiS6_N6hipcub16HIPCUB_304000_NS6detail27convert_result_type_wrapperISA_SB_N2at6native12_GLOBAL__N_110CustomProdEEEEE10hipError_tPvRmT0_T1_jT2_SS_T4_T3_P12ihipStream_tbEUlT_E_NS1_11comp_targetILNS1_3genE5ELNS1_11target_archE942ELNS1_3gpuE9ELNS1_3repE0EEENS1_30default_config_static_selectorELNS0_4arch9wavefront6targetE0EEEvSR_ ; -- Begin function _ZN7rocprim17ROCPRIM_400000_NS6detail17trampoline_kernelINS0_14default_configENS1_32segmented_reduce_config_selectorIN3c108BFloat16EEEZNS1_21segmented_reduce_implIS3_PKS6_PS6_PKiS6_N6hipcub16HIPCUB_304000_NS6detail27convert_result_type_wrapperISA_SB_N2at6native12_GLOBAL__N_110CustomProdEEEEE10hipError_tPvRmT0_T1_jT2_SS_T4_T3_P12ihipStream_tbEUlT_E_NS1_11comp_targetILNS1_3genE5ELNS1_11target_archE942ELNS1_3gpuE9ELNS1_3repE0EEENS1_30default_config_static_selectorELNS0_4arch9wavefront6targetE0EEEvSR_
	.p2align	8
	.type	_ZN7rocprim17ROCPRIM_400000_NS6detail17trampoline_kernelINS0_14default_configENS1_32segmented_reduce_config_selectorIN3c108BFloat16EEEZNS1_21segmented_reduce_implIS3_PKS6_PS6_PKiS6_N6hipcub16HIPCUB_304000_NS6detail27convert_result_type_wrapperISA_SB_N2at6native12_GLOBAL__N_110CustomProdEEEEE10hipError_tPvRmT0_T1_jT2_SS_T4_T3_P12ihipStream_tbEUlT_E_NS1_11comp_targetILNS1_3genE5ELNS1_11target_archE942ELNS1_3gpuE9ELNS1_3repE0EEENS1_30default_config_static_selectorELNS0_4arch9wavefront6targetE0EEEvSR_,@function
_ZN7rocprim17ROCPRIM_400000_NS6detail17trampoline_kernelINS0_14default_configENS1_32segmented_reduce_config_selectorIN3c108BFloat16EEEZNS1_21segmented_reduce_implIS3_PKS6_PS6_PKiS6_N6hipcub16HIPCUB_304000_NS6detail27convert_result_type_wrapperISA_SB_N2at6native12_GLOBAL__N_110CustomProdEEEEE10hipError_tPvRmT0_T1_jT2_SS_T4_T3_P12ihipStream_tbEUlT_E_NS1_11comp_targetILNS1_3genE5ELNS1_11target_archE942ELNS1_3gpuE9ELNS1_3repE0EEENS1_30default_config_static_selectorELNS0_4arch9wavefront6targetE0EEEvSR_: ; @_ZN7rocprim17ROCPRIM_400000_NS6detail17trampoline_kernelINS0_14default_configENS1_32segmented_reduce_config_selectorIN3c108BFloat16EEEZNS1_21segmented_reduce_implIS3_PKS6_PS6_PKiS6_N6hipcub16HIPCUB_304000_NS6detail27convert_result_type_wrapperISA_SB_N2at6native12_GLOBAL__N_110CustomProdEEEEE10hipError_tPvRmT0_T1_jT2_SS_T4_T3_P12ihipStream_tbEUlT_E_NS1_11comp_targetILNS1_3genE5ELNS1_11target_archE942ELNS1_3gpuE9ELNS1_3repE0EEENS1_30default_config_static_selectorELNS0_4arch9wavefront6targetE0EEEvSR_
; %bb.0:
	.section	.rodata,"a",@progbits
	.p2align	6, 0x0
	.amdhsa_kernel _ZN7rocprim17ROCPRIM_400000_NS6detail17trampoline_kernelINS0_14default_configENS1_32segmented_reduce_config_selectorIN3c108BFloat16EEEZNS1_21segmented_reduce_implIS3_PKS6_PS6_PKiS6_N6hipcub16HIPCUB_304000_NS6detail27convert_result_type_wrapperISA_SB_N2at6native12_GLOBAL__N_110CustomProdEEEEE10hipError_tPvRmT0_T1_jT2_SS_T4_T3_P12ihipStream_tbEUlT_E_NS1_11comp_targetILNS1_3genE5ELNS1_11target_archE942ELNS1_3gpuE9ELNS1_3repE0EEENS1_30default_config_static_selectorELNS0_4arch9wavefront6targetE0EEEvSR_
		.amdhsa_group_segment_fixed_size 0
		.amdhsa_private_segment_fixed_size 0
		.amdhsa_kernarg_size 48
		.amdhsa_user_sgpr_count 6
		.amdhsa_user_sgpr_private_segment_buffer 1
		.amdhsa_user_sgpr_dispatch_ptr 0
		.amdhsa_user_sgpr_queue_ptr 0
		.amdhsa_user_sgpr_kernarg_segment_ptr 1
		.amdhsa_user_sgpr_dispatch_id 0
		.amdhsa_user_sgpr_flat_scratch_init 0
		.amdhsa_user_sgpr_private_segment_size 0
		.amdhsa_wavefront_size32 1
		.amdhsa_uses_dynamic_stack 0
		.amdhsa_system_sgpr_private_segment_wavefront_offset 0
		.amdhsa_system_sgpr_workgroup_id_x 1
		.amdhsa_system_sgpr_workgroup_id_y 0
		.amdhsa_system_sgpr_workgroup_id_z 0
		.amdhsa_system_sgpr_workgroup_info 0
		.amdhsa_system_vgpr_workitem_id 0
		.amdhsa_next_free_vgpr 1
		.amdhsa_next_free_sgpr 1
		.amdhsa_reserve_vcc 0
		.amdhsa_reserve_flat_scratch 0
		.amdhsa_float_round_mode_32 0
		.amdhsa_float_round_mode_16_64 0
		.amdhsa_float_denorm_mode_32 3
		.amdhsa_float_denorm_mode_16_64 3
		.amdhsa_dx10_clamp 1
		.amdhsa_ieee_mode 1
		.amdhsa_fp16_overflow 0
		.amdhsa_workgroup_processor_mode 1
		.amdhsa_memory_ordered 1
		.amdhsa_forward_progress 1
		.amdhsa_shared_vgpr_count 0
		.amdhsa_exception_fp_ieee_invalid_op 0
		.amdhsa_exception_fp_denorm_src 0
		.amdhsa_exception_fp_ieee_div_zero 0
		.amdhsa_exception_fp_ieee_overflow 0
		.amdhsa_exception_fp_ieee_underflow 0
		.amdhsa_exception_fp_ieee_inexact 0
		.amdhsa_exception_int_div_zero 0
	.end_amdhsa_kernel
	.section	.text._ZN7rocprim17ROCPRIM_400000_NS6detail17trampoline_kernelINS0_14default_configENS1_32segmented_reduce_config_selectorIN3c108BFloat16EEEZNS1_21segmented_reduce_implIS3_PKS6_PS6_PKiS6_N6hipcub16HIPCUB_304000_NS6detail27convert_result_type_wrapperISA_SB_N2at6native12_GLOBAL__N_110CustomProdEEEEE10hipError_tPvRmT0_T1_jT2_SS_T4_T3_P12ihipStream_tbEUlT_E_NS1_11comp_targetILNS1_3genE5ELNS1_11target_archE942ELNS1_3gpuE9ELNS1_3repE0EEENS1_30default_config_static_selectorELNS0_4arch9wavefront6targetE0EEEvSR_,"axG",@progbits,_ZN7rocprim17ROCPRIM_400000_NS6detail17trampoline_kernelINS0_14default_configENS1_32segmented_reduce_config_selectorIN3c108BFloat16EEEZNS1_21segmented_reduce_implIS3_PKS6_PS6_PKiS6_N6hipcub16HIPCUB_304000_NS6detail27convert_result_type_wrapperISA_SB_N2at6native12_GLOBAL__N_110CustomProdEEEEE10hipError_tPvRmT0_T1_jT2_SS_T4_T3_P12ihipStream_tbEUlT_E_NS1_11comp_targetILNS1_3genE5ELNS1_11target_archE942ELNS1_3gpuE9ELNS1_3repE0EEENS1_30default_config_static_selectorELNS0_4arch9wavefront6targetE0EEEvSR_,comdat
.Lfunc_end137:
	.size	_ZN7rocprim17ROCPRIM_400000_NS6detail17trampoline_kernelINS0_14default_configENS1_32segmented_reduce_config_selectorIN3c108BFloat16EEEZNS1_21segmented_reduce_implIS3_PKS6_PS6_PKiS6_N6hipcub16HIPCUB_304000_NS6detail27convert_result_type_wrapperISA_SB_N2at6native12_GLOBAL__N_110CustomProdEEEEE10hipError_tPvRmT0_T1_jT2_SS_T4_T3_P12ihipStream_tbEUlT_E_NS1_11comp_targetILNS1_3genE5ELNS1_11target_archE942ELNS1_3gpuE9ELNS1_3repE0EEENS1_30default_config_static_selectorELNS0_4arch9wavefront6targetE0EEEvSR_, .Lfunc_end137-_ZN7rocprim17ROCPRIM_400000_NS6detail17trampoline_kernelINS0_14default_configENS1_32segmented_reduce_config_selectorIN3c108BFloat16EEEZNS1_21segmented_reduce_implIS3_PKS6_PS6_PKiS6_N6hipcub16HIPCUB_304000_NS6detail27convert_result_type_wrapperISA_SB_N2at6native12_GLOBAL__N_110CustomProdEEEEE10hipError_tPvRmT0_T1_jT2_SS_T4_T3_P12ihipStream_tbEUlT_E_NS1_11comp_targetILNS1_3genE5ELNS1_11target_archE942ELNS1_3gpuE9ELNS1_3repE0EEENS1_30default_config_static_selectorELNS0_4arch9wavefront6targetE0EEEvSR_
                                        ; -- End function
	.set _ZN7rocprim17ROCPRIM_400000_NS6detail17trampoline_kernelINS0_14default_configENS1_32segmented_reduce_config_selectorIN3c108BFloat16EEEZNS1_21segmented_reduce_implIS3_PKS6_PS6_PKiS6_N6hipcub16HIPCUB_304000_NS6detail27convert_result_type_wrapperISA_SB_N2at6native12_GLOBAL__N_110CustomProdEEEEE10hipError_tPvRmT0_T1_jT2_SS_T4_T3_P12ihipStream_tbEUlT_E_NS1_11comp_targetILNS1_3genE5ELNS1_11target_archE942ELNS1_3gpuE9ELNS1_3repE0EEENS1_30default_config_static_selectorELNS0_4arch9wavefront6targetE0EEEvSR_.num_vgpr, 0
	.set _ZN7rocprim17ROCPRIM_400000_NS6detail17trampoline_kernelINS0_14default_configENS1_32segmented_reduce_config_selectorIN3c108BFloat16EEEZNS1_21segmented_reduce_implIS3_PKS6_PS6_PKiS6_N6hipcub16HIPCUB_304000_NS6detail27convert_result_type_wrapperISA_SB_N2at6native12_GLOBAL__N_110CustomProdEEEEE10hipError_tPvRmT0_T1_jT2_SS_T4_T3_P12ihipStream_tbEUlT_E_NS1_11comp_targetILNS1_3genE5ELNS1_11target_archE942ELNS1_3gpuE9ELNS1_3repE0EEENS1_30default_config_static_selectorELNS0_4arch9wavefront6targetE0EEEvSR_.num_agpr, 0
	.set _ZN7rocprim17ROCPRIM_400000_NS6detail17trampoline_kernelINS0_14default_configENS1_32segmented_reduce_config_selectorIN3c108BFloat16EEEZNS1_21segmented_reduce_implIS3_PKS6_PS6_PKiS6_N6hipcub16HIPCUB_304000_NS6detail27convert_result_type_wrapperISA_SB_N2at6native12_GLOBAL__N_110CustomProdEEEEE10hipError_tPvRmT0_T1_jT2_SS_T4_T3_P12ihipStream_tbEUlT_E_NS1_11comp_targetILNS1_3genE5ELNS1_11target_archE942ELNS1_3gpuE9ELNS1_3repE0EEENS1_30default_config_static_selectorELNS0_4arch9wavefront6targetE0EEEvSR_.numbered_sgpr, 0
	.set _ZN7rocprim17ROCPRIM_400000_NS6detail17trampoline_kernelINS0_14default_configENS1_32segmented_reduce_config_selectorIN3c108BFloat16EEEZNS1_21segmented_reduce_implIS3_PKS6_PS6_PKiS6_N6hipcub16HIPCUB_304000_NS6detail27convert_result_type_wrapperISA_SB_N2at6native12_GLOBAL__N_110CustomProdEEEEE10hipError_tPvRmT0_T1_jT2_SS_T4_T3_P12ihipStream_tbEUlT_E_NS1_11comp_targetILNS1_3genE5ELNS1_11target_archE942ELNS1_3gpuE9ELNS1_3repE0EEENS1_30default_config_static_selectorELNS0_4arch9wavefront6targetE0EEEvSR_.num_named_barrier, 0
	.set _ZN7rocprim17ROCPRIM_400000_NS6detail17trampoline_kernelINS0_14default_configENS1_32segmented_reduce_config_selectorIN3c108BFloat16EEEZNS1_21segmented_reduce_implIS3_PKS6_PS6_PKiS6_N6hipcub16HIPCUB_304000_NS6detail27convert_result_type_wrapperISA_SB_N2at6native12_GLOBAL__N_110CustomProdEEEEE10hipError_tPvRmT0_T1_jT2_SS_T4_T3_P12ihipStream_tbEUlT_E_NS1_11comp_targetILNS1_3genE5ELNS1_11target_archE942ELNS1_3gpuE9ELNS1_3repE0EEENS1_30default_config_static_selectorELNS0_4arch9wavefront6targetE0EEEvSR_.private_seg_size, 0
	.set _ZN7rocprim17ROCPRIM_400000_NS6detail17trampoline_kernelINS0_14default_configENS1_32segmented_reduce_config_selectorIN3c108BFloat16EEEZNS1_21segmented_reduce_implIS3_PKS6_PS6_PKiS6_N6hipcub16HIPCUB_304000_NS6detail27convert_result_type_wrapperISA_SB_N2at6native12_GLOBAL__N_110CustomProdEEEEE10hipError_tPvRmT0_T1_jT2_SS_T4_T3_P12ihipStream_tbEUlT_E_NS1_11comp_targetILNS1_3genE5ELNS1_11target_archE942ELNS1_3gpuE9ELNS1_3repE0EEENS1_30default_config_static_selectorELNS0_4arch9wavefront6targetE0EEEvSR_.uses_vcc, 0
	.set _ZN7rocprim17ROCPRIM_400000_NS6detail17trampoline_kernelINS0_14default_configENS1_32segmented_reduce_config_selectorIN3c108BFloat16EEEZNS1_21segmented_reduce_implIS3_PKS6_PS6_PKiS6_N6hipcub16HIPCUB_304000_NS6detail27convert_result_type_wrapperISA_SB_N2at6native12_GLOBAL__N_110CustomProdEEEEE10hipError_tPvRmT0_T1_jT2_SS_T4_T3_P12ihipStream_tbEUlT_E_NS1_11comp_targetILNS1_3genE5ELNS1_11target_archE942ELNS1_3gpuE9ELNS1_3repE0EEENS1_30default_config_static_selectorELNS0_4arch9wavefront6targetE0EEEvSR_.uses_flat_scratch, 0
	.set _ZN7rocprim17ROCPRIM_400000_NS6detail17trampoline_kernelINS0_14default_configENS1_32segmented_reduce_config_selectorIN3c108BFloat16EEEZNS1_21segmented_reduce_implIS3_PKS6_PS6_PKiS6_N6hipcub16HIPCUB_304000_NS6detail27convert_result_type_wrapperISA_SB_N2at6native12_GLOBAL__N_110CustomProdEEEEE10hipError_tPvRmT0_T1_jT2_SS_T4_T3_P12ihipStream_tbEUlT_E_NS1_11comp_targetILNS1_3genE5ELNS1_11target_archE942ELNS1_3gpuE9ELNS1_3repE0EEENS1_30default_config_static_selectorELNS0_4arch9wavefront6targetE0EEEvSR_.has_dyn_sized_stack, 0
	.set _ZN7rocprim17ROCPRIM_400000_NS6detail17trampoline_kernelINS0_14default_configENS1_32segmented_reduce_config_selectorIN3c108BFloat16EEEZNS1_21segmented_reduce_implIS3_PKS6_PS6_PKiS6_N6hipcub16HIPCUB_304000_NS6detail27convert_result_type_wrapperISA_SB_N2at6native12_GLOBAL__N_110CustomProdEEEEE10hipError_tPvRmT0_T1_jT2_SS_T4_T3_P12ihipStream_tbEUlT_E_NS1_11comp_targetILNS1_3genE5ELNS1_11target_archE942ELNS1_3gpuE9ELNS1_3repE0EEENS1_30default_config_static_selectorELNS0_4arch9wavefront6targetE0EEEvSR_.has_recursion, 0
	.set _ZN7rocprim17ROCPRIM_400000_NS6detail17trampoline_kernelINS0_14default_configENS1_32segmented_reduce_config_selectorIN3c108BFloat16EEEZNS1_21segmented_reduce_implIS3_PKS6_PS6_PKiS6_N6hipcub16HIPCUB_304000_NS6detail27convert_result_type_wrapperISA_SB_N2at6native12_GLOBAL__N_110CustomProdEEEEE10hipError_tPvRmT0_T1_jT2_SS_T4_T3_P12ihipStream_tbEUlT_E_NS1_11comp_targetILNS1_3genE5ELNS1_11target_archE942ELNS1_3gpuE9ELNS1_3repE0EEENS1_30default_config_static_selectorELNS0_4arch9wavefront6targetE0EEEvSR_.has_indirect_call, 0
	.section	.AMDGPU.csdata,"",@progbits
; Kernel info:
; codeLenInByte = 0
; TotalNumSgprs: 0
; NumVgprs: 0
; ScratchSize: 0
; MemoryBound: 0
; FloatMode: 240
; IeeeMode: 1
; LDSByteSize: 0 bytes/workgroup (compile time only)
; SGPRBlocks: 0
; VGPRBlocks: 0
; NumSGPRsForWavesPerEU: 1
; NumVGPRsForWavesPerEU: 1
; Occupancy: 16
; WaveLimiterHint : 0
; COMPUTE_PGM_RSRC2:SCRATCH_EN: 0
; COMPUTE_PGM_RSRC2:USER_SGPR: 6
; COMPUTE_PGM_RSRC2:TRAP_HANDLER: 0
; COMPUTE_PGM_RSRC2:TGID_X_EN: 1
; COMPUTE_PGM_RSRC2:TGID_Y_EN: 0
; COMPUTE_PGM_RSRC2:TGID_Z_EN: 0
; COMPUTE_PGM_RSRC2:TIDIG_COMP_CNT: 0
	.section	.text._ZN7rocprim17ROCPRIM_400000_NS6detail17trampoline_kernelINS0_14default_configENS1_32segmented_reduce_config_selectorIN3c108BFloat16EEEZNS1_21segmented_reduce_implIS3_PKS6_PS6_PKiS6_N6hipcub16HIPCUB_304000_NS6detail27convert_result_type_wrapperISA_SB_N2at6native12_GLOBAL__N_110CustomProdEEEEE10hipError_tPvRmT0_T1_jT2_SS_T4_T3_P12ihipStream_tbEUlT_E_NS1_11comp_targetILNS1_3genE10ELNS1_11target_archE1201ELNS1_3gpuE5ELNS1_3repE0EEENS1_30default_config_static_selectorELNS0_4arch9wavefront6targetE0EEEvSR_,"axG",@progbits,_ZN7rocprim17ROCPRIM_400000_NS6detail17trampoline_kernelINS0_14default_configENS1_32segmented_reduce_config_selectorIN3c108BFloat16EEEZNS1_21segmented_reduce_implIS3_PKS6_PS6_PKiS6_N6hipcub16HIPCUB_304000_NS6detail27convert_result_type_wrapperISA_SB_N2at6native12_GLOBAL__N_110CustomProdEEEEE10hipError_tPvRmT0_T1_jT2_SS_T4_T3_P12ihipStream_tbEUlT_E_NS1_11comp_targetILNS1_3genE10ELNS1_11target_archE1201ELNS1_3gpuE5ELNS1_3repE0EEENS1_30default_config_static_selectorELNS0_4arch9wavefront6targetE0EEEvSR_,comdat
	.globl	_ZN7rocprim17ROCPRIM_400000_NS6detail17trampoline_kernelINS0_14default_configENS1_32segmented_reduce_config_selectorIN3c108BFloat16EEEZNS1_21segmented_reduce_implIS3_PKS6_PS6_PKiS6_N6hipcub16HIPCUB_304000_NS6detail27convert_result_type_wrapperISA_SB_N2at6native12_GLOBAL__N_110CustomProdEEEEE10hipError_tPvRmT0_T1_jT2_SS_T4_T3_P12ihipStream_tbEUlT_E_NS1_11comp_targetILNS1_3genE10ELNS1_11target_archE1201ELNS1_3gpuE5ELNS1_3repE0EEENS1_30default_config_static_selectorELNS0_4arch9wavefront6targetE0EEEvSR_ ; -- Begin function _ZN7rocprim17ROCPRIM_400000_NS6detail17trampoline_kernelINS0_14default_configENS1_32segmented_reduce_config_selectorIN3c108BFloat16EEEZNS1_21segmented_reduce_implIS3_PKS6_PS6_PKiS6_N6hipcub16HIPCUB_304000_NS6detail27convert_result_type_wrapperISA_SB_N2at6native12_GLOBAL__N_110CustomProdEEEEE10hipError_tPvRmT0_T1_jT2_SS_T4_T3_P12ihipStream_tbEUlT_E_NS1_11comp_targetILNS1_3genE10ELNS1_11target_archE1201ELNS1_3gpuE5ELNS1_3repE0EEENS1_30default_config_static_selectorELNS0_4arch9wavefront6targetE0EEEvSR_
	.p2align	8
	.type	_ZN7rocprim17ROCPRIM_400000_NS6detail17trampoline_kernelINS0_14default_configENS1_32segmented_reduce_config_selectorIN3c108BFloat16EEEZNS1_21segmented_reduce_implIS3_PKS6_PS6_PKiS6_N6hipcub16HIPCUB_304000_NS6detail27convert_result_type_wrapperISA_SB_N2at6native12_GLOBAL__N_110CustomProdEEEEE10hipError_tPvRmT0_T1_jT2_SS_T4_T3_P12ihipStream_tbEUlT_E_NS1_11comp_targetILNS1_3genE10ELNS1_11target_archE1201ELNS1_3gpuE5ELNS1_3repE0EEENS1_30default_config_static_selectorELNS0_4arch9wavefront6targetE0EEEvSR_,@function
_ZN7rocprim17ROCPRIM_400000_NS6detail17trampoline_kernelINS0_14default_configENS1_32segmented_reduce_config_selectorIN3c108BFloat16EEEZNS1_21segmented_reduce_implIS3_PKS6_PS6_PKiS6_N6hipcub16HIPCUB_304000_NS6detail27convert_result_type_wrapperISA_SB_N2at6native12_GLOBAL__N_110CustomProdEEEEE10hipError_tPvRmT0_T1_jT2_SS_T4_T3_P12ihipStream_tbEUlT_E_NS1_11comp_targetILNS1_3genE10ELNS1_11target_archE1201ELNS1_3gpuE5ELNS1_3repE0EEENS1_30default_config_static_selectorELNS0_4arch9wavefront6targetE0EEEvSR_: ; @_ZN7rocprim17ROCPRIM_400000_NS6detail17trampoline_kernelINS0_14default_configENS1_32segmented_reduce_config_selectorIN3c108BFloat16EEEZNS1_21segmented_reduce_implIS3_PKS6_PS6_PKiS6_N6hipcub16HIPCUB_304000_NS6detail27convert_result_type_wrapperISA_SB_N2at6native12_GLOBAL__N_110CustomProdEEEEE10hipError_tPvRmT0_T1_jT2_SS_T4_T3_P12ihipStream_tbEUlT_E_NS1_11comp_targetILNS1_3genE10ELNS1_11target_archE1201ELNS1_3gpuE5ELNS1_3repE0EEENS1_30default_config_static_selectorELNS0_4arch9wavefront6targetE0EEEvSR_
; %bb.0:
	.section	.rodata,"a",@progbits
	.p2align	6, 0x0
	.amdhsa_kernel _ZN7rocprim17ROCPRIM_400000_NS6detail17trampoline_kernelINS0_14default_configENS1_32segmented_reduce_config_selectorIN3c108BFloat16EEEZNS1_21segmented_reduce_implIS3_PKS6_PS6_PKiS6_N6hipcub16HIPCUB_304000_NS6detail27convert_result_type_wrapperISA_SB_N2at6native12_GLOBAL__N_110CustomProdEEEEE10hipError_tPvRmT0_T1_jT2_SS_T4_T3_P12ihipStream_tbEUlT_E_NS1_11comp_targetILNS1_3genE10ELNS1_11target_archE1201ELNS1_3gpuE5ELNS1_3repE0EEENS1_30default_config_static_selectorELNS0_4arch9wavefront6targetE0EEEvSR_
		.amdhsa_group_segment_fixed_size 0
		.amdhsa_private_segment_fixed_size 0
		.amdhsa_kernarg_size 48
		.amdhsa_user_sgpr_count 6
		.amdhsa_user_sgpr_private_segment_buffer 1
		.amdhsa_user_sgpr_dispatch_ptr 0
		.amdhsa_user_sgpr_queue_ptr 0
		.amdhsa_user_sgpr_kernarg_segment_ptr 1
		.amdhsa_user_sgpr_dispatch_id 0
		.amdhsa_user_sgpr_flat_scratch_init 0
		.amdhsa_user_sgpr_private_segment_size 0
		.amdhsa_wavefront_size32 1
		.amdhsa_uses_dynamic_stack 0
		.amdhsa_system_sgpr_private_segment_wavefront_offset 0
		.amdhsa_system_sgpr_workgroup_id_x 1
		.amdhsa_system_sgpr_workgroup_id_y 0
		.amdhsa_system_sgpr_workgroup_id_z 0
		.amdhsa_system_sgpr_workgroup_info 0
		.amdhsa_system_vgpr_workitem_id 0
		.amdhsa_next_free_vgpr 1
		.amdhsa_next_free_sgpr 1
		.amdhsa_reserve_vcc 0
		.amdhsa_reserve_flat_scratch 0
		.amdhsa_float_round_mode_32 0
		.amdhsa_float_round_mode_16_64 0
		.amdhsa_float_denorm_mode_32 3
		.amdhsa_float_denorm_mode_16_64 3
		.amdhsa_dx10_clamp 1
		.amdhsa_ieee_mode 1
		.amdhsa_fp16_overflow 0
		.amdhsa_workgroup_processor_mode 1
		.amdhsa_memory_ordered 1
		.amdhsa_forward_progress 1
		.amdhsa_shared_vgpr_count 0
		.amdhsa_exception_fp_ieee_invalid_op 0
		.amdhsa_exception_fp_denorm_src 0
		.amdhsa_exception_fp_ieee_div_zero 0
		.amdhsa_exception_fp_ieee_overflow 0
		.amdhsa_exception_fp_ieee_underflow 0
		.amdhsa_exception_fp_ieee_inexact 0
		.amdhsa_exception_int_div_zero 0
	.end_amdhsa_kernel
	.section	.text._ZN7rocprim17ROCPRIM_400000_NS6detail17trampoline_kernelINS0_14default_configENS1_32segmented_reduce_config_selectorIN3c108BFloat16EEEZNS1_21segmented_reduce_implIS3_PKS6_PS6_PKiS6_N6hipcub16HIPCUB_304000_NS6detail27convert_result_type_wrapperISA_SB_N2at6native12_GLOBAL__N_110CustomProdEEEEE10hipError_tPvRmT0_T1_jT2_SS_T4_T3_P12ihipStream_tbEUlT_E_NS1_11comp_targetILNS1_3genE10ELNS1_11target_archE1201ELNS1_3gpuE5ELNS1_3repE0EEENS1_30default_config_static_selectorELNS0_4arch9wavefront6targetE0EEEvSR_,"axG",@progbits,_ZN7rocprim17ROCPRIM_400000_NS6detail17trampoline_kernelINS0_14default_configENS1_32segmented_reduce_config_selectorIN3c108BFloat16EEEZNS1_21segmented_reduce_implIS3_PKS6_PS6_PKiS6_N6hipcub16HIPCUB_304000_NS6detail27convert_result_type_wrapperISA_SB_N2at6native12_GLOBAL__N_110CustomProdEEEEE10hipError_tPvRmT0_T1_jT2_SS_T4_T3_P12ihipStream_tbEUlT_E_NS1_11comp_targetILNS1_3genE10ELNS1_11target_archE1201ELNS1_3gpuE5ELNS1_3repE0EEENS1_30default_config_static_selectorELNS0_4arch9wavefront6targetE0EEEvSR_,comdat
.Lfunc_end138:
	.size	_ZN7rocprim17ROCPRIM_400000_NS6detail17trampoline_kernelINS0_14default_configENS1_32segmented_reduce_config_selectorIN3c108BFloat16EEEZNS1_21segmented_reduce_implIS3_PKS6_PS6_PKiS6_N6hipcub16HIPCUB_304000_NS6detail27convert_result_type_wrapperISA_SB_N2at6native12_GLOBAL__N_110CustomProdEEEEE10hipError_tPvRmT0_T1_jT2_SS_T4_T3_P12ihipStream_tbEUlT_E_NS1_11comp_targetILNS1_3genE10ELNS1_11target_archE1201ELNS1_3gpuE5ELNS1_3repE0EEENS1_30default_config_static_selectorELNS0_4arch9wavefront6targetE0EEEvSR_, .Lfunc_end138-_ZN7rocprim17ROCPRIM_400000_NS6detail17trampoline_kernelINS0_14default_configENS1_32segmented_reduce_config_selectorIN3c108BFloat16EEEZNS1_21segmented_reduce_implIS3_PKS6_PS6_PKiS6_N6hipcub16HIPCUB_304000_NS6detail27convert_result_type_wrapperISA_SB_N2at6native12_GLOBAL__N_110CustomProdEEEEE10hipError_tPvRmT0_T1_jT2_SS_T4_T3_P12ihipStream_tbEUlT_E_NS1_11comp_targetILNS1_3genE10ELNS1_11target_archE1201ELNS1_3gpuE5ELNS1_3repE0EEENS1_30default_config_static_selectorELNS0_4arch9wavefront6targetE0EEEvSR_
                                        ; -- End function
	.set _ZN7rocprim17ROCPRIM_400000_NS6detail17trampoline_kernelINS0_14default_configENS1_32segmented_reduce_config_selectorIN3c108BFloat16EEEZNS1_21segmented_reduce_implIS3_PKS6_PS6_PKiS6_N6hipcub16HIPCUB_304000_NS6detail27convert_result_type_wrapperISA_SB_N2at6native12_GLOBAL__N_110CustomProdEEEEE10hipError_tPvRmT0_T1_jT2_SS_T4_T3_P12ihipStream_tbEUlT_E_NS1_11comp_targetILNS1_3genE10ELNS1_11target_archE1201ELNS1_3gpuE5ELNS1_3repE0EEENS1_30default_config_static_selectorELNS0_4arch9wavefront6targetE0EEEvSR_.num_vgpr, 0
	.set _ZN7rocprim17ROCPRIM_400000_NS6detail17trampoline_kernelINS0_14default_configENS1_32segmented_reduce_config_selectorIN3c108BFloat16EEEZNS1_21segmented_reduce_implIS3_PKS6_PS6_PKiS6_N6hipcub16HIPCUB_304000_NS6detail27convert_result_type_wrapperISA_SB_N2at6native12_GLOBAL__N_110CustomProdEEEEE10hipError_tPvRmT0_T1_jT2_SS_T4_T3_P12ihipStream_tbEUlT_E_NS1_11comp_targetILNS1_3genE10ELNS1_11target_archE1201ELNS1_3gpuE5ELNS1_3repE0EEENS1_30default_config_static_selectorELNS0_4arch9wavefront6targetE0EEEvSR_.num_agpr, 0
	.set _ZN7rocprim17ROCPRIM_400000_NS6detail17trampoline_kernelINS0_14default_configENS1_32segmented_reduce_config_selectorIN3c108BFloat16EEEZNS1_21segmented_reduce_implIS3_PKS6_PS6_PKiS6_N6hipcub16HIPCUB_304000_NS6detail27convert_result_type_wrapperISA_SB_N2at6native12_GLOBAL__N_110CustomProdEEEEE10hipError_tPvRmT0_T1_jT2_SS_T4_T3_P12ihipStream_tbEUlT_E_NS1_11comp_targetILNS1_3genE10ELNS1_11target_archE1201ELNS1_3gpuE5ELNS1_3repE0EEENS1_30default_config_static_selectorELNS0_4arch9wavefront6targetE0EEEvSR_.numbered_sgpr, 0
	.set _ZN7rocprim17ROCPRIM_400000_NS6detail17trampoline_kernelINS0_14default_configENS1_32segmented_reduce_config_selectorIN3c108BFloat16EEEZNS1_21segmented_reduce_implIS3_PKS6_PS6_PKiS6_N6hipcub16HIPCUB_304000_NS6detail27convert_result_type_wrapperISA_SB_N2at6native12_GLOBAL__N_110CustomProdEEEEE10hipError_tPvRmT0_T1_jT2_SS_T4_T3_P12ihipStream_tbEUlT_E_NS1_11comp_targetILNS1_3genE10ELNS1_11target_archE1201ELNS1_3gpuE5ELNS1_3repE0EEENS1_30default_config_static_selectorELNS0_4arch9wavefront6targetE0EEEvSR_.num_named_barrier, 0
	.set _ZN7rocprim17ROCPRIM_400000_NS6detail17trampoline_kernelINS0_14default_configENS1_32segmented_reduce_config_selectorIN3c108BFloat16EEEZNS1_21segmented_reduce_implIS3_PKS6_PS6_PKiS6_N6hipcub16HIPCUB_304000_NS6detail27convert_result_type_wrapperISA_SB_N2at6native12_GLOBAL__N_110CustomProdEEEEE10hipError_tPvRmT0_T1_jT2_SS_T4_T3_P12ihipStream_tbEUlT_E_NS1_11comp_targetILNS1_3genE10ELNS1_11target_archE1201ELNS1_3gpuE5ELNS1_3repE0EEENS1_30default_config_static_selectorELNS0_4arch9wavefront6targetE0EEEvSR_.private_seg_size, 0
	.set _ZN7rocprim17ROCPRIM_400000_NS6detail17trampoline_kernelINS0_14default_configENS1_32segmented_reduce_config_selectorIN3c108BFloat16EEEZNS1_21segmented_reduce_implIS3_PKS6_PS6_PKiS6_N6hipcub16HIPCUB_304000_NS6detail27convert_result_type_wrapperISA_SB_N2at6native12_GLOBAL__N_110CustomProdEEEEE10hipError_tPvRmT0_T1_jT2_SS_T4_T3_P12ihipStream_tbEUlT_E_NS1_11comp_targetILNS1_3genE10ELNS1_11target_archE1201ELNS1_3gpuE5ELNS1_3repE0EEENS1_30default_config_static_selectorELNS0_4arch9wavefront6targetE0EEEvSR_.uses_vcc, 0
	.set _ZN7rocprim17ROCPRIM_400000_NS6detail17trampoline_kernelINS0_14default_configENS1_32segmented_reduce_config_selectorIN3c108BFloat16EEEZNS1_21segmented_reduce_implIS3_PKS6_PS6_PKiS6_N6hipcub16HIPCUB_304000_NS6detail27convert_result_type_wrapperISA_SB_N2at6native12_GLOBAL__N_110CustomProdEEEEE10hipError_tPvRmT0_T1_jT2_SS_T4_T3_P12ihipStream_tbEUlT_E_NS1_11comp_targetILNS1_3genE10ELNS1_11target_archE1201ELNS1_3gpuE5ELNS1_3repE0EEENS1_30default_config_static_selectorELNS0_4arch9wavefront6targetE0EEEvSR_.uses_flat_scratch, 0
	.set _ZN7rocprim17ROCPRIM_400000_NS6detail17trampoline_kernelINS0_14default_configENS1_32segmented_reduce_config_selectorIN3c108BFloat16EEEZNS1_21segmented_reduce_implIS3_PKS6_PS6_PKiS6_N6hipcub16HIPCUB_304000_NS6detail27convert_result_type_wrapperISA_SB_N2at6native12_GLOBAL__N_110CustomProdEEEEE10hipError_tPvRmT0_T1_jT2_SS_T4_T3_P12ihipStream_tbEUlT_E_NS1_11comp_targetILNS1_3genE10ELNS1_11target_archE1201ELNS1_3gpuE5ELNS1_3repE0EEENS1_30default_config_static_selectorELNS0_4arch9wavefront6targetE0EEEvSR_.has_dyn_sized_stack, 0
	.set _ZN7rocprim17ROCPRIM_400000_NS6detail17trampoline_kernelINS0_14default_configENS1_32segmented_reduce_config_selectorIN3c108BFloat16EEEZNS1_21segmented_reduce_implIS3_PKS6_PS6_PKiS6_N6hipcub16HIPCUB_304000_NS6detail27convert_result_type_wrapperISA_SB_N2at6native12_GLOBAL__N_110CustomProdEEEEE10hipError_tPvRmT0_T1_jT2_SS_T4_T3_P12ihipStream_tbEUlT_E_NS1_11comp_targetILNS1_3genE10ELNS1_11target_archE1201ELNS1_3gpuE5ELNS1_3repE0EEENS1_30default_config_static_selectorELNS0_4arch9wavefront6targetE0EEEvSR_.has_recursion, 0
	.set _ZN7rocprim17ROCPRIM_400000_NS6detail17trampoline_kernelINS0_14default_configENS1_32segmented_reduce_config_selectorIN3c108BFloat16EEEZNS1_21segmented_reduce_implIS3_PKS6_PS6_PKiS6_N6hipcub16HIPCUB_304000_NS6detail27convert_result_type_wrapperISA_SB_N2at6native12_GLOBAL__N_110CustomProdEEEEE10hipError_tPvRmT0_T1_jT2_SS_T4_T3_P12ihipStream_tbEUlT_E_NS1_11comp_targetILNS1_3genE10ELNS1_11target_archE1201ELNS1_3gpuE5ELNS1_3repE0EEENS1_30default_config_static_selectorELNS0_4arch9wavefront6targetE0EEEvSR_.has_indirect_call, 0
	.section	.AMDGPU.csdata,"",@progbits
; Kernel info:
; codeLenInByte = 0
; TotalNumSgprs: 0
; NumVgprs: 0
; ScratchSize: 0
; MemoryBound: 0
; FloatMode: 240
; IeeeMode: 1
; LDSByteSize: 0 bytes/workgroup (compile time only)
; SGPRBlocks: 0
; VGPRBlocks: 0
; NumSGPRsForWavesPerEU: 1
; NumVGPRsForWavesPerEU: 1
; Occupancy: 16
; WaveLimiterHint : 0
; COMPUTE_PGM_RSRC2:SCRATCH_EN: 0
; COMPUTE_PGM_RSRC2:USER_SGPR: 6
; COMPUTE_PGM_RSRC2:TRAP_HANDLER: 0
; COMPUTE_PGM_RSRC2:TGID_X_EN: 1
; COMPUTE_PGM_RSRC2:TGID_Y_EN: 0
; COMPUTE_PGM_RSRC2:TGID_Z_EN: 0
; COMPUTE_PGM_RSRC2:TIDIG_COMP_CNT: 0
	.section	.text._ZN7rocprim17ROCPRIM_400000_NS6detail17trampoline_kernelINS0_14default_configENS1_32segmented_reduce_config_selectorIN3c108BFloat16EEEZNS1_21segmented_reduce_implIS3_PKS6_PS6_PKiS6_N6hipcub16HIPCUB_304000_NS6detail27convert_result_type_wrapperISA_SB_N2at6native12_GLOBAL__N_110CustomProdEEEEE10hipError_tPvRmT0_T1_jT2_SS_T4_T3_P12ihipStream_tbEUlT_E_NS1_11comp_targetILNS1_3genE4ELNS1_11target_archE910ELNS1_3gpuE8ELNS1_3repE0EEENS1_30default_config_static_selectorELNS0_4arch9wavefront6targetE0EEEvSR_,"axG",@progbits,_ZN7rocprim17ROCPRIM_400000_NS6detail17trampoline_kernelINS0_14default_configENS1_32segmented_reduce_config_selectorIN3c108BFloat16EEEZNS1_21segmented_reduce_implIS3_PKS6_PS6_PKiS6_N6hipcub16HIPCUB_304000_NS6detail27convert_result_type_wrapperISA_SB_N2at6native12_GLOBAL__N_110CustomProdEEEEE10hipError_tPvRmT0_T1_jT2_SS_T4_T3_P12ihipStream_tbEUlT_E_NS1_11comp_targetILNS1_3genE4ELNS1_11target_archE910ELNS1_3gpuE8ELNS1_3repE0EEENS1_30default_config_static_selectorELNS0_4arch9wavefront6targetE0EEEvSR_,comdat
	.globl	_ZN7rocprim17ROCPRIM_400000_NS6detail17trampoline_kernelINS0_14default_configENS1_32segmented_reduce_config_selectorIN3c108BFloat16EEEZNS1_21segmented_reduce_implIS3_PKS6_PS6_PKiS6_N6hipcub16HIPCUB_304000_NS6detail27convert_result_type_wrapperISA_SB_N2at6native12_GLOBAL__N_110CustomProdEEEEE10hipError_tPvRmT0_T1_jT2_SS_T4_T3_P12ihipStream_tbEUlT_E_NS1_11comp_targetILNS1_3genE4ELNS1_11target_archE910ELNS1_3gpuE8ELNS1_3repE0EEENS1_30default_config_static_selectorELNS0_4arch9wavefront6targetE0EEEvSR_ ; -- Begin function _ZN7rocprim17ROCPRIM_400000_NS6detail17trampoline_kernelINS0_14default_configENS1_32segmented_reduce_config_selectorIN3c108BFloat16EEEZNS1_21segmented_reduce_implIS3_PKS6_PS6_PKiS6_N6hipcub16HIPCUB_304000_NS6detail27convert_result_type_wrapperISA_SB_N2at6native12_GLOBAL__N_110CustomProdEEEEE10hipError_tPvRmT0_T1_jT2_SS_T4_T3_P12ihipStream_tbEUlT_E_NS1_11comp_targetILNS1_3genE4ELNS1_11target_archE910ELNS1_3gpuE8ELNS1_3repE0EEENS1_30default_config_static_selectorELNS0_4arch9wavefront6targetE0EEEvSR_
	.p2align	8
	.type	_ZN7rocprim17ROCPRIM_400000_NS6detail17trampoline_kernelINS0_14default_configENS1_32segmented_reduce_config_selectorIN3c108BFloat16EEEZNS1_21segmented_reduce_implIS3_PKS6_PS6_PKiS6_N6hipcub16HIPCUB_304000_NS6detail27convert_result_type_wrapperISA_SB_N2at6native12_GLOBAL__N_110CustomProdEEEEE10hipError_tPvRmT0_T1_jT2_SS_T4_T3_P12ihipStream_tbEUlT_E_NS1_11comp_targetILNS1_3genE4ELNS1_11target_archE910ELNS1_3gpuE8ELNS1_3repE0EEENS1_30default_config_static_selectorELNS0_4arch9wavefront6targetE0EEEvSR_,@function
_ZN7rocprim17ROCPRIM_400000_NS6detail17trampoline_kernelINS0_14default_configENS1_32segmented_reduce_config_selectorIN3c108BFloat16EEEZNS1_21segmented_reduce_implIS3_PKS6_PS6_PKiS6_N6hipcub16HIPCUB_304000_NS6detail27convert_result_type_wrapperISA_SB_N2at6native12_GLOBAL__N_110CustomProdEEEEE10hipError_tPvRmT0_T1_jT2_SS_T4_T3_P12ihipStream_tbEUlT_E_NS1_11comp_targetILNS1_3genE4ELNS1_11target_archE910ELNS1_3gpuE8ELNS1_3repE0EEENS1_30default_config_static_selectorELNS0_4arch9wavefront6targetE0EEEvSR_: ; @_ZN7rocprim17ROCPRIM_400000_NS6detail17trampoline_kernelINS0_14default_configENS1_32segmented_reduce_config_selectorIN3c108BFloat16EEEZNS1_21segmented_reduce_implIS3_PKS6_PS6_PKiS6_N6hipcub16HIPCUB_304000_NS6detail27convert_result_type_wrapperISA_SB_N2at6native12_GLOBAL__N_110CustomProdEEEEE10hipError_tPvRmT0_T1_jT2_SS_T4_T3_P12ihipStream_tbEUlT_E_NS1_11comp_targetILNS1_3genE4ELNS1_11target_archE910ELNS1_3gpuE8ELNS1_3repE0EEENS1_30default_config_static_selectorELNS0_4arch9wavefront6targetE0EEEvSR_
; %bb.0:
	.section	.rodata,"a",@progbits
	.p2align	6, 0x0
	.amdhsa_kernel _ZN7rocprim17ROCPRIM_400000_NS6detail17trampoline_kernelINS0_14default_configENS1_32segmented_reduce_config_selectorIN3c108BFloat16EEEZNS1_21segmented_reduce_implIS3_PKS6_PS6_PKiS6_N6hipcub16HIPCUB_304000_NS6detail27convert_result_type_wrapperISA_SB_N2at6native12_GLOBAL__N_110CustomProdEEEEE10hipError_tPvRmT0_T1_jT2_SS_T4_T3_P12ihipStream_tbEUlT_E_NS1_11comp_targetILNS1_3genE4ELNS1_11target_archE910ELNS1_3gpuE8ELNS1_3repE0EEENS1_30default_config_static_selectorELNS0_4arch9wavefront6targetE0EEEvSR_
		.amdhsa_group_segment_fixed_size 0
		.amdhsa_private_segment_fixed_size 0
		.amdhsa_kernarg_size 48
		.amdhsa_user_sgpr_count 6
		.amdhsa_user_sgpr_private_segment_buffer 1
		.amdhsa_user_sgpr_dispatch_ptr 0
		.amdhsa_user_sgpr_queue_ptr 0
		.amdhsa_user_sgpr_kernarg_segment_ptr 1
		.amdhsa_user_sgpr_dispatch_id 0
		.amdhsa_user_sgpr_flat_scratch_init 0
		.amdhsa_user_sgpr_private_segment_size 0
		.amdhsa_wavefront_size32 1
		.amdhsa_uses_dynamic_stack 0
		.amdhsa_system_sgpr_private_segment_wavefront_offset 0
		.amdhsa_system_sgpr_workgroup_id_x 1
		.amdhsa_system_sgpr_workgroup_id_y 0
		.amdhsa_system_sgpr_workgroup_id_z 0
		.amdhsa_system_sgpr_workgroup_info 0
		.amdhsa_system_vgpr_workitem_id 0
		.amdhsa_next_free_vgpr 1
		.amdhsa_next_free_sgpr 1
		.amdhsa_reserve_vcc 0
		.amdhsa_reserve_flat_scratch 0
		.amdhsa_float_round_mode_32 0
		.amdhsa_float_round_mode_16_64 0
		.amdhsa_float_denorm_mode_32 3
		.amdhsa_float_denorm_mode_16_64 3
		.amdhsa_dx10_clamp 1
		.amdhsa_ieee_mode 1
		.amdhsa_fp16_overflow 0
		.amdhsa_workgroup_processor_mode 1
		.amdhsa_memory_ordered 1
		.amdhsa_forward_progress 1
		.amdhsa_shared_vgpr_count 0
		.amdhsa_exception_fp_ieee_invalid_op 0
		.amdhsa_exception_fp_denorm_src 0
		.amdhsa_exception_fp_ieee_div_zero 0
		.amdhsa_exception_fp_ieee_overflow 0
		.amdhsa_exception_fp_ieee_underflow 0
		.amdhsa_exception_fp_ieee_inexact 0
		.amdhsa_exception_int_div_zero 0
	.end_amdhsa_kernel
	.section	.text._ZN7rocprim17ROCPRIM_400000_NS6detail17trampoline_kernelINS0_14default_configENS1_32segmented_reduce_config_selectorIN3c108BFloat16EEEZNS1_21segmented_reduce_implIS3_PKS6_PS6_PKiS6_N6hipcub16HIPCUB_304000_NS6detail27convert_result_type_wrapperISA_SB_N2at6native12_GLOBAL__N_110CustomProdEEEEE10hipError_tPvRmT0_T1_jT2_SS_T4_T3_P12ihipStream_tbEUlT_E_NS1_11comp_targetILNS1_3genE4ELNS1_11target_archE910ELNS1_3gpuE8ELNS1_3repE0EEENS1_30default_config_static_selectorELNS0_4arch9wavefront6targetE0EEEvSR_,"axG",@progbits,_ZN7rocprim17ROCPRIM_400000_NS6detail17trampoline_kernelINS0_14default_configENS1_32segmented_reduce_config_selectorIN3c108BFloat16EEEZNS1_21segmented_reduce_implIS3_PKS6_PS6_PKiS6_N6hipcub16HIPCUB_304000_NS6detail27convert_result_type_wrapperISA_SB_N2at6native12_GLOBAL__N_110CustomProdEEEEE10hipError_tPvRmT0_T1_jT2_SS_T4_T3_P12ihipStream_tbEUlT_E_NS1_11comp_targetILNS1_3genE4ELNS1_11target_archE910ELNS1_3gpuE8ELNS1_3repE0EEENS1_30default_config_static_selectorELNS0_4arch9wavefront6targetE0EEEvSR_,comdat
.Lfunc_end139:
	.size	_ZN7rocprim17ROCPRIM_400000_NS6detail17trampoline_kernelINS0_14default_configENS1_32segmented_reduce_config_selectorIN3c108BFloat16EEEZNS1_21segmented_reduce_implIS3_PKS6_PS6_PKiS6_N6hipcub16HIPCUB_304000_NS6detail27convert_result_type_wrapperISA_SB_N2at6native12_GLOBAL__N_110CustomProdEEEEE10hipError_tPvRmT0_T1_jT2_SS_T4_T3_P12ihipStream_tbEUlT_E_NS1_11comp_targetILNS1_3genE4ELNS1_11target_archE910ELNS1_3gpuE8ELNS1_3repE0EEENS1_30default_config_static_selectorELNS0_4arch9wavefront6targetE0EEEvSR_, .Lfunc_end139-_ZN7rocprim17ROCPRIM_400000_NS6detail17trampoline_kernelINS0_14default_configENS1_32segmented_reduce_config_selectorIN3c108BFloat16EEEZNS1_21segmented_reduce_implIS3_PKS6_PS6_PKiS6_N6hipcub16HIPCUB_304000_NS6detail27convert_result_type_wrapperISA_SB_N2at6native12_GLOBAL__N_110CustomProdEEEEE10hipError_tPvRmT0_T1_jT2_SS_T4_T3_P12ihipStream_tbEUlT_E_NS1_11comp_targetILNS1_3genE4ELNS1_11target_archE910ELNS1_3gpuE8ELNS1_3repE0EEENS1_30default_config_static_selectorELNS0_4arch9wavefront6targetE0EEEvSR_
                                        ; -- End function
	.set _ZN7rocprim17ROCPRIM_400000_NS6detail17trampoline_kernelINS0_14default_configENS1_32segmented_reduce_config_selectorIN3c108BFloat16EEEZNS1_21segmented_reduce_implIS3_PKS6_PS6_PKiS6_N6hipcub16HIPCUB_304000_NS6detail27convert_result_type_wrapperISA_SB_N2at6native12_GLOBAL__N_110CustomProdEEEEE10hipError_tPvRmT0_T1_jT2_SS_T4_T3_P12ihipStream_tbEUlT_E_NS1_11comp_targetILNS1_3genE4ELNS1_11target_archE910ELNS1_3gpuE8ELNS1_3repE0EEENS1_30default_config_static_selectorELNS0_4arch9wavefront6targetE0EEEvSR_.num_vgpr, 0
	.set _ZN7rocprim17ROCPRIM_400000_NS6detail17trampoline_kernelINS0_14default_configENS1_32segmented_reduce_config_selectorIN3c108BFloat16EEEZNS1_21segmented_reduce_implIS3_PKS6_PS6_PKiS6_N6hipcub16HIPCUB_304000_NS6detail27convert_result_type_wrapperISA_SB_N2at6native12_GLOBAL__N_110CustomProdEEEEE10hipError_tPvRmT0_T1_jT2_SS_T4_T3_P12ihipStream_tbEUlT_E_NS1_11comp_targetILNS1_3genE4ELNS1_11target_archE910ELNS1_3gpuE8ELNS1_3repE0EEENS1_30default_config_static_selectorELNS0_4arch9wavefront6targetE0EEEvSR_.num_agpr, 0
	.set _ZN7rocprim17ROCPRIM_400000_NS6detail17trampoline_kernelINS0_14default_configENS1_32segmented_reduce_config_selectorIN3c108BFloat16EEEZNS1_21segmented_reduce_implIS3_PKS6_PS6_PKiS6_N6hipcub16HIPCUB_304000_NS6detail27convert_result_type_wrapperISA_SB_N2at6native12_GLOBAL__N_110CustomProdEEEEE10hipError_tPvRmT0_T1_jT2_SS_T4_T3_P12ihipStream_tbEUlT_E_NS1_11comp_targetILNS1_3genE4ELNS1_11target_archE910ELNS1_3gpuE8ELNS1_3repE0EEENS1_30default_config_static_selectorELNS0_4arch9wavefront6targetE0EEEvSR_.numbered_sgpr, 0
	.set _ZN7rocprim17ROCPRIM_400000_NS6detail17trampoline_kernelINS0_14default_configENS1_32segmented_reduce_config_selectorIN3c108BFloat16EEEZNS1_21segmented_reduce_implIS3_PKS6_PS6_PKiS6_N6hipcub16HIPCUB_304000_NS6detail27convert_result_type_wrapperISA_SB_N2at6native12_GLOBAL__N_110CustomProdEEEEE10hipError_tPvRmT0_T1_jT2_SS_T4_T3_P12ihipStream_tbEUlT_E_NS1_11comp_targetILNS1_3genE4ELNS1_11target_archE910ELNS1_3gpuE8ELNS1_3repE0EEENS1_30default_config_static_selectorELNS0_4arch9wavefront6targetE0EEEvSR_.num_named_barrier, 0
	.set _ZN7rocprim17ROCPRIM_400000_NS6detail17trampoline_kernelINS0_14default_configENS1_32segmented_reduce_config_selectorIN3c108BFloat16EEEZNS1_21segmented_reduce_implIS3_PKS6_PS6_PKiS6_N6hipcub16HIPCUB_304000_NS6detail27convert_result_type_wrapperISA_SB_N2at6native12_GLOBAL__N_110CustomProdEEEEE10hipError_tPvRmT0_T1_jT2_SS_T4_T3_P12ihipStream_tbEUlT_E_NS1_11comp_targetILNS1_3genE4ELNS1_11target_archE910ELNS1_3gpuE8ELNS1_3repE0EEENS1_30default_config_static_selectorELNS0_4arch9wavefront6targetE0EEEvSR_.private_seg_size, 0
	.set _ZN7rocprim17ROCPRIM_400000_NS6detail17trampoline_kernelINS0_14default_configENS1_32segmented_reduce_config_selectorIN3c108BFloat16EEEZNS1_21segmented_reduce_implIS3_PKS6_PS6_PKiS6_N6hipcub16HIPCUB_304000_NS6detail27convert_result_type_wrapperISA_SB_N2at6native12_GLOBAL__N_110CustomProdEEEEE10hipError_tPvRmT0_T1_jT2_SS_T4_T3_P12ihipStream_tbEUlT_E_NS1_11comp_targetILNS1_3genE4ELNS1_11target_archE910ELNS1_3gpuE8ELNS1_3repE0EEENS1_30default_config_static_selectorELNS0_4arch9wavefront6targetE0EEEvSR_.uses_vcc, 0
	.set _ZN7rocprim17ROCPRIM_400000_NS6detail17trampoline_kernelINS0_14default_configENS1_32segmented_reduce_config_selectorIN3c108BFloat16EEEZNS1_21segmented_reduce_implIS3_PKS6_PS6_PKiS6_N6hipcub16HIPCUB_304000_NS6detail27convert_result_type_wrapperISA_SB_N2at6native12_GLOBAL__N_110CustomProdEEEEE10hipError_tPvRmT0_T1_jT2_SS_T4_T3_P12ihipStream_tbEUlT_E_NS1_11comp_targetILNS1_3genE4ELNS1_11target_archE910ELNS1_3gpuE8ELNS1_3repE0EEENS1_30default_config_static_selectorELNS0_4arch9wavefront6targetE0EEEvSR_.uses_flat_scratch, 0
	.set _ZN7rocprim17ROCPRIM_400000_NS6detail17trampoline_kernelINS0_14default_configENS1_32segmented_reduce_config_selectorIN3c108BFloat16EEEZNS1_21segmented_reduce_implIS3_PKS6_PS6_PKiS6_N6hipcub16HIPCUB_304000_NS6detail27convert_result_type_wrapperISA_SB_N2at6native12_GLOBAL__N_110CustomProdEEEEE10hipError_tPvRmT0_T1_jT2_SS_T4_T3_P12ihipStream_tbEUlT_E_NS1_11comp_targetILNS1_3genE4ELNS1_11target_archE910ELNS1_3gpuE8ELNS1_3repE0EEENS1_30default_config_static_selectorELNS0_4arch9wavefront6targetE0EEEvSR_.has_dyn_sized_stack, 0
	.set _ZN7rocprim17ROCPRIM_400000_NS6detail17trampoline_kernelINS0_14default_configENS1_32segmented_reduce_config_selectorIN3c108BFloat16EEEZNS1_21segmented_reduce_implIS3_PKS6_PS6_PKiS6_N6hipcub16HIPCUB_304000_NS6detail27convert_result_type_wrapperISA_SB_N2at6native12_GLOBAL__N_110CustomProdEEEEE10hipError_tPvRmT0_T1_jT2_SS_T4_T3_P12ihipStream_tbEUlT_E_NS1_11comp_targetILNS1_3genE4ELNS1_11target_archE910ELNS1_3gpuE8ELNS1_3repE0EEENS1_30default_config_static_selectorELNS0_4arch9wavefront6targetE0EEEvSR_.has_recursion, 0
	.set _ZN7rocprim17ROCPRIM_400000_NS6detail17trampoline_kernelINS0_14default_configENS1_32segmented_reduce_config_selectorIN3c108BFloat16EEEZNS1_21segmented_reduce_implIS3_PKS6_PS6_PKiS6_N6hipcub16HIPCUB_304000_NS6detail27convert_result_type_wrapperISA_SB_N2at6native12_GLOBAL__N_110CustomProdEEEEE10hipError_tPvRmT0_T1_jT2_SS_T4_T3_P12ihipStream_tbEUlT_E_NS1_11comp_targetILNS1_3genE4ELNS1_11target_archE910ELNS1_3gpuE8ELNS1_3repE0EEENS1_30default_config_static_selectorELNS0_4arch9wavefront6targetE0EEEvSR_.has_indirect_call, 0
	.section	.AMDGPU.csdata,"",@progbits
; Kernel info:
; codeLenInByte = 0
; TotalNumSgprs: 0
; NumVgprs: 0
; ScratchSize: 0
; MemoryBound: 0
; FloatMode: 240
; IeeeMode: 1
; LDSByteSize: 0 bytes/workgroup (compile time only)
; SGPRBlocks: 0
; VGPRBlocks: 0
; NumSGPRsForWavesPerEU: 1
; NumVGPRsForWavesPerEU: 1
; Occupancy: 16
; WaveLimiterHint : 0
; COMPUTE_PGM_RSRC2:SCRATCH_EN: 0
; COMPUTE_PGM_RSRC2:USER_SGPR: 6
; COMPUTE_PGM_RSRC2:TRAP_HANDLER: 0
; COMPUTE_PGM_RSRC2:TGID_X_EN: 1
; COMPUTE_PGM_RSRC2:TGID_Y_EN: 0
; COMPUTE_PGM_RSRC2:TGID_Z_EN: 0
; COMPUTE_PGM_RSRC2:TIDIG_COMP_CNT: 0
	.section	.text._ZN7rocprim17ROCPRIM_400000_NS6detail17trampoline_kernelINS0_14default_configENS1_32segmented_reduce_config_selectorIN3c108BFloat16EEEZNS1_21segmented_reduce_implIS3_PKS6_PS6_PKiS6_N6hipcub16HIPCUB_304000_NS6detail27convert_result_type_wrapperISA_SB_N2at6native12_GLOBAL__N_110CustomProdEEEEE10hipError_tPvRmT0_T1_jT2_SS_T4_T3_P12ihipStream_tbEUlT_E_NS1_11comp_targetILNS1_3genE3ELNS1_11target_archE908ELNS1_3gpuE7ELNS1_3repE0EEENS1_30default_config_static_selectorELNS0_4arch9wavefront6targetE0EEEvSR_,"axG",@progbits,_ZN7rocprim17ROCPRIM_400000_NS6detail17trampoline_kernelINS0_14default_configENS1_32segmented_reduce_config_selectorIN3c108BFloat16EEEZNS1_21segmented_reduce_implIS3_PKS6_PS6_PKiS6_N6hipcub16HIPCUB_304000_NS6detail27convert_result_type_wrapperISA_SB_N2at6native12_GLOBAL__N_110CustomProdEEEEE10hipError_tPvRmT0_T1_jT2_SS_T4_T3_P12ihipStream_tbEUlT_E_NS1_11comp_targetILNS1_3genE3ELNS1_11target_archE908ELNS1_3gpuE7ELNS1_3repE0EEENS1_30default_config_static_selectorELNS0_4arch9wavefront6targetE0EEEvSR_,comdat
	.globl	_ZN7rocprim17ROCPRIM_400000_NS6detail17trampoline_kernelINS0_14default_configENS1_32segmented_reduce_config_selectorIN3c108BFloat16EEEZNS1_21segmented_reduce_implIS3_PKS6_PS6_PKiS6_N6hipcub16HIPCUB_304000_NS6detail27convert_result_type_wrapperISA_SB_N2at6native12_GLOBAL__N_110CustomProdEEEEE10hipError_tPvRmT0_T1_jT2_SS_T4_T3_P12ihipStream_tbEUlT_E_NS1_11comp_targetILNS1_3genE3ELNS1_11target_archE908ELNS1_3gpuE7ELNS1_3repE0EEENS1_30default_config_static_selectorELNS0_4arch9wavefront6targetE0EEEvSR_ ; -- Begin function _ZN7rocprim17ROCPRIM_400000_NS6detail17trampoline_kernelINS0_14default_configENS1_32segmented_reduce_config_selectorIN3c108BFloat16EEEZNS1_21segmented_reduce_implIS3_PKS6_PS6_PKiS6_N6hipcub16HIPCUB_304000_NS6detail27convert_result_type_wrapperISA_SB_N2at6native12_GLOBAL__N_110CustomProdEEEEE10hipError_tPvRmT0_T1_jT2_SS_T4_T3_P12ihipStream_tbEUlT_E_NS1_11comp_targetILNS1_3genE3ELNS1_11target_archE908ELNS1_3gpuE7ELNS1_3repE0EEENS1_30default_config_static_selectorELNS0_4arch9wavefront6targetE0EEEvSR_
	.p2align	8
	.type	_ZN7rocprim17ROCPRIM_400000_NS6detail17trampoline_kernelINS0_14default_configENS1_32segmented_reduce_config_selectorIN3c108BFloat16EEEZNS1_21segmented_reduce_implIS3_PKS6_PS6_PKiS6_N6hipcub16HIPCUB_304000_NS6detail27convert_result_type_wrapperISA_SB_N2at6native12_GLOBAL__N_110CustomProdEEEEE10hipError_tPvRmT0_T1_jT2_SS_T4_T3_P12ihipStream_tbEUlT_E_NS1_11comp_targetILNS1_3genE3ELNS1_11target_archE908ELNS1_3gpuE7ELNS1_3repE0EEENS1_30default_config_static_selectorELNS0_4arch9wavefront6targetE0EEEvSR_,@function
_ZN7rocprim17ROCPRIM_400000_NS6detail17trampoline_kernelINS0_14default_configENS1_32segmented_reduce_config_selectorIN3c108BFloat16EEEZNS1_21segmented_reduce_implIS3_PKS6_PS6_PKiS6_N6hipcub16HIPCUB_304000_NS6detail27convert_result_type_wrapperISA_SB_N2at6native12_GLOBAL__N_110CustomProdEEEEE10hipError_tPvRmT0_T1_jT2_SS_T4_T3_P12ihipStream_tbEUlT_E_NS1_11comp_targetILNS1_3genE3ELNS1_11target_archE908ELNS1_3gpuE7ELNS1_3repE0EEENS1_30default_config_static_selectorELNS0_4arch9wavefront6targetE0EEEvSR_: ; @_ZN7rocprim17ROCPRIM_400000_NS6detail17trampoline_kernelINS0_14default_configENS1_32segmented_reduce_config_selectorIN3c108BFloat16EEEZNS1_21segmented_reduce_implIS3_PKS6_PS6_PKiS6_N6hipcub16HIPCUB_304000_NS6detail27convert_result_type_wrapperISA_SB_N2at6native12_GLOBAL__N_110CustomProdEEEEE10hipError_tPvRmT0_T1_jT2_SS_T4_T3_P12ihipStream_tbEUlT_E_NS1_11comp_targetILNS1_3genE3ELNS1_11target_archE908ELNS1_3gpuE7ELNS1_3repE0EEENS1_30default_config_static_selectorELNS0_4arch9wavefront6targetE0EEEvSR_
; %bb.0:
	.section	.rodata,"a",@progbits
	.p2align	6, 0x0
	.amdhsa_kernel _ZN7rocprim17ROCPRIM_400000_NS6detail17trampoline_kernelINS0_14default_configENS1_32segmented_reduce_config_selectorIN3c108BFloat16EEEZNS1_21segmented_reduce_implIS3_PKS6_PS6_PKiS6_N6hipcub16HIPCUB_304000_NS6detail27convert_result_type_wrapperISA_SB_N2at6native12_GLOBAL__N_110CustomProdEEEEE10hipError_tPvRmT0_T1_jT2_SS_T4_T3_P12ihipStream_tbEUlT_E_NS1_11comp_targetILNS1_3genE3ELNS1_11target_archE908ELNS1_3gpuE7ELNS1_3repE0EEENS1_30default_config_static_selectorELNS0_4arch9wavefront6targetE0EEEvSR_
		.amdhsa_group_segment_fixed_size 0
		.amdhsa_private_segment_fixed_size 0
		.amdhsa_kernarg_size 48
		.amdhsa_user_sgpr_count 6
		.amdhsa_user_sgpr_private_segment_buffer 1
		.amdhsa_user_sgpr_dispatch_ptr 0
		.amdhsa_user_sgpr_queue_ptr 0
		.amdhsa_user_sgpr_kernarg_segment_ptr 1
		.amdhsa_user_sgpr_dispatch_id 0
		.amdhsa_user_sgpr_flat_scratch_init 0
		.amdhsa_user_sgpr_private_segment_size 0
		.amdhsa_wavefront_size32 1
		.amdhsa_uses_dynamic_stack 0
		.amdhsa_system_sgpr_private_segment_wavefront_offset 0
		.amdhsa_system_sgpr_workgroup_id_x 1
		.amdhsa_system_sgpr_workgroup_id_y 0
		.amdhsa_system_sgpr_workgroup_id_z 0
		.amdhsa_system_sgpr_workgroup_info 0
		.amdhsa_system_vgpr_workitem_id 0
		.amdhsa_next_free_vgpr 1
		.amdhsa_next_free_sgpr 1
		.amdhsa_reserve_vcc 0
		.amdhsa_reserve_flat_scratch 0
		.amdhsa_float_round_mode_32 0
		.amdhsa_float_round_mode_16_64 0
		.amdhsa_float_denorm_mode_32 3
		.amdhsa_float_denorm_mode_16_64 3
		.amdhsa_dx10_clamp 1
		.amdhsa_ieee_mode 1
		.amdhsa_fp16_overflow 0
		.amdhsa_workgroup_processor_mode 1
		.amdhsa_memory_ordered 1
		.amdhsa_forward_progress 1
		.amdhsa_shared_vgpr_count 0
		.amdhsa_exception_fp_ieee_invalid_op 0
		.amdhsa_exception_fp_denorm_src 0
		.amdhsa_exception_fp_ieee_div_zero 0
		.amdhsa_exception_fp_ieee_overflow 0
		.amdhsa_exception_fp_ieee_underflow 0
		.amdhsa_exception_fp_ieee_inexact 0
		.amdhsa_exception_int_div_zero 0
	.end_amdhsa_kernel
	.section	.text._ZN7rocprim17ROCPRIM_400000_NS6detail17trampoline_kernelINS0_14default_configENS1_32segmented_reduce_config_selectorIN3c108BFloat16EEEZNS1_21segmented_reduce_implIS3_PKS6_PS6_PKiS6_N6hipcub16HIPCUB_304000_NS6detail27convert_result_type_wrapperISA_SB_N2at6native12_GLOBAL__N_110CustomProdEEEEE10hipError_tPvRmT0_T1_jT2_SS_T4_T3_P12ihipStream_tbEUlT_E_NS1_11comp_targetILNS1_3genE3ELNS1_11target_archE908ELNS1_3gpuE7ELNS1_3repE0EEENS1_30default_config_static_selectorELNS0_4arch9wavefront6targetE0EEEvSR_,"axG",@progbits,_ZN7rocprim17ROCPRIM_400000_NS6detail17trampoline_kernelINS0_14default_configENS1_32segmented_reduce_config_selectorIN3c108BFloat16EEEZNS1_21segmented_reduce_implIS3_PKS6_PS6_PKiS6_N6hipcub16HIPCUB_304000_NS6detail27convert_result_type_wrapperISA_SB_N2at6native12_GLOBAL__N_110CustomProdEEEEE10hipError_tPvRmT0_T1_jT2_SS_T4_T3_P12ihipStream_tbEUlT_E_NS1_11comp_targetILNS1_3genE3ELNS1_11target_archE908ELNS1_3gpuE7ELNS1_3repE0EEENS1_30default_config_static_selectorELNS0_4arch9wavefront6targetE0EEEvSR_,comdat
.Lfunc_end140:
	.size	_ZN7rocprim17ROCPRIM_400000_NS6detail17trampoline_kernelINS0_14default_configENS1_32segmented_reduce_config_selectorIN3c108BFloat16EEEZNS1_21segmented_reduce_implIS3_PKS6_PS6_PKiS6_N6hipcub16HIPCUB_304000_NS6detail27convert_result_type_wrapperISA_SB_N2at6native12_GLOBAL__N_110CustomProdEEEEE10hipError_tPvRmT0_T1_jT2_SS_T4_T3_P12ihipStream_tbEUlT_E_NS1_11comp_targetILNS1_3genE3ELNS1_11target_archE908ELNS1_3gpuE7ELNS1_3repE0EEENS1_30default_config_static_selectorELNS0_4arch9wavefront6targetE0EEEvSR_, .Lfunc_end140-_ZN7rocprim17ROCPRIM_400000_NS6detail17trampoline_kernelINS0_14default_configENS1_32segmented_reduce_config_selectorIN3c108BFloat16EEEZNS1_21segmented_reduce_implIS3_PKS6_PS6_PKiS6_N6hipcub16HIPCUB_304000_NS6detail27convert_result_type_wrapperISA_SB_N2at6native12_GLOBAL__N_110CustomProdEEEEE10hipError_tPvRmT0_T1_jT2_SS_T4_T3_P12ihipStream_tbEUlT_E_NS1_11comp_targetILNS1_3genE3ELNS1_11target_archE908ELNS1_3gpuE7ELNS1_3repE0EEENS1_30default_config_static_selectorELNS0_4arch9wavefront6targetE0EEEvSR_
                                        ; -- End function
	.set _ZN7rocprim17ROCPRIM_400000_NS6detail17trampoline_kernelINS0_14default_configENS1_32segmented_reduce_config_selectorIN3c108BFloat16EEEZNS1_21segmented_reduce_implIS3_PKS6_PS6_PKiS6_N6hipcub16HIPCUB_304000_NS6detail27convert_result_type_wrapperISA_SB_N2at6native12_GLOBAL__N_110CustomProdEEEEE10hipError_tPvRmT0_T1_jT2_SS_T4_T3_P12ihipStream_tbEUlT_E_NS1_11comp_targetILNS1_3genE3ELNS1_11target_archE908ELNS1_3gpuE7ELNS1_3repE0EEENS1_30default_config_static_selectorELNS0_4arch9wavefront6targetE0EEEvSR_.num_vgpr, 0
	.set _ZN7rocprim17ROCPRIM_400000_NS6detail17trampoline_kernelINS0_14default_configENS1_32segmented_reduce_config_selectorIN3c108BFloat16EEEZNS1_21segmented_reduce_implIS3_PKS6_PS6_PKiS6_N6hipcub16HIPCUB_304000_NS6detail27convert_result_type_wrapperISA_SB_N2at6native12_GLOBAL__N_110CustomProdEEEEE10hipError_tPvRmT0_T1_jT2_SS_T4_T3_P12ihipStream_tbEUlT_E_NS1_11comp_targetILNS1_3genE3ELNS1_11target_archE908ELNS1_3gpuE7ELNS1_3repE0EEENS1_30default_config_static_selectorELNS0_4arch9wavefront6targetE0EEEvSR_.num_agpr, 0
	.set _ZN7rocprim17ROCPRIM_400000_NS6detail17trampoline_kernelINS0_14default_configENS1_32segmented_reduce_config_selectorIN3c108BFloat16EEEZNS1_21segmented_reduce_implIS3_PKS6_PS6_PKiS6_N6hipcub16HIPCUB_304000_NS6detail27convert_result_type_wrapperISA_SB_N2at6native12_GLOBAL__N_110CustomProdEEEEE10hipError_tPvRmT0_T1_jT2_SS_T4_T3_P12ihipStream_tbEUlT_E_NS1_11comp_targetILNS1_3genE3ELNS1_11target_archE908ELNS1_3gpuE7ELNS1_3repE0EEENS1_30default_config_static_selectorELNS0_4arch9wavefront6targetE0EEEvSR_.numbered_sgpr, 0
	.set _ZN7rocprim17ROCPRIM_400000_NS6detail17trampoline_kernelINS0_14default_configENS1_32segmented_reduce_config_selectorIN3c108BFloat16EEEZNS1_21segmented_reduce_implIS3_PKS6_PS6_PKiS6_N6hipcub16HIPCUB_304000_NS6detail27convert_result_type_wrapperISA_SB_N2at6native12_GLOBAL__N_110CustomProdEEEEE10hipError_tPvRmT0_T1_jT2_SS_T4_T3_P12ihipStream_tbEUlT_E_NS1_11comp_targetILNS1_3genE3ELNS1_11target_archE908ELNS1_3gpuE7ELNS1_3repE0EEENS1_30default_config_static_selectorELNS0_4arch9wavefront6targetE0EEEvSR_.num_named_barrier, 0
	.set _ZN7rocprim17ROCPRIM_400000_NS6detail17trampoline_kernelINS0_14default_configENS1_32segmented_reduce_config_selectorIN3c108BFloat16EEEZNS1_21segmented_reduce_implIS3_PKS6_PS6_PKiS6_N6hipcub16HIPCUB_304000_NS6detail27convert_result_type_wrapperISA_SB_N2at6native12_GLOBAL__N_110CustomProdEEEEE10hipError_tPvRmT0_T1_jT2_SS_T4_T3_P12ihipStream_tbEUlT_E_NS1_11comp_targetILNS1_3genE3ELNS1_11target_archE908ELNS1_3gpuE7ELNS1_3repE0EEENS1_30default_config_static_selectorELNS0_4arch9wavefront6targetE0EEEvSR_.private_seg_size, 0
	.set _ZN7rocprim17ROCPRIM_400000_NS6detail17trampoline_kernelINS0_14default_configENS1_32segmented_reduce_config_selectorIN3c108BFloat16EEEZNS1_21segmented_reduce_implIS3_PKS6_PS6_PKiS6_N6hipcub16HIPCUB_304000_NS6detail27convert_result_type_wrapperISA_SB_N2at6native12_GLOBAL__N_110CustomProdEEEEE10hipError_tPvRmT0_T1_jT2_SS_T4_T3_P12ihipStream_tbEUlT_E_NS1_11comp_targetILNS1_3genE3ELNS1_11target_archE908ELNS1_3gpuE7ELNS1_3repE0EEENS1_30default_config_static_selectorELNS0_4arch9wavefront6targetE0EEEvSR_.uses_vcc, 0
	.set _ZN7rocprim17ROCPRIM_400000_NS6detail17trampoline_kernelINS0_14default_configENS1_32segmented_reduce_config_selectorIN3c108BFloat16EEEZNS1_21segmented_reduce_implIS3_PKS6_PS6_PKiS6_N6hipcub16HIPCUB_304000_NS6detail27convert_result_type_wrapperISA_SB_N2at6native12_GLOBAL__N_110CustomProdEEEEE10hipError_tPvRmT0_T1_jT2_SS_T4_T3_P12ihipStream_tbEUlT_E_NS1_11comp_targetILNS1_3genE3ELNS1_11target_archE908ELNS1_3gpuE7ELNS1_3repE0EEENS1_30default_config_static_selectorELNS0_4arch9wavefront6targetE0EEEvSR_.uses_flat_scratch, 0
	.set _ZN7rocprim17ROCPRIM_400000_NS6detail17trampoline_kernelINS0_14default_configENS1_32segmented_reduce_config_selectorIN3c108BFloat16EEEZNS1_21segmented_reduce_implIS3_PKS6_PS6_PKiS6_N6hipcub16HIPCUB_304000_NS6detail27convert_result_type_wrapperISA_SB_N2at6native12_GLOBAL__N_110CustomProdEEEEE10hipError_tPvRmT0_T1_jT2_SS_T4_T3_P12ihipStream_tbEUlT_E_NS1_11comp_targetILNS1_3genE3ELNS1_11target_archE908ELNS1_3gpuE7ELNS1_3repE0EEENS1_30default_config_static_selectorELNS0_4arch9wavefront6targetE0EEEvSR_.has_dyn_sized_stack, 0
	.set _ZN7rocprim17ROCPRIM_400000_NS6detail17trampoline_kernelINS0_14default_configENS1_32segmented_reduce_config_selectorIN3c108BFloat16EEEZNS1_21segmented_reduce_implIS3_PKS6_PS6_PKiS6_N6hipcub16HIPCUB_304000_NS6detail27convert_result_type_wrapperISA_SB_N2at6native12_GLOBAL__N_110CustomProdEEEEE10hipError_tPvRmT0_T1_jT2_SS_T4_T3_P12ihipStream_tbEUlT_E_NS1_11comp_targetILNS1_3genE3ELNS1_11target_archE908ELNS1_3gpuE7ELNS1_3repE0EEENS1_30default_config_static_selectorELNS0_4arch9wavefront6targetE0EEEvSR_.has_recursion, 0
	.set _ZN7rocprim17ROCPRIM_400000_NS6detail17trampoline_kernelINS0_14default_configENS1_32segmented_reduce_config_selectorIN3c108BFloat16EEEZNS1_21segmented_reduce_implIS3_PKS6_PS6_PKiS6_N6hipcub16HIPCUB_304000_NS6detail27convert_result_type_wrapperISA_SB_N2at6native12_GLOBAL__N_110CustomProdEEEEE10hipError_tPvRmT0_T1_jT2_SS_T4_T3_P12ihipStream_tbEUlT_E_NS1_11comp_targetILNS1_3genE3ELNS1_11target_archE908ELNS1_3gpuE7ELNS1_3repE0EEENS1_30default_config_static_selectorELNS0_4arch9wavefront6targetE0EEEvSR_.has_indirect_call, 0
	.section	.AMDGPU.csdata,"",@progbits
; Kernel info:
; codeLenInByte = 0
; TotalNumSgprs: 0
; NumVgprs: 0
; ScratchSize: 0
; MemoryBound: 0
; FloatMode: 240
; IeeeMode: 1
; LDSByteSize: 0 bytes/workgroup (compile time only)
; SGPRBlocks: 0
; VGPRBlocks: 0
; NumSGPRsForWavesPerEU: 1
; NumVGPRsForWavesPerEU: 1
; Occupancy: 16
; WaveLimiterHint : 0
; COMPUTE_PGM_RSRC2:SCRATCH_EN: 0
; COMPUTE_PGM_RSRC2:USER_SGPR: 6
; COMPUTE_PGM_RSRC2:TRAP_HANDLER: 0
; COMPUTE_PGM_RSRC2:TGID_X_EN: 1
; COMPUTE_PGM_RSRC2:TGID_Y_EN: 0
; COMPUTE_PGM_RSRC2:TGID_Z_EN: 0
; COMPUTE_PGM_RSRC2:TIDIG_COMP_CNT: 0
	.section	.text._ZN7rocprim17ROCPRIM_400000_NS6detail17trampoline_kernelINS0_14default_configENS1_32segmented_reduce_config_selectorIN3c108BFloat16EEEZNS1_21segmented_reduce_implIS3_PKS6_PS6_PKiS6_N6hipcub16HIPCUB_304000_NS6detail27convert_result_type_wrapperISA_SB_N2at6native12_GLOBAL__N_110CustomProdEEEEE10hipError_tPvRmT0_T1_jT2_SS_T4_T3_P12ihipStream_tbEUlT_E_NS1_11comp_targetILNS1_3genE2ELNS1_11target_archE906ELNS1_3gpuE6ELNS1_3repE0EEENS1_30default_config_static_selectorELNS0_4arch9wavefront6targetE0EEEvSR_,"axG",@progbits,_ZN7rocprim17ROCPRIM_400000_NS6detail17trampoline_kernelINS0_14default_configENS1_32segmented_reduce_config_selectorIN3c108BFloat16EEEZNS1_21segmented_reduce_implIS3_PKS6_PS6_PKiS6_N6hipcub16HIPCUB_304000_NS6detail27convert_result_type_wrapperISA_SB_N2at6native12_GLOBAL__N_110CustomProdEEEEE10hipError_tPvRmT0_T1_jT2_SS_T4_T3_P12ihipStream_tbEUlT_E_NS1_11comp_targetILNS1_3genE2ELNS1_11target_archE906ELNS1_3gpuE6ELNS1_3repE0EEENS1_30default_config_static_selectorELNS0_4arch9wavefront6targetE0EEEvSR_,comdat
	.globl	_ZN7rocprim17ROCPRIM_400000_NS6detail17trampoline_kernelINS0_14default_configENS1_32segmented_reduce_config_selectorIN3c108BFloat16EEEZNS1_21segmented_reduce_implIS3_PKS6_PS6_PKiS6_N6hipcub16HIPCUB_304000_NS6detail27convert_result_type_wrapperISA_SB_N2at6native12_GLOBAL__N_110CustomProdEEEEE10hipError_tPvRmT0_T1_jT2_SS_T4_T3_P12ihipStream_tbEUlT_E_NS1_11comp_targetILNS1_3genE2ELNS1_11target_archE906ELNS1_3gpuE6ELNS1_3repE0EEENS1_30default_config_static_selectorELNS0_4arch9wavefront6targetE0EEEvSR_ ; -- Begin function _ZN7rocprim17ROCPRIM_400000_NS6detail17trampoline_kernelINS0_14default_configENS1_32segmented_reduce_config_selectorIN3c108BFloat16EEEZNS1_21segmented_reduce_implIS3_PKS6_PS6_PKiS6_N6hipcub16HIPCUB_304000_NS6detail27convert_result_type_wrapperISA_SB_N2at6native12_GLOBAL__N_110CustomProdEEEEE10hipError_tPvRmT0_T1_jT2_SS_T4_T3_P12ihipStream_tbEUlT_E_NS1_11comp_targetILNS1_3genE2ELNS1_11target_archE906ELNS1_3gpuE6ELNS1_3repE0EEENS1_30default_config_static_selectorELNS0_4arch9wavefront6targetE0EEEvSR_
	.p2align	8
	.type	_ZN7rocprim17ROCPRIM_400000_NS6detail17trampoline_kernelINS0_14default_configENS1_32segmented_reduce_config_selectorIN3c108BFloat16EEEZNS1_21segmented_reduce_implIS3_PKS6_PS6_PKiS6_N6hipcub16HIPCUB_304000_NS6detail27convert_result_type_wrapperISA_SB_N2at6native12_GLOBAL__N_110CustomProdEEEEE10hipError_tPvRmT0_T1_jT2_SS_T4_T3_P12ihipStream_tbEUlT_E_NS1_11comp_targetILNS1_3genE2ELNS1_11target_archE906ELNS1_3gpuE6ELNS1_3repE0EEENS1_30default_config_static_selectorELNS0_4arch9wavefront6targetE0EEEvSR_,@function
_ZN7rocprim17ROCPRIM_400000_NS6detail17trampoline_kernelINS0_14default_configENS1_32segmented_reduce_config_selectorIN3c108BFloat16EEEZNS1_21segmented_reduce_implIS3_PKS6_PS6_PKiS6_N6hipcub16HIPCUB_304000_NS6detail27convert_result_type_wrapperISA_SB_N2at6native12_GLOBAL__N_110CustomProdEEEEE10hipError_tPvRmT0_T1_jT2_SS_T4_T3_P12ihipStream_tbEUlT_E_NS1_11comp_targetILNS1_3genE2ELNS1_11target_archE906ELNS1_3gpuE6ELNS1_3repE0EEENS1_30default_config_static_selectorELNS0_4arch9wavefront6targetE0EEEvSR_: ; @_ZN7rocprim17ROCPRIM_400000_NS6detail17trampoline_kernelINS0_14default_configENS1_32segmented_reduce_config_selectorIN3c108BFloat16EEEZNS1_21segmented_reduce_implIS3_PKS6_PS6_PKiS6_N6hipcub16HIPCUB_304000_NS6detail27convert_result_type_wrapperISA_SB_N2at6native12_GLOBAL__N_110CustomProdEEEEE10hipError_tPvRmT0_T1_jT2_SS_T4_T3_P12ihipStream_tbEUlT_E_NS1_11comp_targetILNS1_3genE2ELNS1_11target_archE906ELNS1_3gpuE6ELNS1_3repE0EEENS1_30default_config_static_selectorELNS0_4arch9wavefront6targetE0EEEvSR_
; %bb.0:
	.section	.rodata,"a",@progbits
	.p2align	6, 0x0
	.amdhsa_kernel _ZN7rocprim17ROCPRIM_400000_NS6detail17trampoline_kernelINS0_14default_configENS1_32segmented_reduce_config_selectorIN3c108BFloat16EEEZNS1_21segmented_reduce_implIS3_PKS6_PS6_PKiS6_N6hipcub16HIPCUB_304000_NS6detail27convert_result_type_wrapperISA_SB_N2at6native12_GLOBAL__N_110CustomProdEEEEE10hipError_tPvRmT0_T1_jT2_SS_T4_T3_P12ihipStream_tbEUlT_E_NS1_11comp_targetILNS1_3genE2ELNS1_11target_archE906ELNS1_3gpuE6ELNS1_3repE0EEENS1_30default_config_static_selectorELNS0_4arch9wavefront6targetE0EEEvSR_
		.amdhsa_group_segment_fixed_size 0
		.amdhsa_private_segment_fixed_size 0
		.amdhsa_kernarg_size 48
		.amdhsa_user_sgpr_count 6
		.amdhsa_user_sgpr_private_segment_buffer 1
		.amdhsa_user_sgpr_dispatch_ptr 0
		.amdhsa_user_sgpr_queue_ptr 0
		.amdhsa_user_sgpr_kernarg_segment_ptr 1
		.amdhsa_user_sgpr_dispatch_id 0
		.amdhsa_user_sgpr_flat_scratch_init 0
		.amdhsa_user_sgpr_private_segment_size 0
		.amdhsa_wavefront_size32 1
		.amdhsa_uses_dynamic_stack 0
		.amdhsa_system_sgpr_private_segment_wavefront_offset 0
		.amdhsa_system_sgpr_workgroup_id_x 1
		.amdhsa_system_sgpr_workgroup_id_y 0
		.amdhsa_system_sgpr_workgroup_id_z 0
		.amdhsa_system_sgpr_workgroup_info 0
		.amdhsa_system_vgpr_workitem_id 0
		.amdhsa_next_free_vgpr 1
		.amdhsa_next_free_sgpr 1
		.amdhsa_reserve_vcc 0
		.amdhsa_reserve_flat_scratch 0
		.amdhsa_float_round_mode_32 0
		.amdhsa_float_round_mode_16_64 0
		.amdhsa_float_denorm_mode_32 3
		.amdhsa_float_denorm_mode_16_64 3
		.amdhsa_dx10_clamp 1
		.amdhsa_ieee_mode 1
		.amdhsa_fp16_overflow 0
		.amdhsa_workgroup_processor_mode 1
		.amdhsa_memory_ordered 1
		.amdhsa_forward_progress 1
		.amdhsa_shared_vgpr_count 0
		.amdhsa_exception_fp_ieee_invalid_op 0
		.amdhsa_exception_fp_denorm_src 0
		.amdhsa_exception_fp_ieee_div_zero 0
		.amdhsa_exception_fp_ieee_overflow 0
		.amdhsa_exception_fp_ieee_underflow 0
		.amdhsa_exception_fp_ieee_inexact 0
		.amdhsa_exception_int_div_zero 0
	.end_amdhsa_kernel
	.section	.text._ZN7rocprim17ROCPRIM_400000_NS6detail17trampoline_kernelINS0_14default_configENS1_32segmented_reduce_config_selectorIN3c108BFloat16EEEZNS1_21segmented_reduce_implIS3_PKS6_PS6_PKiS6_N6hipcub16HIPCUB_304000_NS6detail27convert_result_type_wrapperISA_SB_N2at6native12_GLOBAL__N_110CustomProdEEEEE10hipError_tPvRmT0_T1_jT2_SS_T4_T3_P12ihipStream_tbEUlT_E_NS1_11comp_targetILNS1_3genE2ELNS1_11target_archE906ELNS1_3gpuE6ELNS1_3repE0EEENS1_30default_config_static_selectorELNS0_4arch9wavefront6targetE0EEEvSR_,"axG",@progbits,_ZN7rocprim17ROCPRIM_400000_NS6detail17trampoline_kernelINS0_14default_configENS1_32segmented_reduce_config_selectorIN3c108BFloat16EEEZNS1_21segmented_reduce_implIS3_PKS6_PS6_PKiS6_N6hipcub16HIPCUB_304000_NS6detail27convert_result_type_wrapperISA_SB_N2at6native12_GLOBAL__N_110CustomProdEEEEE10hipError_tPvRmT0_T1_jT2_SS_T4_T3_P12ihipStream_tbEUlT_E_NS1_11comp_targetILNS1_3genE2ELNS1_11target_archE906ELNS1_3gpuE6ELNS1_3repE0EEENS1_30default_config_static_selectorELNS0_4arch9wavefront6targetE0EEEvSR_,comdat
.Lfunc_end141:
	.size	_ZN7rocprim17ROCPRIM_400000_NS6detail17trampoline_kernelINS0_14default_configENS1_32segmented_reduce_config_selectorIN3c108BFloat16EEEZNS1_21segmented_reduce_implIS3_PKS6_PS6_PKiS6_N6hipcub16HIPCUB_304000_NS6detail27convert_result_type_wrapperISA_SB_N2at6native12_GLOBAL__N_110CustomProdEEEEE10hipError_tPvRmT0_T1_jT2_SS_T4_T3_P12ihipStream_tbEUlT_E_NS1_11comp_targetILNS1_3genE2ELNS1_11target_archE906ELNS1_3gpuE6ELNS1_3repE0EEENS1_30default_config_static_selectorELNS0_4arch9wavefront6targetE0EEEvSR_, .Lfunc_end141-_ZN7rocprim17ROCPRIM_400000_NS6detail17trampoline_kernelINS0_14default_configENS1_32segmented_reduce_config_selectorIN3c108BFloat16EEEZNS1_21segmented_reduce_implIS3_PKS6_PS6_PKiS6_N6hipcub16HIPCUB_304000_NS6detail27convert_result_type_wrapperISA_SB_N2at6native12_GLOBAL__N_110CustomProdEEEEE10hipError_tPvRmT0_T1_jT2_SS_T4_T3_P12ihipStream_tbEUlT_E_NS1_11comp_targetILNS1_3genE2ELNS1_11target_archE906ELNS1_3gpuE6ELNS1_3repE0EEENS1_30default_config_static_selectorELNS0_4arch9wavefront6targetE0EEEvSR_
                                        ; -- End function
	.set _ZN7rocprim17ROCPRIM_400000_NS6detail17trampoline_kernelINS0_14default_configENS1_32segmented_reduce_config_selectorIN3c108BFloat16EEEZNS1_21segmented_reduce_implIS3_PKS6_PS6_PKiS6_N6hipcub16HIPCUB_304000_NS6detail27convert_result_type_wrapperISA_SB_N2at6native12_GLOBAL__N_110CustomProdEEEEE10hipError_tPvRmT0_T1_jT2_SS_T4_T3_P12ihipStream_tbEUlT_E_NS1_11comp_targetILNS1_3genE2ELNS1_11target_archE906ELNS1_3gpuE6ELNS1_3repE0EEENS1_30default_config_static_selectorELNS0_4arch9wavefront6targetE0EEEvSR_.num_vgpr, 0
	.set _ZN7rocprim17ROCPRIM_400000_NS6detail17trampoline_kernelINS0_14default_configENS1_32segmented_reduce_config_selectorIN3c108BFloat16EEEZNS1_21segmented_reduce_implIS3_PKS6_PS6_PKiS6_N6hipcub16HIPCUB_304000_NS6detail27convert_result_type_wrapperISA_SB_N2at6native12_GLOBAL__N_110CustomProdEEEEE10hipError_tPvRmT0_T1_jT2_SS_T4_T3_P12ihipStream_tbEUlT_E_NS1_11comp_targetILNS1_3genE2ELNS1_11target_archE906ELNS1_3gpuE6ELNS1_3repE0EEENS1_30default_config_static_selectorELNS0_4arch9wavefront6targetE0EEEvSR_.num_agpr, 0
	.set _ZN7rocprim17ROCPRIM_400000_NS6detail17trampoline_kernelINS0_14default_configENS1_32segmented_reduce_config_selectorIN3c108BFloat16EEEZNS1_21segmented_reduce_implIS3_PKS6_PS6_PKiS6_N6hipcub16HIPCUB_304000_NS6detail27convert_result_type_wrapperISA_SB_N2at6native12_GLOBAL__N_110CustomProdEEEEE10hipError_tPvRmT0_T1_jT2_SS_T4_T3_P12ihipStream_tbEUlT_E_NS1_11comp_targetILNS1_3genE2ELNS1_11target_archE906ELNS1_3gpuE6ELNS1_3repE0EEENS1_30default_config_static_selectorELNS0_4arch9wavefront6targetE0EEEvSR_.numbered_sgpr, 0
	.set _ZN7rocprim17ROCPRIM_400000_NS6detail17trampoline_kernelINS0_14default_configENS1_32segmented_reduce_config_selectorIN3c108BFloat16EEEZNS1_21segmented_reduce_implIS3_PKS6_PS6_PKiS6_N6hipcub16HIPCUB_304000_NS6detail27convert_result_type_wrapperISA_SB_N2at6native12_GLOBAL__N_110CustomProdEEEEE10hipError_tPvRmT0_T1_jT2_SS_T4_T3_P12ihipStream_tbEUlT_E_NS1_11comp_targetILNS1_3genE2ELNS1_11target_archE906ELNS1_3gpuE6ELNS1_3repE0EEENS1_30default_config_static_selectorELNS0_4arch9wavefront6targetE0EEEvSR_.num_named_barrier, 0
	.set _ZN7rocprim17ROCPRIM_400000_NS6detail17trampoline_kernelINS0_14default_configENS1_32segmented_reduce_config_selectorIN3c108BFloat16EEEZNS1_21segmented_reduce_implIS3_PKS6_PS6_PKiS6_N6hipcub16HIPCUB_304000_NS6detail27convert_result_type_wrapperISA_SB_N2at6native12_GLOBAL__N_110CustomProdEEEEE10hipError_tPvRmT0_T1_jT2_SS_T4_T3_P12ihipStream_tbEUlT_E_NS1_11comp_targetILNS1_3genE2ELNS1_11target_archE906ELNS1_3gpuE6ELNS1_3repE0EEENS1_30default_config_static_selectorELNS0_4arch9wavefront6targetE0EEEvSR_.private_seg_size, 0
	.set _ZN7rocprim17ROCPRIM_400000_NS6detail17trampoline_kernelINS0_14default_configENS1_32segmented_reduce_config_selectorIN3c108BFloat16EEEZNS1_21segmented_reduce_implIS3_PKS6_PS6_PKiS6_N6hipcub16HIPCUB_304000_NS6detail27convert_result_type_wrapperISA_SB_N2at6native12_GLOBAL__N_110CustomProdEEEEE10hipError_tPvRmT0_T1_jT2_SS_T4_T3_P12ihipStream_tbEUlT_E_NS1_11comp_targetILNS1_3genE2ELNS1_11target_archE906ELNS1_3gpuE6ELNS1_3repE0EEENS1_30default_config_static_selectorELNS0_4arch9wavefront6targetE0EEEvSR_.uses_vcc, 0
	.set _ZN7rocprim17ROCPRIM_400000_NS6detail17trampoline_kernelINS0_14default_configENS1_32segmented_reduce_config_selectorIN3c108BFloat16EEEZNS1_21segmented_reduce_implIS3_PKS6_PS6_PKiS6_N6hipcub16HIPCUB_304000_NS6detail27convert_result_type_wrapperISA_SB_N2at6native12_GLOBAL__N_110CustomProdEEEEE10hipError_tPvRmT0_T1_jT2_SS_T4_T3_P12ihipStream_tbEUlT_E_NS1_11comp_targetILNS1_3genE2ELNS1_11target_archE906ELNS1_3gpuE6ELNS1_3repE0EEENS1_30default_config_static_selectorELNS0_4arch9wavefront6targetE0EEEvSR_.uses_flat_scratch, 0
	.set _ZN7rocprim17ROCPRIM_400000_NS6detail17trampoline_kernelINS0_14default_configENS1_32segmented_reduce_config_selectorIN3c108BFloat16EEEZNS1_21segmented_reduce_implIS3_PKS6_PS6_PKiS6_N6hipcub16HIPCUB_304000_NS6detail27convert_result_type_wrapperISA_SB_N2at6native12_GLOBAL__N_110CustomProdEEEEE10hipError_tPvRmT0_T1_jT2_SS_T4_T3_P12ihipStream_tbEUlT_E_NS1_11comp_targetILNS1_3genE2ELNS1_11target_archE906ELNS1_3gpuE6ELNS1_3repE0EEENS1_30default_config_static_selectorELNS0_4arch9wavefront6targetE0EEEvSR_.has_dyn_sized_stack, 0
	.set _ZN7rocprim17ROCPRIM_400000_NS6detail17trampoline_kernelINS0_14default_configENS1_32segmented_reduce_config_selectorIN3c108BFloat16EEEZNS1_21segmented_reduce_implIS3_PKS6_PS6_PKiS6_N6hipcub16HIPCUB_304000_NS6detail27convert_result_type_wrapperISA_SB_N2at6native12_GLOBAL__N_110CustomProdEEEEE10hipError_tPvRmT0_T1_jT2_SS_T4_T3_P12ihipStream_tbEUlT_E_NS1_11comp_targetILNS1_3genE2ELNS1_11target_archE906ELNS1_3gpuE6ELNS1_3repE0EEENS1_30default_config_static_selectorELNS0_4arch9wavefront6targetE0EEEvSR_.has_recursion, 0
	.set _ZN7rocprim17ROCPRIM_400000_NS6detail17trampoline_kernelINS0_14default_configENS1_32segmented_reduce_config_selectorIN3c108BFloat16EEEZNS1_21segmented_reduce_implIS3_PKS6_PS6_PKiS6_N6hipcub16HIPCUB_304000_NS6detail27convert_result_type_wrapperISA_SB_N2at6native12_GLOBAL__N_110CustomProdEEEEE10hipError_tPvRmT0_T1_jT2_SS_T4_T3_P12ihipStream_tbEUlT_E_NS1_11comp_targetILNS1_3genE2ELNS1_11target_archE906ELNS1_3gpuE6ELNS1_3repE0EEENS1_30default_config_static_selectorELNS0_4arch9wavefront6targetE0EEEvSR_.has_indirect_call, 0
	.section	.AMDGPU.csdata,"",@progbits
; Kernel info:
; codeLenInByte = 0
; TotalNumSgprs: 0
; NumVgprs: 0
; ScratchSize: 0
; MemoryBound: 0
; FloatMode: 240
; IeeeMode: 1
; LDSByteSize: 0 bytes/workgroup (compile time only)
; SGPRBlocks: 0
; VGPRBlocks: 0
; NumSGPRsForWavesPerEU: 1
; NumVGPRsForWavesPerEU: 1
; Occupancy: 16
; WaveLimiterHint : 0
; COMPUTE_PGM_RSRC2:SCRATCH_EN: 0
; COMPUTE_PGM_RSRC2:USER_SGPR: 6
; COMPUTE_PGM_RSRC2:TRAP_HANDLER: 0
; COMPUTE_PGM_RSRC2:TGID_X_EN: 1
; COMPUTE_PGM_RSRC2:TGID_Y_EN: 0
; COMPUTE_PGM_RSRC2:TGID_Z_EN: 0
; COMPUTE_PGM_RSRC2:TIDIG_COMP_CNT: 0
	.section	.text._ZN7rocprim17ROCPRIM_400000_NS6detail17trampoline_kernelINS0_14default_configENS1_32segmented_reduce_config_selectorIN3c108BFloat16EEEZNS1_21segmented_reduce_implIS3_PKS6_PS6_PKiS6_N6hipcub16HIPCUB_304000_NS6detail27convert_result_type_wrapperISA_SB_N2at6native12_GLOBAL__N_110CustomProdEEEEE10hipError_tPvRmT0_T1_jT2_SS_T4_T3_P12ihipStream_tbEUlT_E_NS1_11comp_targetILNS1_3genE9ELNS1_11target_archE1100ELNS1_3gpuE3ELNS1_3repE0EEENS1_30default_config_static_selectorELNS0_4arch9wavefront6targetE0EEEvSR_,"axG",@progbits,_ZN7rocprim17ROCPRIM_400000_NS6detail17trampoline_kernelINS0_14default_configENS1_32segmented_reduce_config_selectorIN3c108BFloat16EEEZNS1_21segmented_reduce_implIS3_PKS6_PS6_PKiS6_N6hipcub16HIPCUB_304000_NS6detail27convert_result_type_wrapperISA_SB_N2at6native12_GLOBAL__N_110CustomProdEEEEE10hipError_tPvRmT0_T1_jT2_SS_T4_T3_P12ihipStream_tbEUlT_E_NS1_11comp_targetILNS1_3genE9ELNS1_11target_archE1100ELNS1_3gpuE3ELNS1_3repE0EEENS1_30default_config_static_selectorELNS0_4arch9wavefront6targetE0EEEvSR_,comdat
	.globl	_ZN7rocprim17ROCPRIM_400000_NS6detail17trampoline_kernelINS0_14default_configENS1_32segmented_reduce_config_selectorIN3c108BFloat16EEEZNS1_21segmented_reduce_implIS3_PKS6_PS6_PKiS6_N6hipcub16HIPCUB_304000_NS6detail27convert_result_type_wrapperISA_SB_N2at6native12_GLOBAL__N_110CustomProdEEEEE10hipError_tPvRmT0_T1_jT2_SS_T4_T3_P12ihipStream_tbEUlT_E_NS1_11comp_targetILNS1_3genE9ELNS1_11target_archE1100ELNS1_3gpuE3ELNS1_3repE0EEENS1_30default_config_static_selectorELNS0_4arch9wavefront6targetE0EEEvSR_ ; -- Begin function _ZN7rocprim17ROCPRIM_400000_NS6detail17trampoline_kernelINS0_14default_configENS1_32segmented_reduce_config_selectorIN3c108BFloat16EEEZNS1_21segmented_reduce_implIS3_PKS6_PS6_PKiS6_N6hipcub16HIPCUB_304000_NS6detail27convert_result_type_wrapperISA_SB_N2at6native12_GLOBAL__N_110CustomProdEEEEE10hipError_tPvRmT0_T1_jT2_SS_T4_T3_P12ihipStream_tbEUlT_E_NS1_11comp_targetILNS1_3genE9ELNS1_11target_archE1100ELNS1_3gpuE3ELNS1_3repE0EEENS1_30default_config_static_selectorELNS0_4arch9wavefront6targetE0EEEvSR_
	.p2align	8
	.type	_ZN7rocprim17ROCPRIM_400000_NS6detail17trampoline_kernelINS0_14default_configENS1_32segmented_reduce_config_selectorIN3c108BFloat16EEEZNS1_21segmented_reduce_implIS3_PKS6_PS6_PKiS6_N6hipcub16HIPCUB_304000_NS6detail27convert_result_type_wrapperISA_SB_N2at6native12_GLOBAL__N_110CustomProdEEEEE10hipError_tPvRmT0_T1_jT2_SS_T4_T3_P12ihipStream_tbEUlT_E_NS1_11comp_targetILNS1_3genE9ELNS1_11target_archE1100ELNS1_3gpuE3ELNS1_3repE0EEENS1_30default_config_static_selectorELNS0_4arch9wavefront6targetE0EEEvSR_,@function
_ZN7rocprim17ROCPRIM_400000_NS6detail17trampoline_kernelINS0_14default_configENS1_32segmented_reduce_config_selectorIN3c108BFloat16EEEZNS1_21segmented_reduce_implIS3_PKS6_PS6_PKiS6_N6hipcub16HIPCUB_304000_NS6detail27convert_result_type_wrapperISA_SB_N2at6native12_GLOBAL__N_110CustomProdEEEEE10hipError_tPvRmT0_T1_jT2_SS_T4_T3_P12ihipStream_tbEUlT_E_NS1_11comp_targetILNS1_3genE9ELNS1_11target_archE1100ELNS1_3gpuE3ELNS1_3repE0EEENS1_30default_config_static_selectorELNS0_4arch9wavefront6targetE0EEEvSR_: ; @_ZN7rocprim17ROCPRIM_400000_NS6detail17trampoline_kernelINS0_14default_configENS1_32segmented_reduce_config_selectorIN3c108BFloat16EEEZNS1_21segmented_reduce_implIS3_PKS6_PS6_PKiS6_N6hipcub16HIPCUB_304000_NS6detail27convert_result_type_wrapperISA_SB_N2at6native12_GLOBAL__N_110CustomProdEEEEE10hipError_tPvRmT0_T1_jT2_SS_T4_T3_P12ihipStream_tbEUlT_E_NS1_11comp_targetILNS1_3genE9ELNS1_11target_archE1100ELNS1_3gpuE3ELNS1_3repE0EEENS1_30default_config_static_selectorELNS0_4arch9wavefront6targetE0EEEvSR_
; %bb.0:
	.section	.rodata,"a",@progbits
	.p2align	6, 0x0
	.amdhsa_kernel _ZN7rocprim17ROCPRIM_400000_NS6detail17trampoline_kernelINS0_14default_configENS1_32segmented_reduce_config_selectorIN3c108BFloat16EEEZNS1_21segmented_reduce_implIS3_PKS6_PS6_PKiS6_N6hipcub16HIPCUB_304000_NS6detail27convert_result_type_wrapperISA_SB_N2at6native12_GLOBAL__N_110CustomProdEEEEE10hipError_tPvRmT0_T1_jT2_SS_T4_T3_P12ihipStream_tbEUlT_E_NS1_11comp_targetILNS1_3genE9ELNS1_11target_archE1100ELNS1_3gpuE3ELNS1_3repE0EEENS1_30default_config_static_selectorELNS0_4arch9wavefront6targetE0EEEvSR_
		.amdhsa_group_segment_fixed_size 0
		.amdhsa_private_segment_fixed_size 0
		.amdhsa_kernarg_size 48
		.amdhsa_user_sgpr_count 6
		.amdhsa_user_sgpr_private_segment_buffer 1
		.amdhsa_user_sgpr_dispatch_ptr 0
		.amdhsa_user_sgpr_queue_ptr 0
		.amdhsa_user_sgpr_kernarg_segment_ptr 1
		.amdhsa_user_sgpr_dispatch_id 0
		.amdhsa_user_sgpr_flat_scratch_init 0
		.amdhsa_user_sgpr_private_segment_size 0
		.amdhsa_wavefront_size32 1
		.amdhsa_uses_dynamic_stack 0
		.amdhsa_system_sgpr_private_segment_wavefront_offset 0
		.amdhsa_system_sgpr_workgroup_id_x 1
		.amdhsa_system_sgpr_workgroup_id_y 0
		.amdhsa_system_sgpr_workgroup_id_z 0
		.amdhsa_system_sgpr_workgroup_info 0
		.amdhsa_system_vgpr_workitem_id 0
		.amdhsa_next_free_vgpr 1
		.amdhsa_next_free_sgpr 1
		.amdhsa_reserve_vcc 0
		.amdhsa_reserve_flat_scratch 0
		.amdhsa_float_round_mode_32 0
		.amdhsa_float_round_mode_16_64 0
		.amdhsa_float_denorm_mode_32 3
		.amdhsa_float_denorm_mode_16_64 3
		.amdhsa_dx10_clamp 1
		.amdhsa_ieee_mode 1
		.amdhsa_fp16_overflow 0
		.amdhsa_workgroup_processor_mode 1
		.amdhsa_memory_ordered 1
		.amdhsa_forward_progress 1
		.amdhsa_shared_vgpr_count 0
		.amdhsa_exception_fp_ieee_invalid_op 0
		.amdhsa_exception_fp_denorm_src 0
		.amdhsa_exception_fp_ieee_div_zero 0
		.amdhsa_exception_fp_ieee_overflow 0
		.amdhsa_exception_fp_ieee_underflow 0
		.amdhsa_exception_fp_ieee_inexact 0
		.amdhsa_exception_int_div_zero 0
	.end_amdhsa_kernel
	.section	.text._ZN7rocprim17ROCPRIM_400000_NS6detail17trampoline_kernelINS0_14default_configENS1_32segmented_reduce_config_selectorIN3c108BFloat16EEEZNS1_21segmented_reduce_implIS3_PKS6_PS6_PKiS6_N6hipcub16HIPCUB_304000_NS6detail27convert_result_type_wrapperISA_SB_N2at6native12_GLOBAL__N_110CustomProdEEEEE10hipError_tPvRmT0_T1_jT2_SS_T4_T3_P12ihipStream_tbEUlT_E_NS1_11comp_targetILNS1_3genE9ELNS1_11target_archE1100ELNS1_3gpuE3ELNS1_3repE0EEENS1_30default_config_static_selectorELNS0_4arch9wavefront6targetE0EEEvSR_,"axG",@progbits,_ZN7rocprim17ROCPRIM_400000_NS6detail17trampoline_kernelINS0_14default_configENS1_32segmented_reduce_config_selectorIN3c108BFloat16EEEZNS1_21segmented_reduce_implIS3_PKS6_PS6_PKiS6_N6hipcub16HIPCUB_304000_NS6detail27convert_result_type_wrapperISA_SB_N2at6native12_GLOBAL__N_110CustomProdEEEEE10hipError_tPvRmT0_T1_jT2_SS_T4_T3_P12ihipStream_tbEUlT_E_NS1_11comp_targetILNS1_3genE9ELNS1_11target_archE1100ELNS1_3gpuE3ELNS1_3repE0EEENS1_30default_config_static_selectorELNS0_4arch9wavefront6targetE0EEEvSR_,comdat
.Lfunc_end142:
	.size	_ZN7rocprim17ROCPRIM_400000_NS6detail17trampoline_kernelINS0_14default_configENS1_32segmented_reduce_config_selectorIN3c108BFloat16EEEZNS1_21segmented_reduce_implIS3_PKS6_PS6_PKiS6_N6hipcub16HIPCUB_304000_NS6detail27convert_result_type_wrapperISA_SB_N2at6native12_GLOBAL__N_110CustomProdEEEEE10hipError_tPvRmT0_T1_jT2_SS_T4_T3_P12ihipStream_tbEUlT_E_NS1_11comp_targetILNS1_3genE9ELNS1_11target_archE1100ELNS1_3gpuE3ELNS1_3repE0EEENS1_30default_config_static_selectorELNS0_4arch9wavefront6targetE0EEEvSR_, .Lfunc_end142-_ZN7rocprim17ROCPRIM_400000_NS6detail17trampoline_kernelINS0_14default_configENS1_32segmented_reduce_config_selectorIN3c108BFloat16EEEZNS1_21segmented_reduce_implIS3_PKS6_PS6_PKiS6_N6hipcub16HIPCUB_304000_NS6detail27convert_result_type_wrapperISA_SB_N2at6native12_GLOBAL__N_110CustomProdEEEEE10hipError_tPvRmT0_T1_jT2_SS_T4_T3_P12ihipStream_tbEUlT_E_NS1_11comp_targetILNS1_3genE9ELNS1_11target_archE1100ELNS1_3gpuE3ELNS1_3repE0EEENS1_30default_config_static_selectorELNS0_4arch9wavefront6targetE0EEEvSR_
                                        ; -- End function
	.set _ZN7rocprim17ROCPRIM_400000_NS6detail17trampoline_kernelINS0_14default_configENS1_32segmented_reduce_config_selectorIN3c108BFloat16EEEZNS1_21segmented_reduce_implIS3_PKS6_PS6_PKiS6_N6hipcub16HIPCUB_304000_NS6detail27convert_result_type_wrapperISA_SB_N2at6native12_GLOBAL__N_110CustomProdEEEEE10hipError_tPvRmT0_T1_jT2_SS_T4_T3_P12ihipStream_tbEUlT_E_NS1_11comp_targetILNS1_3genE9ELNS1_11target_archE1100ELNS1_3gpuE3ELNS1_3repE0EEENS1_30default_config_static_selectorELNS0_4arch9wavefront6targetE0EEEvSR_.num_vgpr, 0
	.set _ZN7rocprim17ROCPRIM_400000_NS6detail17trampoline_kernelINS0_14default_configENS1_32segmented_reduce_config_selectorIN3c108BFloat16EEEZNS1_21segmented_reduce_implIS3_PKS6_PS6_PKiS6_N6hipcub16HIPCUB_304000_NS6detail27convert_result_type_wrapperISA_SB_N2at6native12_GLOBAL__N_110CustomProdEEEEE10hipError_tPvRmT0_T1_jT2_SS_T4_T3_P12ihipStream_tbEUlT_E_NS1_11comp_targetILNS1_3genE9ELNS1_11target_archE1100ELNS1_3gpuE3ELNS1_3repE0EEENS1_30default_config_static_selectorELNS0_4arch9wavefront6targetE0EEEvSR_.num_agpr, 0
	.set _ZN7rocprim17ROCPRIM_400000_NS6detail17trampoline_kernelINS0_14default_configENS1_32segmented_reduce_config_selectorIN3c108BFloat16EEEZNS1_21segmented_reduce_implIS3_PKS6_PS6_PKiS6_N6hipcub16HIPCUB_304000_NS6detail27convert_result_type_wrapperISA_SB_N2at6native12_GLOBAL__N_110CustomProdEEEEE10hipError_tPvRmT0_T1_jT2_SS_T4_T3_P12ihipStream_tbEUlT_E_NS1_11comp_targetILNS1_3genE9ELNS1_11target_archE1100ELNS1_3gpuE3ELNS1_3repE0EEENS1_30default_config_static_selectorELNS0_4arch9wavefront6targetE0EEEvSR_.numbered_sgpr, 0
	.set _ZN7rocprim17ROCPRIM_400000_NS6detail17trampoline_kernelINS0_14default_configENS1_32segmented_reduce_config_selectorIN3c108BFloat16EEEZNS1_21segmented_reduce_implIS3_PKS6_PS6_PKiS6_N6hipcub16HIPCUB_304000_NS6detail27convert_result_type_wrapperISA_SB_N2at6native12_GLOBAL__N_110CustomProdEEEEE10hipError_tPvRmT0_T1_jT2_SS_T4_T3_P12ihipStream_tbEUlT_E_NS1_11comp_targetILNS1_3genE9ELNS1_11target_archE1100ELNS1_3gpuE3ELNS1_3repE0EEENS1_30default_config_static_selectorELNS0_4arch9wavefront6targetE0EEEvSR_.num_named_barrier, 0
	.set _ZN7rocprim17ROCPRIM_400000_NS6detail17trampoline_kernelINS0_14default_configENS1_32segmented_reduce_config_selectorIN3c108BFloat16EEEZNS1_21segmented_reduce_implIS3_PKS6_PS6_PKiS6_N6hipcub16HIPCUB_304000_NS6detail27convert_result_type_wrapperISA_SB_N2at6native12_GLOBAL__N_110CustomProdEEEEE10hipError_tPvRmT0_T1_jT2_SS_T4_T3_P12ihipStream_tbEUlT_E_NS1_11comp_targetILNS1_3genE9ELNS1_11target_archE1100ELNS1_3gpuE3ELNS1_3repE0EEENS1_30default_config_static_selectorELNS0_4arch9wavefront6targetE0EEEvSR_.private_seg_size, 0
	.set _ZN7rocprim17ROCPRIM_400000_NS6detail17trampoline_kernelINS0_14default_configENS1_32segmented_reduce_config_selectorIN3c108BFloat16EEEZNS1_21segmented_reduce_implIS3_PKS6_PS6_PKiS6_N6hipcub16HIPCUB_304000_NS6detail27convert_result_type_wrapperISA_SB_N2at6native12_GLOBAL__N_110CustomProdEEEEE10hipError_tPvRmT0_T1_jT2_SS_T4_T3_P12ihipStream_tbEUlT_E_NS1_11comp_targetILNS1_3genE9ELNS1_11target_archE1100ELNS1_3gpuE3ELNS1_3repE0EEENS1_30default_config_static_selectorELNS0_4arch9wavefront6targetE0EEEvSR_.uses_vcc, 0
	.set _ZN7rocprim17ROCPRIM_400000_NS6detail17trampoline_kernelINS0_14default_configENS1_32segmented_reduce_config_selectorIN3c108BFloat16EEEZNS1_21segmented_reduce_implIS3_PKS6_PS6_PKiS6_N6hipcub16HIPCUB_304000_NS6detail27convert_result_type_wrapperISA_SB_N2at6native12_GLOBAL__N_110CustomProdEEEEE10hipError_tPvRmT0_T1_jT2_SS_T4_T3_P12ihipStream_tbEUlT_E_NS1_11comp_targetILNS1_3genE9ELNS1_11target_archE1100ELNS1_3gpuE3ELNS1_3repE0EEENS1_30default_config_static_selectorELNS0_4arch9wavefront6targetE0EEEvSR_.uses_flat_scratch, 0
	.set _ZN7rocprim17ROCPRIM_400000_NS6detail17trampoline_kernelINS0_14default_configENS1_32segmented_reduce_config_selectorIN3c108BFloat16EEEZNS1_21segmented_reduce_implIS3_PKS6_PS6_PKiS6_N6hipcub16HIPCUB_304000_NS6detail27convert_result_type_wrapperISA_SB_N2at6native12_GLOBAL__N_110CustomProdEEEEE10hipError_tPvRmT0_T1_jT2_SS_T4_T3_P12ihipStream_tbEUlT_E_NS1_11comp_targetILNS1_3genE9ELNS1_11target_archE1100ELNS1_3gpuE3ELNS1_3repE0EEENS1_30default_config_static_selectorELNS0_4arch9wavefront6targetE0EEEvSR_.has_dyn_sized_stack, 0
	.set _ZN7rocprim17ROCPRIM_400000_NS6detail17trampoline_kernelINS0_14default_configENS1_32segmented_reduce_config_selectorIN3c108BFloat16EEEZNS1_21segmented_reduce_implIS3_PKS6_PS6_PKiS6_N6hipcub16HIPCUB_304000_NS6detail27convert_result_type_wrapperISA_SB_N2at6native12_GLOBAL__N_110CustomProdEEEEE10hipError_tPvRmT0_T1_jT2_SS_T4_T3_P12ihipStream_tbEUlT_E_NS1_11comp_targetILNS1_3genE9ELNS1_11target_archE1100ELNS1_3gpuE3ELNS1_3repE0EEENS1_30default_config_static_selectorELNS0_4arch9wavefront6targetE0EEEvSR_.has_recursion, 0
	.set _ZN7rocprim17ROCPRIM_400000_NS6detail17trampoline_kernelINS0_14default_configENS1_32segmented_reduce_config_selectorIN3c108BFloat16EEEZNS1_21segmented_reduce_implIS3_PKS6_PS6_PKiS6_N6hipcub16HIPCUB_304000_NS6detail27convert_result_type_wrapperISA_SB_N2at6native12_GLOBAL__N_110CustomProdEEEEE10hipError_tPvRmT0_T1_jT2_SS_T4_T3_P12ihipStream_tbEUlT_E_NS1_11comp_targetILNS1_3genE9ELNS1_11target_archE1100ELNS1_3gpuE3ELNS1_3repE0EEENS1_30default_config_static_selectorELNS0_4arch9wavefront6targetE0EEEvSR_.has_indirect_call, 0
	.section	.AMDGPU.csdata,"",@progbits
; Kernel info:
; codeLenInByte = 0
; TotalNumSgprs: 0
; NumVgprs: 0
; ScratchSize: 0
; MemoryBound: 0
; FloatMode: 240
; IeeeMode: 1
; LDSByteSize: 0 bytes/workgroup (compile time only)
; SGPRBlocks: 0
; VGPRBlocks: 0
; NumSGPRsForWavesPerEU: 1
; NumVGPRsForWavesPerEU: 1
; Occupancy: 16
; WaveLimiterHint : 0
; COMPUTE_PGM_RSRC2:SCRATCH_EN: 0
; COMPUTE_PGM_RSRC2:USER_SGPR: 6
; COMPUTE_PGM_RSRC2:TRAP_HANDLER: 0
; COMPUTE_PGM_RSRC2:TGID_X_EN: 1
; COMPUTE_PGM_RSRC2:TGID_Y_EN: 0
; COMPUTE_PGM_RSRC2:TGID_Z_EN: 0
; COMPUTE_PGM_RSRC2:TIDIG_COMP_CNT: 0
	.section	.text._ZN7rocprim17ROCPRIM_400000_NS6detail17trampoline_kernelINS0_14default_configENS1_32segmented_reduce_config_selectorIN3c108BFloat16EEEZNS1_21segmented_reduce_implIS3_PKS6_PS6_PKiS6_N6hipcub16HIPCUB_304000_NS6detail27convert_result_type_wrapperISA_SB_N2at6native12_GLOBAL__N_110CustomProdEEEEE10hipError_tPvRmT0_T1_jT2_SS_T4_T3_P12ihipStream_tbEUlT_E_NS1_11comp_targetILNS1_3genE8ELNS1_11target_archE1030ELNS1_3gpuE2ELNS1_3repE0EEENS1_30default_config_static_selectorELNS0_4arch9wavefront6targetE0EEEvSR_,"axG",@progbits,_ZN7rocprim17ROCPRIM_400000_NS6detail17trampoline_kernelINS0_14default_configENS1_32segmented_reduce_config_selectorIN3c108BFloat16EEEZNS1_21segmented_reduce_implIS3_PKS6_PS6_PKiS6_N6hipcub16HIPCUB_304000_NS6detail27convert_result_type_wrapperISA_SB_N2at6native12_GLOBAL__N_110CustomProdEEEEE10hipError_tPvRmT0_T1_jT2_SS_T4_T3_P12ihipStream_tbEUlT_E_NS1_11comp_targetILNS1_3genE8ELNS1_11target_archE1030ELNS1_3gpuE2ELNS1_3repE0EEENS1_30default_config_static_selectorELNS0_4arch9wavefront6targetE0EEEvSR_,comdat
	.globl	_ZN7rocprim17ROCPRIM_400000_NS6detail17trampoline_kernelINS0_14default_configENS1_32segmented_reduce_config_selectorIN3c108BFloat16EEEZNS1_21segmented_reduce_implIS3_PKS6_PS6_PKiS6_N6hipcub16HIPCUB_304000_NS6detail27convert_result_type_wrapperISA_SB_N2at6native12_GLOBAL__N_110CustomProdEEEEE10hipError_tPvRmT0_T1_jT2_SS_T4_T3_P12ihipStream_tbEUlT_E_NS1_11comp_targetILNS1_3genE8ELNS1_11target_archE1030ELNS1_3gpuE2ELNS1_3repE0EEENS1_30default_config_static_selectorELNS0_4arch9wavefront6targetE0EEEvSR_ ; -- Begin function _ZN7rocprim17ROCPRIM_400000_NS6detail17trampoline_kernelINS0_14default_configENS1_32segmented_reduce_config_selectorIN3c108BFloat16EEEZNS1_21segmented_reduce_implIS3_PKS6_PS6_PKiS6_N6hipcub16HIPCUB_304000_NS6detail27convert_result_type_wrapperISA_SB_N2at6native12_GLOBAL__N_110CustomProdEEEEE10hipError_tPvRmT0_T1_jT2_SS_T4_T3_P12ihipStream_tbEUlT_E_NS1_11comp_targetILNS1_3genE8ELNS1_11target_archE1030ELNS1_3gpuE2ELNS1_3repE0EEENS1_30default_config_static_selectorELNS0_4arch9wavefront6targetE0EEEvSR_
	.p2align	8
	.type	_ZN7rocprim17ROCPRIM_400000_NS6detail17trampoline_kernelINS0_14default_configENS1_32segmented_reduce_config_selectorIN3c108BFloat16EEEZNS1_21segmented_reduce_implIS3_PKS6_PS6_PKiS6_N6hipcub16HIPCUB_304000_NS6detail27convert_result_type_wrapperISA_SB_N2at6native12_GLOBAL__N_110CustomProdEEEEE10hipError_tPvRmT0_T1_jT2_SS_T4_T3_P12ihipStream_tbEUlT_E_NS1_11comp_targetILNS1_3genE8ELNS1_11target_archE1030ELNS1_3gpuE2ELNS1_3repE0EEENS1_30default_config_static_selectorELNS0_4arch9wavefront6targetE0EEEvSR_,@function
_ZN7rocprim17ROCPRIM_400000_NS6detail17trampoline_kernelINS0_14default_configENS1_32segmented_reduce_config_selectorIN3c108BFloat16EEEZNS1_21segmented_reduce_implIS3_PKS6_PS6_PKiS6_N6hipcub16HIPCUB_304000_NS6detail27convert_result_type_wrapperISA_SB_N2at6native12_GLOBAL__N_110CustomProdEEEEE10hipError_tPvRmT0_T1_jT2_SS_T4_T3_P12ihipStream_tbEUlT_E_NS1_11comp_targetILNS1_3genE8ELNS1_11target_archE1030ELNS1_3gpuE2ELNS1_3repE0EEENS1_30default_config_static_selectorELNS0_4arch9wavefront6targetE0EEEvSR_: ; @_ZN7rocprim17ROCPRIM_400000_NS6detail17trampoline_kernelINS0_14default_configENS1_32segmented_reduce_config_selectorIN3c108BFloat16EEEZNS1_21segmented_reduce_implIS3_PKS6_PS6_PKiS6_N6hipcub16HIPCUB_304000_NS6detail27convert_result_type_wrapperISA_SB_N2at6native12_GLOBAL__N_110CustomProdEEEEE10hipError_tPvRmT0_T1_jT2_SS_T4_T3_P12ihipStream_tbEUlT_E_NS1_11comp_targetILNS1_3genE8ELNS1_11target_archE1030ELNS1_3gpuE2ELNS1_3repE0EEENS1_30default_config_static_selectorELNS0_4arch9wavefront6targetE0EEEvSR_
; %bb.0:
	s_clause 0x2
	s_load_dwordx8 s[12:19], s[4:5], 0x0
	s_load_dword s8, s[4:5], 0x28
	s_load_dwordx2 s[0:1], s[4:5], 0x20
	s_mov_b32 s7, 0
	v_cmp_eq_u32_e32 vcc_lo, 0, v0
	s_waitcnt lgkmcnt(0)
	s_lshl_b64 s[2:3], s[16:17], 2
	s_lshr_b32 s20, s8, 16
	s_add_u32 s4, s18, s2
	s_addc_u32 s5, s19, s3
	s_add_u32 s8, s0, s2
	s_addc_u32 s9, s1, s3
	s_lshl_b64 s[0:1], s[6:7], 2
	s_add_u32 s2, s4, s0
	s_addc_u32 s3, s5, s1
	s_add_u32 s0, s8, s0
	s_addc_u32 s1, s9, s1
	s_load_dword s10, s[2:3], 0x0
	s_load_dword s21, s[0:1], 0x0
	s_mov_b32 s0, -1
	s_mov_b32 s9, s7
	s_waitcnt lgkmcnt(0)
	s_cmp_gt_i32 s21, s10
	s_cbranch_scc1 .LBB143_2
; %bb.1:
	s_mov_b32 s0, 0
	s_and_b32 s9, vcc_lo, exec_lo
.LBB143_2:
	s_andn2_b32 vcc_lo, exec_lo, s0
	s_cbranch_vccnz .LBB143_36
; %bb.3:
	s_add_i32 s0, s10, 0x800
	s_cmp_le_i32 s0, s21
	s_cbranch_scc0 .LBB143_37
; %bb.4:
	s_ashr_i32 s11, s10, 31
	v_lshlrev_b32_e32 v10, 1, v0
	s_lshl_b64 s[2:3], s[10:11], 1
	s_add_u32 s2, s12, s2
	s_addc_u32 s3, s13, s3
	v_add_co_u32 v1, s1, s2, v10
	s_clause 0x3
	global_load_ushort v7, v10, s[2:3] offset:512
	global_load_ushort v8, v10, s[2:3]
	global_load_ushort v6, v10, s[2:3] offset:1024
	global_load_ushort v5, v10, s[2:3] offset:1536
	v_add_co_ci_u32_e64 v2, null, s3, 0, s1
	v_add_co_u32 v11, vcc_lo, 0x800, v1
	s_add_i32 s1, s10, 0x1000
	v_add_co_ci_u32_e64 v12, null, 0, v2, vcc_lo
	s_cmp_ge_i32 s1, s21
	s_clause 0x3
	global_load_ushort v4, v[11:12], off
	global_load_ushort v3, v[11:12], off offset:512
	global_load_ushort v2, v[11:12], off offset:1024
	;; [unrolled: 1-line block ×3, first 2 shown]
	s_waitcnt vmcnt(7)
	v_lshlrev_b32_e32 v9, 16, v7
	s_waitcnt vmcnt(6)
	v_lshlrev_b32_e32 v11, 16, v8
	;; [unrolled: 2-line block ×3, first 2 shown]
	v_mul_f32_e32 v9, v11, v9
	v_bfe_u32 v11, v9, 16, 1
	v_cmp_o_f32_e32 vcc_lo, v9, v9
	v_add3_u32 v11, v9, v11, 0x7fff
	v_and_b32_e32 v11, 0xffff0000, v11
	v_cndmask_b32_e32 v9, 0x7fc00000, v11, vcc_lo
	v_mul_f32_e32 v9, v9, v12
	s_waitcnt vmcnt(4)
	v_lshlrev_b32_e32 v12, 16, v5
	v_bfe_u32 v11, v9, 16, 1
	v_cmp_o_f32_e32 vcc_lo, v9, v9
	v_add3_u32 v11, v9, v11, 0x7fff
	v_and_b32_e32 v11, 0xffff0000, v11
	v_cndmask_b32_e32 v9, 0x7fc00000, v11, vcc_lo
	v_mul_f32_e32 v9, v9, v12
	s_waitcnt vmcnt(3)
	v_lshlrev_b32_e32 v12, 16, v4
	;; [unrolled: 8-line block ×5, first 2 shown]
	v_bfe_u32 v11, v9, 16, 1
	v_cmp_o_f32_e32 vcc_lo, v9, v9
	v_add3_u32 v11, v9, v11, 0x7fff
	v_and_b32_e32 v11, 0xffff0000, v11
	v_cndmask_b32_e32 v9, 0x7fc00000, v11, vcc_lo
	v_mov_b32_e32 v11, 0x7fc0
	v_mul_f32_e32 v9, v9, v12
	v_bfe_u32 v12, v9, 16, 1
	v_cmp_o_f32_e32 vcc_lo, v9, v9
	v_add3_u32 v9, v9, v12, 0x7fff
	v_cndmask_b32_sdwa v9, v11, v9, vcc_lo dst_sel:DWORD dst_unused:UNUSED_PAD src0_sel:DWORD src1_sel:WORD_1
	s_cbranch_scc1 .LBB143_7
; %bb.5:
	v_add_co_u32 v12, s1, s12, v10
	v_add_co_ci_u32_e64 v13, null, s13, 0, s1
.LBB143_6:                              ; =>This Inner Loop Header: Depth=1
	s_ashr_i32 s1, s0, 31
	v_lshlrev_b32_e32 v9, 16, v9
	s_lshl_b64 s[2:3], s[0:1], 1
	s_add_i32 s1, s0, 0x1000
	v_add_co_u32 v1, vcc_lo, v12, s2
	v_add_co_ci_u32_e64 v2, null, s3, v13, vcc_lo
	s_addk_i32 s0, 0x800
	v_add_co_u32 v14, vcc_lo, 0x800, v1
	s_clause 0x3
	global_load_ushort v8, v[1:2], off
	global_load_ushort v7, v[1:2], off offset:512
	global_load_ushort v6, v[1:2], off offset:1024
	;; [unrolled: 1-line block ×3, first 2 shown]
	v_add_co_ci_u32_e64 v15, null, 0, v2, vcc_lo
	s_cmp_lt_i32 s1, s21
	s_clause 0x3
	global_load_ushort v4, v[14:15], off
	global_load_ushort v3, v[14:15], off offset:512
	global_load_ushort v2, v[14:15], off offset:1024
	;; [unrolled: 1-line block ×3, first 2 shown]
	s_waitcnt vmcnt(7)
	v_lshlrev_b32_e32 v14, 16, v8
	s_waitcnt vmcnt(6)
	v_lshlrev_b32_e32 v15, 16, v7
	v_mul_f32_e32 v9, v9, v14
	v_bfe_u32 v14, v9, 16, 1
	v_cmp_o_f32_e32 vcc_lo, v9, v9
	v_add3_u32 v14, v9, v14, 0x7fff
	v_and_b32_e32 v14, 0xffff0000, v14
	v_cndmask_b32_e32 v9, 0x7fc00000, v14, vcc_lo
	v_mul_f32_e32 v9, v9, v15
	s_waitcnt vmcnt(5)
	v_lshlrev_b32_e32 v15, 16, v6
	v_bfe_u32 v14, v9, 16, 1
	v_cmp_o_f32_e32 vcc_lo, v9, v9
	v_add3_u32 v14, v9, v14, 0x7fff
	v_and_b32_e32 v14, 0xffff0000, v14
	v_cndmask_b32_e32 v9, 0x7fc00000, v14, vcc_lo
	v_mul_f32_e32 v9, v9, v15
	s_waitcnt vmcnt(4)
	v_lshlrev_b32_e32 v15, 16, v5
	;; [unrolled: 8-line block ×6, first 2 shown]
	v_bfe_u32 v14, v9, 16, 1
	v_cmp_o_f32_e32 vcc_lo, v9, v9
	v_add3_u32 v14, v9, v14, 0x7fff
	v_and_b32_e32 v14, 0xffff0000, v14
	v_cndmask_b32_e32 v9, 0x7fc00000, v14, vcc_lo
	v_mul_f32_e32 v9, v9, v15
	v_bfe_u32 v14, v9, 16, 1
	v_cmp_o_f32_e32 vcc_lo, v9, v9
	v_add3_u32 v9, v9, v14, 0x7fff
	v_cndmask_b32_sdwa v9, v11, v9, vcc_lo dst_sel:DWORD dst_unused:UNUSED_PAD src0_sel:DWORD src1_sel:WORD_1
	s_cbranch_scc1 .LBB143_6
.LBB143_7:
	s_ashr_i32 s1, s0, 31
	s_sub_i32 s11, s21, s0
	s_lshl_b64 s[0:1], s[0:1], 1
	v_cmp_gt_u32_e32 vcc_lo, s11, v0
	s_add_u32 s18, s12, s0
	s_addc_u32 s19, s13, s1
	s_and_saveexec_b32 s0, vcc_lo
	s_cbranch_execz .LBB143_9
; %bb.8:
	global_load_ushort v8, v10, s[18:19]
.LBB143_9:
	s_or_b32 exec_lo, exec_lo, s0
	v_or_b32_e32 v11, 0x100, v0
	v_cmp_gt_u32_e64 s8, s11, v11
	s_and_saveexec_b32 s0, s8
	s_cbranch_execz .LBB143_11
; %bb.10:
	global_load_ushort v7, v10, s[18:19] offset:512
.LBB143_11:
	s_or_b32 exec_lo, exec_lo, s0
	v_or_b32_e32 v11, 0x200, v0
	v_cmp_gt_u32_e64 s5, s11, v11
	s_and_saveexec_b32 s0, s5
	s_cbranch_execz .LBB143_13
; %bb.12:
	global_load_ushort v6, v10, s[18:19] offset:1024
.LBB143_13:
	;; [unrolled: 8-line block ×3, first 2 shown]
	s_or_b32 exec_lo, exec_lo, s0
	v_or_b32_e32 v10, 0x400, v0
	v_cmp_gt_u32_e64 s3, s11, v10
	s_and_saveexec_b32 s0, s3
	s_cbranch_execz .LBB143_17
; %bb.16:
	v_lshlrev_b32_e32 v4, 1, v10
	global_load_ushort v4, v4, s[18:19]
.LBB143_17:
	s_or_b32 exec_lo, exec_lo, s0
	v_or_b32_e32 v10, 0x500, v0
	v_cmp_gt_u32_e64 s2, s11, v10
	s_and_saveexec_b32 s0, s2
	s_cbranch_execz .LBB143_19
; %bb.18:
	v_lshlrev_b32_e32 v3, 1, v10
	global_load_ushort v3, v3, s[18:19]
.LBB143_19:
	;; [unrolled: 9-line block ×3, first 2 shown]
	s_or_b32 exec_lo, exec_lo, s0
	v_or_b32_e32 v10, 0x700, v0
	v_cmp_gt_u32_e64 s0, s11, v10
	s_and_saveexec_b32 s11, s0
	s_cbranch_execnz .LBB143_66
; %bb.22:
	s_or_b32 exec_lo, exec_lo, s11
	s_and_saveexec_b32 s11, vcc_lo
	s_cbranch_execnz .LBB143_67
.LBB143_23:
	s_or_b32 exec_lo, exec_lo, s11
	s_and_saveexec_b32 s11, s8
	s_cbranch_execnz .LBB143_68
.LBB143_24:
	s_or_b32 exec_lo, exec_lo, s11
	s_and_saveexec_b32 s8, s5
	s_cbranch_execnz .LBB143_69
.LBB143_25:
	s_or_b32 exec_lo, exec_lo, s8
	s_and_saveexec_b32 s5, s4
	s_cbranch_execnz .LBB143_70
.LBB143_26:
	s_or_b32 exec_lo, exec_lo, s5
	s_and_saveexec_b32 s4, s3
	s_cbranch_execnz .LBB143_71
.LBB143_27:
	s_or_b32 exec_lo, exec_lo, s4
	s_and_saveexec_b32 s3, s2
	s_cbranch_execnz .LBB143_72
.LBB143_28:
	s_or_b32 exec_lo, exec_lo, s3
	s_and_saveexec_b32 s2, s1
	s_cbranch_execnz .LBB143_73
.LBB143_29:
	s_or_b32 exec_lo, exec_lo, s2
	s_and_saveexec_b32 s1, s0
	s_cbranch_execz .LBB143_31
.LBB143_30:
	s_waitcnt vmcnt(0)
	v_lshlrev_b32_e32 v2, 16, v9
	v_lshlrev_b32_e32 v1, 16, v1
	v_mul_f32_e32 v1, v1, v2
	v_bfe_u32 v2, v1, 16, 1
	v_cmp_o_f32_e32 vcc_lo, v1, v1
	v_add3_u32 v1, v1, v2, 0x7fff
	v_mov_b32_e32 v2, 0x7fc0
	v_cndmask_b32_sdwa v9, v2, v1, vcc_lo dst_sel:DWORD dst_unused:UNUSED_PAD src0_sel:DWORD src1_sel:WORD_1
.LBB143_31:
	s_or_b32 exec_lo, exec_lo, s1
	s_waitcnt vmcnt(0)
	v_and_b32_e32 v1, 0xffff, v9
	v_lshlrev_b32_e32 v2, 16, v9
	v_mov_b32_e32 v3, 0x7fc0
	s_mov_b32 s0, exec_lo
	v_mov_b32_dpp v1, v1 quad_perm:[1,0,3,2] row_mask:0xf bank_mask:0xf
	v_lshlrev_b32_e32 v1, 16, v1
	v_mul_f32_e32 v1, v2, v1
	v_bfe_u32 v2, v1, 16, 1
	v_cmp_o_f32_e32 vcc_lo, v1, v1
	v_add3_u32 v2, v1, v2, 0x7fff
	v_lshrrev_b32_e32 v2, 16, v2
	v_cndmask_b32_e32 v1, 0x7fc0, v2, vcc_lo
	v_mov_b32_dpp v2, v1 quad_perm:[2,3,0,1] row_mask:0xf bank_mask:0xf
	v_lshlrev_b32_e32 v1, 16, v1
	v_lshlrev_b32_e32 v2, 16, v2
	v_mul_f32_e32 v1, v2, v1
	v_bfe_u32 v2, v1, 16, 1
	v_cmp_o_f32_e32 vcc_lo, v1, v1
	v_add3_u32 v2, v1, v2, 0x7fff
	v_lshrrev_b32_e32 v2, 16, v2
	v_cndmask_b32_e32 v1, 0x7fc0, v2, vcc_lo
	v_mov_b32_dpp v2, v1 row_ror:4 row_mask:0xf bank_mask:0xf
	v_lshlrev_b32_e32 v1, 16, v1
	v_lshlrev_b32_e32 v2, 16, v2
	v_mul_f32_e32 v1, v2, v1
	v_bfe_u32 v2, v1, 16, 1
	v_cmp_o_f32_e32 vcc_lo, v1, v1
	v_add3_u32 v2, v1, v2, 0x7fff
	v_lshrrev_b32_e32 v2, 16, v2
	v_cndmask_b32_e32 v1, 0x7fc0, v2, vcc_lo
	v_mov_b32_dpp v2, v1 row_ror:8 row_mask:0xf bank_mask:0xf
	v_lshlrev_b32_e32 v1, 16, v1
	v_lshlrev_b32_e32 v2, 16, v2
	v_mul_f32_e32 v1, v2, v1
	v_bfe_u32 v2, v1, 16, 1
	v_cmp_o_f32_e32 vcc_lo, v1, v1
	v_add3_u32 v1, v1, v2, 0x7fff
	v_cndmask_b32_sdwa v1, v3, v1, vcc_lo dst_sel:DWORD dst_unused:UNUSED_PAD src0_sel:DWORD src1_sel:WORD_1
	ds_swizzle_b32 v2, v1 offset:swizzle(BROADCAST,32,15)
	v_lshlrev_b32_e32 v1, 16, v1
	s_waitcnt lgkmcnt(0)
	v_lshlrev_b32_e32 v2, 16, v2
	v_mul_f32_e32 v1, v2, v1
	v_bfe_u32 v2, v1, 16, 1
	v_cmp_o_f32_e32 vcc_lo, v1, v1
	v_add3_u32 v1, v1, v2, 0x7fff
	v_mov_b32_e32 v2, 0
	v_cndmask_b32_sdwa v1, v3, v1, vcc_lo dst_sel:DWORD dst_unused:UNUSED_PAD src0_sel:DWORD src1_sel:WORD_1
	ds_bpermute_b32 v4, v2, v1 offset:124
	v_mbcnt_lo_u32_b32 v1, -1, 0
	v_cmpx_eq_u32_e32 0, v1
	s_xor_b32 s0, exec_lo, s0
	s_cbranch_execz .LBB143_33
; %bb.32:
	v_lshrrev_b32_e32 v2, 4, v0
	v_and_b32_e32 v2, 14, v2
	s_waitcnt lgkmcnt(0)
	ds_write_b16 v2, v4
.LBB143_33:
	s_or_b32 exec_lo, exec_lo, s0
	s_mov_b32 s0, exec_lo
	s_waitcnt lgkmcnt(0)
	s_barrier
	buffer_gl0_inv
	v_cmpx_gt_u32_e32 32, v0
	s_cbranch_execz .LBB143_35
; %bb.34:
	v_and_b32_e32 v2, 7, v1
	v_lshlrev_b32_e32 v3, 1, v2
	v_cmp_ne_u32_e32 vcc_lo, 7, v2
	ds_read_u16 v3, v3
	v_add_co_ci_u32_e64 v4, null, 0, v1, vcc_lo
	v_cmp_gt_u32_e32 vcc_lo, 6, v2
	v_lshlrev_b32_e32 v4, 2, v4
	v_cndmask_b32_e64 v2, 0, 2, vcc_lo
	v_add_lshl_u32 v2, v2, v1, 2
	v_lshlrev_b32_e32 v1, 2, v1
	v_or_b32_e32 v1, 16, v1
	s_waitcnt lgkmcnt(0)
	ds_bpermute_b32 v4, v4, v3
	v_lshlrev_b32_e32 v3, 16, v3
	s_waitcnt lgkmcnt(0)
	v_lshlrev_b32_e32 v4, 16, v4
	v_mul_f32_e32 v3, v3, v4
	v_bfe_u32 v4, v3, 16, 1
	v_cmp_o_f32_e32 vcc_lo, v3, v3
	v_add3_u32 v4, v3, v4, 0x7fff
	v_lshrrev_b32_e32 v4, 16, v4
	v_cndmask_b32_e32 v3, 0x7fc0, v4, vcc_lo
	ds_bpermute_b32 v2, v2, v3
	v_lshlrev_b32_e32 v3, 16, v3
	s_waitcnt lgkmcnt(0)
	v_lshlrev_b32_e32 v2, 16, v2
	v_mul_f32_e32 v2, v2, v3
	v_bfe_u32 v3, v2, 16, 1
	v_cmp_o_f32_e32 vcc_lo, v2, v2
	v_add3_u32 v2, v2, v3, 0x7fff
	v_mov_b32_e32 v3, 0x7fc0
	v_cndmask_b32_sdwa v2, v3, v2, vcc_lo dst_sel:DWORD dst_unused:UNUSED_PAD src0_sel:DWORD src1_sel:WORD_1
	ds_bpermute_b32 v1, v1, v2
	v_lshlrev_b32_e32 v2, 16, v2
	s_waitcnt lgkmcnt(0)
	v_lshlrev_b32_e32 v1, 16, v1
	v_mul_f32_e32 v1, v1, v2
	v_bfe_u32 v2, v1, 16, 1
	v_cmp_o_f32_e32 vcc_lo, v1, v1
	v_add3_u32 v1, v1, v2, 0x7fff
	v_cndmask_b32_sdwa v4, v3, v1, vcc_lo dst_sel:DWORD dst_unused:UNUSED_PAD src0_sel:DWORD src1_sel:WORD_1
.LBB143_35:
	s_or_b32 exec_lo, exec_lo, s0
	s_branch .LBB143_80
.LBB143_36:
	v_mov_b32_e32 v1, s20
	s_and_saveexec_b32 s0, s9
	s_cbranch_execnz .LBB143_83
	s_branch .LBB143_84
.LBB143_37:
                                        ; implicit-def: $vgpr4
	s_cbranch_execz .LBB143_80
; %bb.38:
	s_sub_i32 s1, s21, s10
	s_mov_b32 s2, exec_lo
                                        ; implicit-def: $vgpr3
	v_cmpx_gt_u32_e64 s1, v0
	s_cbranch_execz .LBB143_44
; %bb.39:
	v_add_nc_u32_e32 v1, s10, v0
	s_mov_b32 s3, exec_lo
	v_ashrrev_i32_e32 v2, 31, v1
	v_lshlrev_b64 v[2:3], 1, v[1:2]
	v_add_nc_u32_e32 v1, 0x100, v1
	v_add_co_u32 v2, vcc_lo, s12, v2
	v_add_co_ci_u32_e64 v3, null, s13, v3, vcc_lo
	global_load_ushort v3, v[2:3], off
	v_cmpx_gt_i32_e64 s21, v1
	s_cbranch_execz .LBB143_43
; %bb.40:
	v_mov_b32_e32 v4, 0x7fc0
	s_mov_b32 s4, 0
	.p2align	6
.LBB143_41:                             ; =>This Inner Loop Header: Depth=1
	v_ashrrev_i32_e32 v2, 31, v1
	s_waitcnt vmcnt(0)
	v_lshlrev_b32_e32 v3, 16, v3
	v_lshlrev_b64 v[5:6], 1, v[1:2]
	v_add_nc_u32_e32 v1, 0x100, v1
	v_cmp_le_i32_e64 s0, s21, v1
	v_add_co_u32 v5, vcc_lo, s12, v5
	v_add_co_ci_u32_e64 v6, null, s13, v6, vcc_lo
	s_or_b32 s4, s0, s4
	global_load_ushort v2, v[5:6], off
	s_waitcnt vmcnt(0)
	v_lshlrev_b32_e32 v2, 16, v2
	v_mul_f32_e32 v2, v3, v2
	v_bfe_u32 v3, v2, 16, 1
	v_cmp_o_f32_e32 vcc_lo, v2, v2
	v_add3_u32 v2, v2, v3, 0x7fff
	v_cndmask_b32_sdwa v3, v4, v2, vcc_lo dst_sel:DWORD dst_unused:UNUSED_PAD src0_sel:DWORD src1_sel:WORD_1
	s_andn2_b32 exec_lo, exec_lo, s4
	s_cbranch_execnz .LBB143_41
; %bb.42:
	s_or_b32 exec_lo, exec_lo, s4
.LBB143_43:
	s_or_b32 exec_lo, exec_lo, s3
.LBB143_44:
	s_or_b32 exec_lo, exec_lo, s2
	v_mbcnt_lo_u32_b32 v1, -1, 0
	s_waitcnt vmcnt(0)
	v_and_b32_e32 v2, 0xffff, v3
	s_cmpk_lt_u32 s1, 0x100
	s_cbranch_scc0 .LBB143_74
; %bb.45:
	v_cmp_ne_u32_e32 vcc_lo, 31, v1
	v_mov_b32_e32 v7, v2
	v_add_co_ci_u32_e64 v4, null, 0, v1, vcc_lo
	v_lshlrev_b32_e32 v4, 2, v4
	ds_bpermute_b32 v6, v4, v2
	v_and_b32_e32 v4, 0xe0, v0
	v_sub_nc_u32_e64 v5, s1, v4 clamp
	v_add_nc_u32_e32 v4, 1, v1
	v_cmp_lt_u32_e32 vcc_lo, v4, v5
	v_mov_b32_e32 v4, v3
	s_and_saveexec_b32 s0, vcc_lo
	s_cbranch_execz .LBB143_47
; %bb.46:
	v_lshlrev_b32_e32 v4, 16, v2
	s_waitcnt lgkmcnt(0)
	v_lshlrev_b32_e32 v6, 16, v6
	v_mul_f32_e32 v4, v4, v6
	v_bfe_u32 v6, v4, 16, 1
	v_cmp_o_f32_e32 vcc_lo, v4, v4
	v_add3_u32 v4, v4, v6, 0x7fff
	v_mov_b32_e32 v6, 0x7fc0
	v_cndmask_b32_sdwa v4, v6, v4, vcc_lo dst_sel:DWORD dst_unused:UNUSED_PAD src0_sel:DWORD src1_sel:WORD_1
	v_and_b32_e32 v7, 0xffff, v4
.LBB143_47:
	s_or_b32 exec_lo, exec_lo, s0
	v_cmp_gt_u32_e32 vcc_lo, 30, v1
	v_add_nc_u32_e32 v8, 2, v1
	s_mov_b32 s0, exec_lo
	s_waitcnt lgkmcnt(0)
	v_cndmask_b32_e64 v6, 0, 2, vcc_lo
	v_add_lshl_u32 v6, v6, v1, 2
	ds_bpermute_b32 v6, v6, v7
	v_cmpx_lt_u32_e64 v8, v5
	s_cbranch_execz .LBB143_49
; %bb.48:
	v_lshlrev_b32_e32 v4, 16, v7
	s_waitcnt lgkmcnt(0)
	v_lshlrev_b32_e32 v6, 16, v6
	v_mul_f32_e32 v4, v4, v6
	v_bfe_u32 v6, v4, 16, 1
	v_cmp_o_f32_e32 vcc_lo, v4, v4
	v_add3_u32 v4, v4, v6, 0x7fff
	v_mov_b32_e32 v6, 0x7fc0
	v_cndmask_b32_sdwa v4, v6, v4, vcc_lo dst_sel:DWORD dst_unused:UNUSED_PAD src0_sel:DWORD src1_sel:WORD_1
	v_and_b32_e32 v7, 0xffff, v4
.LBB143_49:
	s_or_b32 exec_lo, exec_lo, s0
	v_cmp_gt_u32_e32 vcc_lo, 28, v1
	v_add_nc_u32_e32 v8, 4, v1
	s_mov_b32 s0, exec_lo
	s_waitcnt lgkmcnt(0)
	v_cndmask_b32_e64 v6, 0, 4, vcc_lo
	v_add_lshl_u32 v6, v6, v1, 2
	ds_bpermute_b32 v6, v6, v7
	v_cmpx_lt_u32_e64 v8, v5
	;; [unrolled: 22-line block ×3, first 2 shown]
	s_cbranch_execz .LBB143_53
; %bb.52:
	v_lshlrev_b32_e32 v4, 16, v7
	s_waitcnt lgkmcnt(0)
	v_lshlrev_b32_e32 v6, 16, v6
	v_mul_f32_e32 v4, v4, v6
	v_bfe_u32 v6, v4, 16, 1
	v_cmp_o_f32_e32 vcc_lo, v4, v4
	v_add3_u32 v4, v4, v6, 0x7fff
	v_mov_b32_e32 v6, 0x7fc0
	v_cndmask_b32_sdwa v4, v6, v4, vcc_lo dst_sel:DWORD dst_unused:UNUSED_PAD src0_sel:DWORD src1_sel:WORD_1
	v_and_b32_e32 v7, 0xffff, v4
.LBB143_53:
	s_or_b32 exec_lo, exec_lo, s0
	s_waitcnt lgkmcnt(0)
	v_lshlrev_b32_e32 v6, 2, v1
	v_add_nc_u32_e32 v9, 16, v1
	s_mov_b32 s0, exec_lo
	v_or_b32_e32 v8, 64, v6
	ds_bpermute_b32 v8, v8, v7
	v_cmpx_lt_u32_e64 v9, v5
	s_cbranch_execz .LBB143_55
; %bb.54:
	v_lshlrev_b32_e32 v4, 16, v7
	s_waitcnt lgkmcnt(0)
	v_lshlrev_b32_e32 v5, 16, v8
	v_mul_f32_e32 v4, v4, v5
	v_bfe_u32 v5, v4, 16, 1
	v_cmp_o_f32_e32 vcc_lo, v4, v4
	v_add3_u32 v4, v4, v5, 0x7fff
	v_mov_b32_e32 v5, 0x7fc0
	v_cndmask_b32_sdwa v4, v5, v4, vcc_lo dst_sel:DWORD dst_unused:UNUSED_PAD src0_sel:DWORD src1_sel:WORD_1
.LBB143_55:
	s_or_b32 exec_lo, exec_lo, s0
	s_mov_b32 s0, exec_lo
	v_cmpx_eq_u32_e32 0, v1
; %bb.56:
	v_lshrrev_b32_e32 v5, 4, v0
	v_and_b32_e32 v5, 14, v5
	ds_write_b16 v5, v4
; %bb.57:
	s_or_b32 exec_lo, exec_lo, s0
	s_mov_b32 s0, exec_lo
	s_waitcnt lgkmcnt(0)
	s_barrier
	buffer_gl0_inv
	v_cmpx_gt_u32_e32 8, v0
	s_cbranch_execz .LBB143_65
; %bb.58:
	v_lshlrev_b32_e32 v4, 1, v1
	v_and_b32_e32 v5, 7, v1
	s_add_i32 s1, s1, 31
	s_mov_b32 s2, exec_lo
	s_lshr_b32 s1, s1, 5
	ds_read_u16 v4, v4
	v_cmp_ne_u32_e32 vcc_lo, 7, v5
	v_add_nc_u32_e32 v9, 1, v5
	v_add_co_ci_u32_e64 v7, null, 0, v1, vcc_lo
	v_lshlrev_b32_e32 v8, 2, v7
	s_waitcnt lgkmcnt(0)
	v_and_b32_e32 v7, 0xffff, v4
	ds_bpermute_b32 v8, v8, v7
	v_cmpx_gt_u32_e64 s1, v9
	s_cbranch_execz .LBB143_60
; %bb.59:
	v_lshlrev_b32_e32 v4, 16, v7
	s_waitcnt lgkmcnt(0)
	v_lshlrev_b32_e32 v7, 16, v8
	v_mul_f32_e32 v4, v4, v7
	v_bfe_u32 v7, v4, 16, 1
	v_cmp_o_f32_e32 vcc_lo, v4, v4
	v_add3_u32 v4, v4, v7, 0x7fff
	v_mov_b32_e32 v7, 0x7fc0
	v_cndmask_b32_sdwa v4, v7, v4, vcc_lo dst_sel:DWORD dst_unused:UNUSED_PAD src0_sel:DWORD src1_sel:WORD_1
	v_and_b32_e32 v7, 0xffff, v4
.LBB143_60:
	s_or_b32 exec_lo, exec_lo, s2
	v_cmp_gt_u32_e32 vcc_lo, 6, v5
	v_add_nc_u32_e32 v9, 2, v5
	s_mov_b32 s2, exec_lo
	s_waitcnt lgkmcnt(0)
	v_cndmask_b32_e64 v8, 0, 2, vcc_lo
	v_add_lshl_u32 v8, v8, v1, 2
	ds_bpermute_b32 v8, v8, v7
	v_cmpx_gt_u32_e64 s1, v9
	s_cbranch_execz .LBB143_62
; %bb.61:
	v_lshlrev_b32_e32 v4, 16, v7
	s_waitcnt lgkmcnt(0)
	v_lshlrev_b32_e32 v7, 16, v8
	v_mul_f32_e32 v4, v4, v7
	v_bfe_u32 v7, v4, 16, 1
	v_cmp_o_f32_e32 vcc_lo, v4, v4
	v_add3_u32 v4, v4, v7, 0x7fff
	v_mov_b32_e32 v7, 0x7fc0
	v_cndmask_b32_sdwa v4, v7, v4, vcc_lo dst_sel:DWORD dst_unused:UNUSED_PAD src0_sel:DWORD src1_sel:WORD_1
	v_and_b32_e32 v7, 0xffff, v4
.LBB143_62:
	s_or_b32 exec_lo, exec_lo, s2
	v_or_b32_e32 v6, 16, v6
	v_add_nc_u32_e32 v5, 4, v5
	ds_bpermute_b32 v6, v6, v7
	v_cmp_gt_u32_e32 vcc_lo, s1, v5
	s_and_saveexec_b32 s1, vcc_lo
	s_cbranch_execz .LBB143_64
; %bb.63:
	v_lshlrev_b32_e32 v4, 16, v7
	s_waitcnt lgkmcnt(0)
	v_lshlrev_b32_e32 v5, 16, v6
	v_mul_f32_e32 v4, v4, v5
	v_bfe_u32 v5, v4, 16, 1
	v_cmp_o_f32_e32 vcc_lo, v4, v4
	v_add3_u32 v4, v4, v5, 0x7fff
	v_mov_b32_e32 v5, 0x7fc0
	v_cndmask_b32_sdwa v4, v5, v4, vcc_lo dst_sel:DWORD dst_unused:UNUSED_PAD src0_sel:DWORD src1_sel:WORD_1
.LBB143_64:
	s_or_b32 exec_lo, exec_lo, s1
.LBB143_65:
	s_or_b32 exec_lo, exec_lo, s0
	s_branch .LBB143_80
.LBB143_66:
	v_lshlrev_b32_e32 v1, 1, v10
	global_load_ushort v1, v1, s[18:19]
	s_or_b32 exec_lo, exec_lo, s11
	s_and_saveexec_b32 s11, vcc_lo
	s_cbranch_execz .LBB143_23
.LBB143_67:
	v_lshlrev_b32_e32 v9, 16, v9
	s_waitcnt vmcnt(0)
	v_lshlrev_b32_e32 v8, 16, v8
	v_mul_f32_e32 v8, v9, v8
	v_bfe_u32 v9, v8, 16, 1
	v_cmp_o_f32_e32 vcc_lo, v8, v8
	v_add3_u32 v8, v8, v9, 0x7fff
	v_mov_b32_e32 v9, 0x7fc0
	v_cndmask_b32_sdwa v9, v9, v8, vcc_lo dst_sel:DWORD dst_unused:UNUSED_PAD src0_sel:DWORD src1_sel:WORD_1
	s_or_b32 exec_lo, exec_lo, s11
	s_and_saveexec_b32 s11, s8
	s_cbranch_execz .LBB143_24
.LBB143_68:
	s_waitcnt vmcnt(0)
	v_lshlrev_b32_e32 v8, 16, v9
	v_lshlrev_b32_e32 v7, 16, v7
	v_mul_f32_e32 v7, v7, v8
	v_bfe_u32 v8, v7, 16, 1
	v_cmp_o_f32_e32 vcc_lo, v7, v7
	v_add3_u32 v7, v7, v8, 0x7fff
	v_mov_b32_e32 v8, 0x7fc0
	v_cndmask_b32_sdwa v9, v8, v7, vcc_lo dst_sel:DWORD dst_unused:UNUSED_PAD src0_sel:DWORD src1_sel:WORD_1
	s_or_b32 exec_lo, exec_lo, s11
	s_and_saveexec_b32 s8, s5
	s_cbranch_execz .LBB143_25
.LBB143_69:
	s_waitcnt vmcnt(0)
	v_lshlrev_b32_e32 v7, 16, v9
	v_lshlrev_b32_e32 v6, 16, v6
	v_mul_f32_e32 v6, v6, v7
	v_bfe_u32 v7, v6, 16, 1
	v_cmp_o_f32_e32 vcc_lo, v6, v6
	v_add3_u32 v6, v6, v7, 0x7fff
	v_mov_b32_e32 v7, 0x7fc0
	v_cndmask_b32_sdwa v9, v7, v6, vcc_lo dst_sel:DWORD dst_unused:UNUSED_PAD src0_sel:DWORD src1_sel:WORD_1
	s_or_b32 exec_lo, exec_lo, s8
	s_and_saveexec_b32 s5, s4
	s_cbranch_execz .LBB143_26
.LBB143_70:
	s_waitcnt vmcnt(0)
	v_lshlrev_b32_e32 v6, 16, v9
	v_lshlrev_b32_e32 v5, 16, v5
	v_mul_f32_e32 v5, v5, v6
	v_bfe_u32 v6, v5, 16, 1
	v_cmp_o_f32_e32 vcc_lo, v5, v5
	v_add3_u32 v5, v5, v6, 0x7fff
	v_mov_b32_e32 v6, 0x7fc0
	v_cndmask_b32_sdwa v9, v6, v5, vcc_lo dst_sel:DWORD dst_unused:UNUSED_PAD src0_sel:DWORD src1_sel:WORD_1
	s_or_b32 exec_lo, exec_lo, s5
	s_and_saveexec_b32 s4, s3
	s_cbranch_execz .LBB143_27
.LBB143_71:
	s_waitcnt vmcnt(0)
	v_lshlrev_b32_e32 v5, 16, v9
	v_lshlrev_b32_e32 v4, 16, v4
	v_mul_f32_e32 v4, v4, v5
	v_bfe_u32 v5, v4, 16, 1
	v_cmp_o_f32_e32 vcc_lo, v4, v4
	v_add3_u32 v4, v4, v5, 0x7fff
	v_mov_b32_e32 v5, 0x7fc0
	v_cndmask_b32_sdwa v9, v5, v4, vcc_lo dst_sel:DWORD dst_unused:UNUSED_PAD src0_sel:DWORD src1_sel:WORD_1
	s_or_b32 exec_lo, exec_lo, s4
	s_and_saveexec_b32 s3, s2
	s_cbranch_execz .LBB143_28
.LBB143_72:
	s_waitcnt vmcnt(0)
	v_lshlrev_b32_e32 v4, 16, v9
	v_lshlrev_b32_e32 v3, 16, v3
	v_mul_f32_e32 v3, v3, v4
	v_bfe_u32 v4, v3, 16, 1
	v_cmp_o_f32_e32 vcc_lo, v3, v3
	v_add3_u32 v3, v3, v4, 0x7fff
	v_mov_b32_e32 v4, 0x7fc0
	v_cndmask_b32_sdwa v9, v4, v3, vcc_lo dst_sel:DWORD dst_unused:UNUSED_PAD src0_sel:DWORD src1_sel:WORD_1
	s_or_b32 exec_lo, exec_lo, s3
	s_and_saveexec_b32 s2, s1
	s_cbranch_execz .LBB143_29
.LBB143_73:
	s_waitcnt vmcnt(0)
	v_lshlrev_b32_e32 v3, 16, v9
	v_lshlrev_b32_e32 v2, 16, v2
	v_mul_f32_e32 v2, v2, v3
	v_bfe_u32 v3, v2, 16, 1
	v_cmp_o_f32_e32 vcc_lo, v2, v2
	v_add3_u32 v2, v2, v3, 0x7fff
	v_mov_b32_e32 v3, 0x7fc0
	v_cndmask_b32_sdwa v9, v3, v2, vcc_lo dst_sel:DWORD dst_unused:UNUSED_PAD src0_sel:DWORD src1_sel:WORD_1
	s_or_b32 exec_lo, exec_lo, s2
	s_and_saveexec_b32 s1, s0
	s_cbranch_execnz .LBB143_30
	s_branch .LBB143_31
.LBB143_74:
                                        ; implicit-def: $vgpr4
	s_cbranch_execz .LBB143_80
; %bb.75:
	v_mov_b32_dpp v2, v2 quad_perm:[1,0,3,2] row_mask:0xf bank_mask:0xf
	v_lshlrev_b32_e32 v3, 16, v3
	v_mov_b32_e32 v4, 0x7fc0
	s_mov_b32 s0, exec_lo
	v_lshlrev_b32_e32 v2, 16, v2
	v_mul_f32_e32 v2, v3, v2
	v_bfe_u32 v3, v2, 16, 1
	v_cmp_o_f32_e32 vcc_lo, v2, v2
	v_add3_u32 v3, v2, v3, 0x7fff
	v_lshrrev_b32_e32 v3, 16, v3
	v_cndmask_b32_e32 v2, 0x7fc0, v3, vcc_lo
	v_mov_b32_dpp v3, v2 quad_perm:[2,3,0,1] row_mask:0xf bank_mask:0xf
	v_lshlrev_b32_e32 v2, 16, v2
	v_lshlrev_b32_e32 v3, 16, v3
	v_mul_f32_e32 v2, v3, v2
	v_bfe_u32 v3, v2, 16, 1
	v_cmp_o_f32_e32 vcc_lo, v2, v2
	v_add3_u32 v3, v2, v3, 0x7fff
	v_lshrrev_b32_e32 v3, 16, v3
	v_cndmask_b32_e32 v2, 0x7fc0, v3, vcc_lo
	v_mov_b32_dpp v3, v2 row_ror:4 row_mask:0xf bank_mask:0xf
	v_lshlrev_b32_e32 v2, 16, v2
	v_lshlrev_b32_e32 v3, 16, v3
	v_mul_f32_e32 v2, v3, v2
	v_bfe_u32 v3, v2, 16, 1
	v_cmp_o_f32_e32 vcc_lo, v2, v2
	v_add3_u32 v3, v2, v3, 0x7fff
	v_lshrrev_b32_e32 v3, 16, v3
	v_cndmask_b32_e32 v2, 0x7fc0, v3, vcc_lo
	v_mov_b32_dpp v3, v2 row_ror:8 row_mask:0xf bank_mask:0xf
	v_lshlrev_b32_e32 v2, 16, v2
	v_lshlrev_b32_e32 v3, 16, v3
	v_mul_f32_e32 v2, v3, v2
	v_bfe_u32 v3, v2, 16, 1
	v_cmp_o_f32_e32 vcc_lo, v2, v2
	v_add3_u32 v2, v2, v3, 0x7fff
	v_cndmask_b32_sdwa v2, v4, v2, vcc_lo dst_sel:DWORD dst_unused:UNUSED_PAD src0_sel:DWORD src1_sel:WORD_1
	ds_swizzle_b32 v3, v2 offset:swizzle(BROADCAST,32,15)
	v_lshlrev_b32_e32 v2, 16, v2
	s_waitcnt lgkmcnt(0)
	v_lshlrev_b32_e32 v3, 16, v3
	v_mul_f32_e32 v2, v3, v2
	v_bfe_u32 v3, v2, 16, 1
	v_cmp_o_f32_e32 vcc_lo, v2, v2
	v_add3_u32 v2, v2, v3, 0x7fff
	v_mov_b32_e32 v3, 0
	v_cndmask_b32_sdwa v2, v4, v2, vcc_lo dst_sel:DWORD dst_unused:UNUSED_PAD src0_sel:DWORD src1_sel:WORD_1
	ds_bpermute_b32 v4, v3, v2 offset:124
	v_cmpx_eq_u32_e32 0, v1
	s_cbranch_execz .LBB143_77
; %bb.76:
	v_lshrrev_b32_e32 v2, 4, v0
	v_and_b32_e32 v2, 14, v2
	s_waitcnt lgkmcnt(0)
	ds_write_b16 v2, v4
.LBB143_77:
	s_or_b32 exec_lo, exec_lo, s0
	s_mov_b32 s0, exec_lo
	s_waitcnt lgkmcnt(0)
	s_barrier
	buffer_gl0_inv
	v_cmpx_gt_u32_e32 32, v0
	s_cbranch_execz .LBB143_79
; %bb.78:
	v_and_b32_e32 v2, 7, v1
	v_lshlrev_b32_e32 v3, 1, v2
	v_cmp_ne_u32_e32 vcc_lo, 7, v2
	ds_read_u16 v3, v3
	v_add_co_ci_u32_e64 v4, null, 0, v1, vcc_lo
	v_cmp_gt_u32_e32 vcc_lo, 6, v2
	v_lshlrev_b32_e32 v4, 2, v4
	v_cndmask_b32_e64 v2, 0, 2, vcc_lo
	v_add_lshl_u32 v2, v2, v1, 2
	v_lshlrev_b32_e32 v1, 2, v1
	v_or_b32_e32 v1, 16, v1
	s_waitcnt lgkmcnt(0)
	ds_bpermute_b32 v4, v4, v3
	v_lshlrev_b32_e32 v3, 16, v3
	s_waitcnt lgkmcnt(0)
	v_lshlrev_b32_e32 v4, 16, v4
	v_mul_f32_e32 v3, v3, v4
	v_bfe_u32 v4, v3, 16, 1
	v_cmp_o_f32_e32 vcc_lo, v3, v3
	v_add3_u32 v4, v3, v4, 0x7fff
	v_lshrrev_b32_e32 v4, 16, v4
	v_cndmask_b32_e32 v3, 0x7fc0, v4, vcc_lo
	ds_bpermute_b32 v2, v2, v3
	v_lshlrev_b32_e32 v3, 16, v3
	s_waitcnt lgkmcnt(0)
	v_lshlrev_b32_e32 v2, 16, v2
	v_mul_f32_e32 v2, v2, v3
	v_bfe_u32 v3, v2, 16, 1
	v_cmp_o_f32_e32 vcc_lo, v2, v2
	v_add3_u32 v2, v2, v3, 0x7fff
	v_mov_b32_e32 v3, 0x7fc0
	v_cndmask_b32_sdwa v2, v3, v2, vcc_lo dst_sel:DWORD dst_unused:UNUSED_PAD src0_sel:DWORD src1_sel:WORD_1
	ds_bpermute_b32 v1, v1, v2
	v_lshlrev_b32_e32 v2, 16, v2
	s_waitcnt lgkmcnt(0)
	v_lshlrev_b32_e32 v1, 16, v1
	v_mul_f32_e32 v1, v1, v2
	v_bfe_u32 v2, v1, 16, 1
	v_cmp_o_f32_e32 vcc_lo, v1, v1
	v_add3_u32 v1, v1, v2, 0x7fff
	v_cndmask_b32_sdwa v4, v3, v1, vcc_lo dst_sel:DWORD dst_unused:UNUSED_PAD src0_sel:DWORD src1_sel:WORD_1
.LBB143_79:
	s_or_b32 exec_lo, exec_lo, s0
.LBB143_80:
	s_mov_b32 s0, exec_lo
                                        ; implicit-def: $vgpr1
	v_cmpx_eq_u32_e32 0, v0
	s_cbranch_execz .LBB143_82
; %bb.81:
	v_lshlrev_b32_e32 v0, 16, v4
	s_lshl_b32 s1, s20, 16
	s_or_b32 s9, s9, exec_lo
	v_mul_f32_e32 v0, s1, v0
	v_bfe_u32 v1, v0, 16, 1
	v_cmp_o_f32_e32 vcc_lo, v0, v0
	v_add3_u32 v0, v0, v1, 0x7fff
	v_mov_b32_e32 v1, 0x7fc0
	v_cndmask_b32_sdwa v1, v1, v0, vcc_lo dst_sel:DWORD dst_unused:UNUSED_PAD src0_sel:DWORD src1_sel:WORD_1
.LBB143_82:
	s_or_b32 exec_lo, exec_lo, s0
	s_and_saveexec_b32 s0, s9
	s_cbranch_execz .LBB143_84
.LBB143_83:
	s_lshl_b64 s[0:1], s[16:17], 1
	v_mov_b32_e32 v0, 0
	s_add_u32 s2, s14, s0
	s_addc_u32 s3, s15, s1
	s_lshl_b64 s[0:1], s[6:7], 1
	s_add_u32 s0, s2, s0
	s_addc_u32 s1, s3, s1
	global_store_short v0, v1, s[0:1]
.LBB143_84:
	s_endpgm
	.section	.rodata,"a",@progbits
	.p2align	6, 0x0
	.amdhsa_kernel _ZN7rocprim17ROCPRIM_400000_NS6detail17trampoline_kernelINS0_14default_configENS1_32segmented_reduce_config_selectorIN3c108BFloat16EEEZNS1_21segmented_reduce_implIS3_PKS6_PS6_PKiS6_N6hipcub16HIPCUB_304000_NS6detail27convert_result_type_wrapperISA_SB_N2at6native12_GLOBAL__N_110CustomProdEEEEE10hipError_tPvRmT0_T1_jT2_SS_T4_T3_P12ihipStream_tbEUlT_E_NS1_11comp_targetILNS1_3genE8ELNS1_11target_archE1030ELNS1_3gpuE2ELNS1_3repE0EEENS1_30default_config_static_selectorELNS0_4arch9wavefront6targetE0EEEvSR_
		.amdhsa_group_segment_fixed_size 16
		.amdhsa_private_segment_fixed_size 0
		.amdhsa_kernarg_size 48
		.amdhsa_user_sgpr_count 6
		.amdhsa_user_sgpr_private_segment_buffer 1
		.amdhsa_user_sgpr_dispatch_ptr 0
		.amdhsa_user_sgpr_queue_ptr 0
		.amdhsa_user_sgpr_kernarg_segment_ptr 1
		.amdhsa_user_sgpr_dispatch_id 0
		.amdhsa_user_sgpr_flat_scratch_init 0
		.amdhsa_user_sgpr_private_segment_size 0
		.amdhsa_wavefront_size32 1
		.amdhsa_uses_dynamic_stack 0
		.amdhsa_system_sgpr_private_segment_wavefront_offset 0
		.amdhsa_system_sgpr_workgroup_id_x 1
		.amdhsa_system_sgpr_workgroup_id_y 0
		.amdhsa_system_sgpr_workgroup_id_z 0
		.amdhsa_system_sgpr_workgroup_info 0
		.amdhsa_system_vgpr_workitem_id 0
		.amdhsa_next_free_vgpr 16
		.amdhsa_next_free_sgpr 22
		.amdhsa_reserve_vcc 1
		.amdhsa_reserve_flat_scratch 0
		.amdhsa_float_round_mode_32 0
		.amdhsa_float_round_mode_16_64 0
		.amdhsa_float_denorm_mode_32 3
		.amdhsa_float_denorm_mode_16_64 3
		.amdhsa_dx10_clamp 1
		.amdhsa_ieee_mode 1
		.amdhsa_fp16_overflow 0
		.amdhsa_workgroup_processor_mode 1
		.amdhsa_memory_ordered 1
		.amdhsa_forward_progress 1
		.amdhsa_shared_vgpr_count 0
		.amdhsa_exception_fp_ieee_invalid_op 0
		.amdhsa_exception_fp_denorm_src 0
		.amdhsa_exception_fp_ieee_div_zero 0
		.amdhsa_exception_fp_ieee_overflow 0
		.amdhsa_exception_fp_ieee_underflow 0
		.amdhsa_exception_fp_ieee_inexact 0
		.amdhsa_exception_int_div_zero 0
	.end_amdhsa_kernel
	.section	.text._ZN7rocprim17ROCPRIM_400000_NS6detail17trampoline_kernelINS0_14default_configENS1_32segmented_reduce_config_selectorIN3c108BFloat16EEEZNS1_21segmented_reduce_implIS3_PKS6_PS6_PKiS6_N6hipcub16HIPCUB_304000_NS6detail27convert_result_type_wrapperISA_SB_N2at6native12_GLOBAL__N_110CustomProdEEEEE10hipError_tPvRmT0_T1_jT2_SS_T4_T3_P12ihipStream_tbEUlT_E_NS1_11comp_targetILNS1_3genE8ELNS1_11target_archE1030ELNS1_3gpuE2ELNS1_3repE0EEENS1_30default_config_static_selectorELNS0_4arch9wavefront6targetE0EEEvSR_,"axG",@progbits,_ZN7rocprim17ROCPRIM_400000_NS6detail17trampoline_kernelINS0_14default_configENS1_32segmented_reduce_config_selectorIN3c108BFloat16EEEZNS1_21segmented_reduce_implIS3_PKS6_PS6_PKiS6_N6hipcub16HIPCUB_304000_NS6detail27convert_result_type_wrapperISA_SB_N2at6native12_GLOBAL__N_110CustomProdEEEEE10hipError_tPvRmT0_T1_jT2_SS_T4_T3_P12ihipStream_tbEUlT_E_NS1_11comp_targetILNS1_3genE8ELNS1_11target_archE1030ELNS1_3gpuE2ELNS1_3repE0EEENS1_30default_config_static_selectorELNS0_4arch9wavefront6targetE0EEEvSR_,comdat
.Lfunc_end143:
	.size	_ZN7rocprim17ROCPRIM_400000_NS6detail17trampoline_kernelINS0_14default_configENS1_32segmented_reduce_config_selectorIN3c108BFloat16EEEZNS1_21segmented_reduce_implIS3_PKS6_PS6_PKiS6_N6hipcub16HIPCUB_304000_NS6detail27convert_result_type_wrapperISA_SB_N2at6native12_GLOBAL__N_110CustomProdEEEEE10hipError_tPvRmT0_T1_jT2_SS_T4_T3_P12ihipStream_tbEUlT_E_NS1_11comp_targetILNS1_3genE8ELNS1_11target_archE1030ELNS1_3gpuE2ELNS1_3repE0EEENS1_30default_config_static_selectorELNS0_4arch9wavefront6targetE0EEEvSR_, .Lfunc_end143-_ZN7rocprim17ROCPRIM_400000_NS6detail17trampoline_kernelINS0_14default_configENS1_32segmented_reduce_config_selectorIN3c108BFloat16EEEZNS1_21segmented_reduce_implIS3_PKS6_PS6_PKiS6_N6hipcub16HIPCUB_304000_NS6detail27convert_result_type_wrapperISA_SB_N2at6native12_GLOBAL__N_110CustomProdEEEEE10hipError_tPvRmT0_T1_jT2_SS_T4_T3_P12ihipStream_tbEUlT_E_NS1_11comp_targetILNS1_3genE8ELNS1_11target_archE1030ELNS1_3gpuE2ELNS1_3repE0EEENS1_30default_config_static_selectorELNS0_4arch9wavefront6targetE0EEEvSR_
                                        ; -- End function
	.set _ZN7rocprim17ROCPRIM_400000_NS6detail17trampoline_kernelINS0_14default_configENS1_32segmented_reduce_config_selectorIN3c108BFloat16EEEZNS1_21segmented_reduce_implIS3_PKS6_PS6_PKiS6_N6hipcub16HIPCUB_304000_NS6detail27convert_result_type_wrapperISA_SB_N2at6native12_GLOBAL__N_110CustomProdEEEEE10hipError_tPvRmT0_T1_jT2_SS_T4_T3_P12ihipStream_tbEUlT_E_NS1_11comp_targetILNS1_3genE8ELNS1_11target_archE1030ELNS1_3gpuE2ELNS1_3repE0EEENS1_30default_config_static_selectorELNS0_4arch9wavefront6targetE0EEEvSR_.num_vgpr, 16
	.set _ZN7rocprim17ROCPRIM_400000_NS6detail17trampoline_kernelINS0_14default_configENS1_32segmented_reduce_config_selectorIN3c108BFloat16EEEZNS1_21segmented_reduce_implIS3_PKS6_PS6_PKiS6_N6hipcub16HIPCUB_304000_NS6detail27convert_result_type_wrapperISA_SB_N2at6native12_GLOBAL__N_110CustomProdEEEEE10hipError_tPvRmT0_T1_jT2_SS_T4_T3_P12ihipStream_tbEUlT_E_NS1_11comp_targetILNS1_3genE8ELNS1_11target_archE1030ELNS1_3gpuE2ELNS1_3repE0EEENS1_30default_config_static_selectorELNS0_4arch9wavefront6targetE0EEEvSR_.num_agpr, 0
	.set _ZN7rocprim17ROCPRIM_400000_NS6detail17trampoline_kernelINS0_14default_configENS1_32segmented_reduce_config_selectorIN3c108BFloat16EEEZNS1_21segmented_reduce_implIS3_PKS6_PS6_PKiS6_N6hipcub16HIPCUB_304000_NS6detail27convert_result_type_wrapperISA_SB_N2at6native12_GLOBAL__N_110CustomProdEEEEE10hipError_tPvRmT0_T1_jT2_SS_T4_T3_P12ihipStream_tbEUlT_E_NS1_11comp_targetILNS1_3genE8ELNS1_11target_archE1030ELNS1_3gpuE2ELNS1_3repE0EEENS1_30default_config_static_selectorELNS0_4arch9wavefront6targetE0EEEvSR_.numbered_sgpr, 22
	.set _ZN7rocprim17ROCPRIM_400000_NS6detail17trampoline_kernelINS0_14default_configENS1_32segmented_reduce_config_selectorIN3c108BFloat16EEEZNS1_21segmented_reduce_implIS3_PKS6_PS6_PKiS6_N6hipcub16HIPCUB_304000_NS6detail27convert_result_type_wrapperISA_SB_N2at6native12_GLOBAL__N_110CustomProdEEEEE10hipError_tPvRmT0_T1_jT2_SS_T4_T3_P12ihipStream_tbEUlT_E_NS1_11comp_targetILNS1_3genE8ELNS1_11target_archE1030ELNS1_3gpuE2ELNS1_3repE0EEENS1_30default_config_static_selectorELNS0_4arch9wavefront6targetE0EEEvSR_.num_named_barrier, 0
	.set _ZN7rocprim17ROCPRIM_400000_NS6detail17trampoline_kernelINS0_14default_configENS1_32segmented_reduce_config_selectorIN3c108BFloat16EEEZNS1_21segmented_reduce_implIS3_PKS6_PS6_PKiS6_N6hipcub16HIPCUB_304000_NS6detail27convert_result_type_wrapperISA_SB_N2at6native12_GLOBAL__N_110CustomProdEEEEE10hipError_tPvRmT0_T1_jT2_SS_T4_T3_P12ihipStream_tbEUlT_E_NS1_11comp_targetILNS1_3genE8ELNS1_11target_archE1030ELNS1_3gpuE2ELNS1_3repE0EEENS1_30default_config_static_selectorELNS0_4arch9wavefront6targetE0EEEvSR_.private_seg_size, 0
	.set _ZN7rocprim17ROCPRIM_400000_NS6detail17trampoline_kernelINS0_14default_configENS1_32segmented_reduce_config_selectorIN3c108BFloat16EEEZNS1_21segmented_reduce_implIS3_PKS6_PS6_PKiS6_N6hipcub16HIPCUB_304000_NS6detail27convert_result_type_wrapperISA_SB_N2at6native12_GLOBAL__N_110CustomProdEEEEE10hipError_tPvRmT0_T1_jT2_SS_T4_T3_P12ihipStream_tbEUlT_E_NS1_11comp_targetILNS1_3genE8ELNS1_11target_archE1030ELNS1_3gpuE2ELNS1_3repE0EEENS1_30default_config_static_selectorELNS0_4arch9wavefront6targetE0EEEvSR_.uses_vcc, 1
	.set _ZN7rocprim17ROCPRIM_400000_NS6detail17trampoline_kernelINS0_14default_configENS1_32segmented_reduce_config_selectorIN3c108BFloat16EEEZNS1_21segmented_reduce_implIS3_PKS6_PS6_PKiS6_N6hipcub16HIPCUB_304000_NS6detail27convert_result_type_wrapperISA_SB_N2at6native12_GLOBAL__N_110CustomProdEEEEE10hipError_tPvRmT0_T1_jT2_SS_T4_T3_P12ihipStream_tbEUlT_E_NS1_11comp_targetILNS1_3genE8ELNS1_11target_archE1030ELNS1_3gpuE2ELNS1_3repE0EEENS1_30default_config_static_selectorELNS0_4arch9wavefront6targetE0EEEvSR_.uses_flat_scratch, 0
	.set _ZN7rocprim17ROCPRIM_400000_NS6detail17trampoline_kernelINS0_14default_configENS1_32segmented_reduce_config_selectorIN3c108BFloat16EEEZNS1_21segmented_reduce_implIS3_PKS6_PS6_PKiS6_N6hipcub16HIPCUB_304000_NS6detail27convert_result_type_wrapperISA_SB_N2at6native12_GLOBAL__N_110CustomProdEEEEE10hipError_tPvRmT0_T1_jT2_SS_T4_T3_P12ihipStream_tbEUlT_E_NS1_11comp_targetILNS1_3genE8ELNS1_11target_archE1030ELNS1_3gpuE2ELNS1_3repE0EEENS1_30default_config_static_selectorELNS0_4arch9wavefront6targetE0EEEvSR_.has_dyn_sized_stack, 0
	.set _ZN7rocprim17ROCPRIM_400000_NS6detail17trampoline_kernelINS0_14default_configENS1_32segmented_reduce_config_selectorIN3c108BFloat16EEEZNS1_21segmented_reduce_implIS3_PKS6_PS6_PKiS6_N6hipcub16HIPCUB_304000_NS6detail27convert_result_type_wrapperISA_SB_N2at6native12_GLOBAL__N_110CustomProdEEEEE10hipError_tPvRmT0_T1_jT2_SS_T4_T3_P12ihipStream_tbEUlT_E_NS1_11comp_targetILNS1_3genE8ELNS1_11target_archE1030ELNS1_3gpuE2ELNS1_3repE0EEENS1_30default_config_static_selectorELNS0_4arch9wavefront6targetE0EEEvSR_.has_recursion, 0
	.set _ZN7rocprim17ROCPRIM_400000_NS6detail17trampoline_kernelINS0_14default_configENS1_32segmented_reduce_config_selectorIN3c108BFloat16EEEZNS1_21segmented_reduce_implIS3_PKS6_PS6_PKiS6_N6hipcub16HIPCUB_304000_NS6detail27convert_result_type_wrapperISA_SB_N2at6native12_GLOBAL__N_110CustomProdEEEEE10hipError_tPvRmT0_T1_jT2_SS_T4_T3_P12ihipStream_tbEUlT_E_NS1_11comp_targetILNS1_3genE8ELNS1_11target_archE1030ELNS1_3gpuE2ELNS1_3repE0EEENS1_30default_config_static_selectorELNS0_4arch9wavefront6targetE0EEEvSR_.has_indirect_call, 0
	.section	.AMDGPU.csdata,"",@progbits
; Kernel info:
; codeLenInByte = 4900
; TotalNumSgprs: 24
; NumVgprs: 16
; ScratchSize: 0
; MemoryBound: 0
; FloatMode: 240
; IeeeMode: 1
; LDSByteSize: 16 bytes/workgroup (compile time only)
; SGPRBlocks: 0
; VGPRBlocks: 1
; NumSGPRsForWavesPerEU: 24
; NumVGPRsForWavesPerEU: 16
; Occupancy: 16
; WaveLimiterHint : 1
; COMPUTE_PGM_RSRC2:SCRATCH_EN: 0
; COMPUTE_PGM_RSRC2:USER_SGPR: 6
; COMPUTE_PGM_RSRC2:TRAP_HANDLER: 0
; COMPUTE_PGM_RSRC2:TGID_X_EN: 1
; COMPUTE_PGM_RSRC2:TGID_Y_EN: 0
; COMPUTE_PGM_RSRC2:TGID_Z_EN: 0
; COMPUTE_PGM_RSRC2:TIDIG_COMP_CNT: 0
	.section	.text._ZN2at6native12_GLOBAL__N_129segment_reduce_forward_kernelIdlEEvNS0_13ReductionTypeEPT_PKS4_PKT0_SA_llbS4_lllllll,"axG",@progbits,_ZN2at6native12_GLOBAL__N_129segment_reduce_forward_kernelIdlEEvNS0_13ReductionTypeEPT_PKS4_PKT0_SA_llbS4_lllllll,comdat
	.globl	_ZN2at6native12_GLOBAL__N_129segment_reduce_forward_kernelIdlEEvNS0_13ReductionTypeEPT_PKS4_PKT0_SA_llbS4_lllllll ; -- Begin function _ZN2at6native12_GLOBAL__N_129segment_reduce_forward_kernelIdlEEvNS0_13ReductionTypeEPT_PKS4_PKT0_SA_llbS4_lllllll
	.p2align	8
	.type	_ZN2at6native12_GLOBAL__N_129segment_reduce_forward_kernelIdlEEvNS0_13ReductionTypeEPT_PKS4_PKT0_SA_llbS4_lllllll,@function
_ZN2at6native12_GLOBAL__N_129segment_reduce_forward_kernelIdlEEvNS0_13ReductionTypeEPT_PKS4_PKT0_SA_llbS4_lllllll: ; @_ZN2at6native12_GLOBAL__N_129segment_reduce_forward_kernelIdlEEvNS0_13ReductionTypeEPT_PKS4_PKT0_SA_llbS4_lllllll
; %bb.0:
	s_clause 0x2
	s_load_dwordx4 s[36:39], s[4:5], 0x28
	s_load_dword s0, s[4:5], 0x8c
	s_load_dwordx16 s[8:23], s[4:5], 0x40
	v_mov_b32_e32 v2, 0
	v_mov_b32_e32 v1, v2
	s_waitcnt lgkmcnt(0)
	s_and_b32 s0, s0, 0xffff
	s_mul_i32 s1, s10, s37
	s_mul_hi_u32 s2, s10, s36
	s_mul_i32 s3, s11, s36
	s_mul_i32 s7, s10, s36
	v_mad_u64_u32 v[4:5], null, s0, s6, v[0:1]
	s_add_i32 s0, s2, s1
	s_mul_i32 s1, s7, s13
	s_mul_hi_u32 s2, s7, s12
	s_add_i32 s0, s0, s3
	s_add_i32 s1, s2, s1
	s_mul_i32 s0, s0, s12
	s_add_i32 s1, s1, s0
	s_mul_i32 s0, s7, s12
	v_cmp_gt_i64_e32 vcc_lo, s[0:1], v[4:5]
	s_and_saveexec_b32 s0, vcc_lo
	s_cbranch_execz .LBB144_35
; %bb.1:
	v_or_b32_e32 v3, s13, v5
                                        ; implicit-def: $vgpr8_vgpr9
	s_mov_b32 s0, exec_lo
	v_cmpx_ne_u64_e32 0, v[2:3]
	s_xor_b32 s1, exec_lo, s0
	s_cbranch_execz .LBB144_3
; %bb.2:
	s_ashr_i32 s2, s13, 31
	v_ashrrev_i32_e32 v8, 31, v5
	s_add_u32 s6, s12, s2
	s_mov_b32 s3, s2
	s_addc_u32 s7, s13, s2
	s_xor_b64 s[6:7], s[6:7], s[2:3]
	v_add_co_u32 v2, vcc_lo, v4, v8
	v_cvt_f32_u32_e32 v0, s6
	v_cvt_f32_u32_e32 v1, s7
	s_sub_u32 s10, 0, s6
	s_subb_u32 s11, 0, s7
	v_add_co_ci_u32_e64 v3, null, v5, v8, vcc_lo
	v_fmamk_f32 v0, v1, 0x4f800000, v0
	v_xor_b32_e32 v9, v2, v8
	v_xor_b32_e32 v10, v3, v8
	v_rcp_f32_e32 v0, v0
	v_mul_f32_e32 v0, 0x5f7ffffc, v0
	v_mul_f32_e32 v1, 0x2f800000, v0
	v_trunc_f32_e32 v1, v1
	v_fmamk_f32 v0, v1, 0xcf800000, v0
	v_cvt_u32_f32_e32 v1, v1
	v_cvt_u32_f32_e32 v0, v0
	v_readfirstlane_b32 s0, v1
	v_readfirstlane_b32 s3, v0
	s_mul_i32 s24, s10, s0
	s_mul_hi_u32 s26, s10, s3
	s_mul_i32 s25, s11, s3
	s_add_i32 s24, s26, s24
	s_mul_i32 s27, s10, s3
	s_add_i32 s24, s24, s25
	s_mul_hi_u32 s26, s3, s27
	s_mul_i32 s29, s3, s24
	s_mul_hi_u32 s28, s0, s27
	s_mul_i32 s25, s0, s27
	s_mul_hi_u32 s27, s3, s24
	s_add_u32 s26, s26, s29
	s_addc_u32 s27, 0, s27
	s_mul_hi_u32 s30, s0, s24
	s_add_u32 s25, s26, s25
	s_mul_i32 s24, s0, s24
	s_addc_u32 s25, s27, s28
	s_addc_u32 s26, s30, 0
	s_add_u32 s24, s25, s24
	s_addc_u32 s25, 0, s26
	s_add_u32 s3, s3, s24
	s_cselect_b32 s24, -1, 0
	s_mul_hi_u32 s26, s10, s3
	s_cmp_lg_u32 s24, 0
	s_mul_i32 s24, s10, s3
	s_addc_u32 s0, s0, s25
	s_mul_i32 s11, s11, s3
	s_mul_i32 s10, s10, s0
	s_mul_hi_u32 s25, s3, s24
	s_add_i32 s10, s26, s10
	s_mul_hi_u32 s26, s0, s24
	s_add_i32 s10, s10, s11
	s_mul_i32 s11, s0, s24
	s_mul_i32 s28, s3, s10
	s_mul_hi_u32 s27, s3, s10
	s_add_u32 s25, s25, s28
	s_addc_u32 s27, 0, s27
	s_mul_hi_u32 s24, s0, s10
	s_add_u32 s11, s25, s11
	s_mul_i32 s10, s0, s10
	s_addc_u32 s11, s27, s26
	s_addc_u32 s24, s24, 0
	s_add_u32 s10, s11, s10
	s_addc_u32 s11, 0, s24
	s_add_u32 s3, s3, s10
	s_cselect_b32 s10, -1, 0
	v_mul_hi_u32 v11, v9, s3
	s_cmp_lg_u32 s10, 0
	v_mad_u64_u32 v[2:3], null, v10, s3, 0
	s_addc_u32 s0, s0, s11
	v_mad_u64_u32 v[0:1], null, v9, s0, 0
	v_mad_u64_u32 v[6:7], null, v10, s0, 0
	v_add_co_u32 v0, vcc_lo, v11, v0
	v_add_co_ci_u32_e64 v1, null, 0, v1, vcc_lo
	v_add_co_u32 v0, vcc_lo, v0, v2
	v_add_co_ci_u32_e32 v0, vcc_lo, v1, v3, vcc_lo
	v_add_co_ci_u32_e32 v1, vcc_lo, 0, v7, vcc_lo
	v_add_co_u32 v2, vcc_lo, v0, v6
	v_add_co_ci_u32_e64 v3, null, 0, v1, vcc_lo
	v_mul_lo_u32 v6, s7, v2
	v_mad_u64_u32 v[0:1], null, s6, v2, 0
	v_mul_lo_u32 v7, s6, v3
	v_sub_co_u32 v0, vcc_lo, v9, v0
	v_add3_u32 v1, v1, v7, v6
	v_add_co_u32 v7, s0, v2, 2
	v_add_co_ci_u32_e64 v9, null, 0, v3, s0
	v_sub_nc_u32_e32 v6, v10, v1
	v_sub_co_u32 v11, s0, v0, s6
	v_sub_co_ci_u32_e64 v1, null, v10, v1, vcc_lo
	v_subrev_co_ci_u32_e64 v6, null, s7, v6, vcc_lo
	v_cmp_le_u32_e32 vcc_lo, s6, v11
	v_subrev_co_ci_u32_e64 v6, null, 0, v6, s0
	v_cndmask_b32_e64 v10, 0, -1, vcc_lo
	v_cmp_le_u32_e32 vcc_lo, s7, v6
	v_cndmask_b32_e64 v11, 0, -1, vcc_lo
	v_cmp_le_u32_e32 vcc_lo, s6, v0
	;; [unrolled: 2-line block ×3, first 2 shown]
	v_cndmask_b32_e64 v12, 0, -1, vcc_lo
	v_cmp_eq_u32_e32 vcc_lo, s7, v6
	v_cndmask_b32_e32 v6, v11, v10, vcc_lo
	v_add_co_u32 v10, vcc_lo, v2, 1
	v_add_co_ci_u32_e64 v11, null, 0, v3, vcc_lo
	v_cmp_eq_u32_e32 vcc_lo, s7, v1
	v_cndmask_b32_e32 v0, v12, v0, vcc_lo
	v_cmp_ne_u32_e32 vcc_lo, 0, v6
	v_xor_b32_e32 v6, s2, v8
	v_cmp_ne_u32_e64 s0, 0, v0
	v_cndmask_b32_e32 v0, v10, v7, vcc_lo
	v_cndmask_b32_e32 v1, v11, v9, vcc_lo
	v_cndmask_b32_e64 v0, v2, v0, s0
	v_cndmask_b32_e64 v1, v3, v1, s0
	v_xor_b32_e32 v0, v0, v6
	v_xor_b32_e32 v1, v1, v6
	v_sub_co_u32 v8, vcc_lo, v0, v6
	v_sub_co_ci_u32_e64 v9, null, v1, v6, vcc_lo
.LBB144_3:
	s_or_saveexec_b32 s0, s1
	s_load_dwordx8 s[24:31], s[4:5], 0x8
	s_xor_b32 exec_lo, exec_lo, s0
	s_cbranch_execz .LBB144_5
; %bb.4:
	v_cvt_f32_u32_e32 v0, s12
	s_sub_i32 s1, 0, s12
	v_mov_b32_e32 v9, 0
	v_rcp_iflag_f32_e32 v0, v0
	v_mul_f32_e32 v0, 0x4f7ffffe, v0
	v_cvt_u32_f32_e32 v0, v0
	v_mul_lo_u32 v1, s1, v0
	v_mul_hi_u32 v1, v0, v1
	v_add_nc_u32_e32 v0, v0, v1
	v_mul_hi_u32 v0, v4, v0
	v_mul_lo_u32 v1, v0, s12
	v_add_nc_u32_e32 v2, 1, v0
	v_sub_nc_u32_e32 v1, v4, v1
	v_subrev_nc_u32_e32 v3, s12, v1
	v_cmp_le_u32_e32 vcc_lo, s12, v1
	v_cndmask_b32_e32 v1, v1, v3, vcc_lo
	v_cndmask_b32_e32 v0, v0, v2, vcc_lo
	v_cmp_le_u32_e32 vcc_lo, s12, v1
	v_add_nc_u32_e32 v2, 1, v0
	v_cndmask_b32_e32 v8, v0, v2, vcc_lo
.LBB144_5:
	s_or_b32 exec_lo, exec_lo, s0
	v_or_b32_e32 v1, s37, v9
	v_mov_b32_e32 v0, 0
                                        ; implicit-def: $vgpr6_vgpr7
	s_mov_b32 s0, exec_lo
	v_cmpx_ne_u64_e32 0, v[0:1]
	s_xor_b32 s1, exec_lo, s0
	s_cbranch_execz .LBB144_7
; %bb.6:
	s_ashr_i32 s2, s37, 31
	v_ashrrev_i32_e32 v10, 31, v9
	s_add_u32 s6, s36, s2
	s_mov_b32 s3, s2
	s_addc_u32 s7, s37, s2
	s_xor_b64 s[6:7], s[6:7], s[2:3]
	v_add_co_u32 v2, vcc_lo, v8, v10
	v_cvt_f32_u32_e32 v0, s6
	v_cvt_f32_u32_e32 v1, s7
	s_sub_u32 s10, 0, s6
	s_subb_u32 s11, 0, s7
	v_add_co_ci_u32_e64 v3, null, v9, v10, vcc_lo
	v_fmamk_f32 v0, v1, 0x4f800000, v0
	v_xor_b32_e32 v11, v2, v10
	v_xor_b32_e32 v12, v3, v10
	v_rcp_f32_e32 v0, v0
	v_mul_f32_e32 v0, 0x5f7ffffc, v0
	v_mul_f32_e32 v1, 0x2f800000, v0
	v_trunc_f32_e32 v1, v1
	v_fmamk_f32 v0, v1, 0xcf800000, v0
	v_cvt_u32_f32_e32 v1, v1
	v_cvt_u32_f32_e32 v0, v0
	v_readfirstlane_b32 s0, v1
	v_readfirstlane_b32 s3, v0
	s_mul_i32 s33, s10, s0
	s_mul_hi_u32 s35, s10, s3
	s_mul_i32 s34, s11, s3
	s_add_i32 s33, s35, s33
	s_mul_i32 s40, s10, s3
	s_add_i32 s33, s33, s34
	s_mul_hi_u32 s35, s3, s40
	s_mul_i32 s42, s3, s33
	s_mul_hi_u32 s41, s0, s40
	s_mul_i32 s34, s0, s40
	s_mul_hi_u32 s40, s3, s33
	s_add_u32 s35, s35, s42
	s_addc_u32 s40, 0, s40
	s_mul_hi_u32 s43, s0, s33
	s_add_u32 s34, s35, s34
	s_mul_i32 s33, s0, s33
	s_addc_u32 s34, s40, s41
	s_addc_u32 s35, s43, 0
	s_add_u32 s33, s34, s33
	s_addc_u32 s34, 0, s35
	s_add_u32 s3, s3, s33
	s_cselect_b32 s33, -1, 0
	s_mul_hi_u32 s35, s10, s3
	s_cmp_lg_u32 s33, 0
	s_mul_i32 s33, s10, s3
	s_addc_u32 s0, s0, s34
	s_mul_i32 s11, s11, s3
	s_mul_i32 s10, s10, s0
	s_mul_hi_u32 s34, s3, s33
	s_add_i32 s10, s35, s10
	s_mul_hi_u32 s35, s0, s33
	s_add_i32 s10, s10, s11
	s_mul_i32 s11, s0, s33
	s_mul_i32 s41, s3, s10
	s_mul_hi_u32 s40, s3, s10
	s_add_u32 s34, s34, s41
	s_addc_u32 s40, 0, s40
	s_mul_hi_u32 s33, s0, s10
	s_add_u32 s11, s34, s11
	s_mul_i32 s10, s0, s10
	s_addc_u32 s11, s40, s35
	s_addc_u32 s33, s33, 0
	s_add_u32 s10, s11, s10
	s_addc_u32 s11, 0, s33
	s_add_u32 s3, s3, s10
	s_cselect_b32 s10, -1, 0
	v_mul_hi_u32 v13, v11, s3
	s_cmp_lg_u32 s10, 0
	v_mad_u64_u32 v[2:3], null, v12, s3, 0
	s_addc_u32 s0, s0, s11
	v_mad_u64_u32 v[0:1], null, v11, s0, 0
	v_mad_u64_u32 v[6:7], null, v12, s0, 0
	v_add_co_u32 v0, vcc_lo, v13, v0
	v_add_co_ci_u32_e64 v1, null, 0, v1, vcc_lo
	v_add_co_u32 v0, vcc_lo, v0, v2
	v_add_co_ci_u32_e32 v0, vcc_lo, v1, v3, vcc_lo
	v_add_co_ci_u32_e32 v1, vcc_lo, 0, v7, vcc_lo
	v_add_co_u32 v2, vcc_lo, v0, v6
	v_add_co_ci_u32_e64 v3, null, 0, v1, vcc_lo
	v_mul_lo_u32 v6, s7, v2
	v_mad_u64_u32 v[0:1], null, s6, v2, 0
	v_mul_lo_u32 v7, s6, v3
	v_sub_co_u32 v0, vcc_lo, v11, v0
	v_add3_u32 v1, v1, v7, v6
	v_add_co_u32 v7, s0, v2, 2
	v_add_co_ci_u32_e64 v11, null, 0, v3, s0
	v_sub_nc_u32_e32 v6, v12, v1
	v_sub_co_u32 v13, s0, v0, s6
	v_sub_co_ci_u32_e64 v1, null, v12, v1, vcc_lo
	v_subrev_co_ci_u32_e64 v6, null, s7, v6, vcc_lo
	v_cmp_le_u32_e32 vcc_lo, s6, v13
	v_subrev_co_ci_u32_e64 v6, null, 0, v6, s0
	v_cndmask_b32_e64 v12, 0, -1, vcc_lo
	v_cmp_le_u32_e32 vcc_lo, s7, v6
	v_cndmask_b32_e64 v13, 0, -1, vcc_lo
	v_cmp_le_u32_e32 vcc_lo, s6, v0
	;; [unrolled: 2-line block ×3, first 2 shown]
	v_cndmask_b32_e64 v14, 0, -1, vcc_lo
	v_cmp_eq_u32_e32 vcc_lo, s7, v6
	v_cndmask_b32_e32 v6, v13, v12, vcc_lo
	v_add_co_u32 v12, vcc_lo, v2, 1
	v_add_co_ci_u32_e64 v13, null, 0, v3, vcc_lo
	v_cmp_eq_u32_e32 vcc_lo, s7, v1
	v_cndmask_b32_e32 v0, v14, v0, vcc_lo
	v_cmp_ne_u32_e32 vcc_lo, 0, v6
	v_cmp_ne_u32_e64 s0, 0, v0
	v_cndmask_b32_e32 v0, v12, v7, vcc_lo
	v_cndmask_b32_e32 v1, v13, v11, vcc_lo
	v_xor_b32_e32 v7, s2, v10
	v_cndmask_b32_e64 v0, v2, v0, s0
	v_cndmask_b32_e64 v1, v3, v1, s0
	v_xor_b32_e32 v0, v0, v7
	v_xor_b32_e32 v1, v1, v7
	v_sub_co_u32 v6, vcc_lo, v0, v7
	v_sub_co_ci_u32_e64 v7, null, v1, v7, vcc_lo
.LBB144_7:
	s_andn2_saveexec_b32 s0, s1
	s_cbranch_execz .LBB144_9
; %bb.8:
	v_cvt_f32_u32_e32 v0, s36
	s_sub_i32 s1, 0, s36
	v_mov_b32_e32 v7, 0
	v_rcp_iflag_f32_e32 v0, v0
	v_mul_f32_e32 v0, 0x4f7ffffe, v0
	v_cvt_u32_f32_e32 v0, v0
	v_mul_lo_u32 v1, s1, v0
	v_mul_hi_u32 v1, v0, v1
	v_add_nc_u32_e32 v0, v0, v1
	v_mul_hi_u32 v0, v8, v0
	v_mul_lo_u32 v1, v0, s36
	v_add_nc_u32_e32 v2, 1, v0
	v_sub_nc_u32_e32 v1, v8, v1
	v_subrev_nc_u32_e32 v3, s36, v1
	v_cmp_le_u32_e32 vcc_lo, s36, v1
	v_cndmask_b32_e32 v1, v1, v3, vcc_lo
	v_cndmask_b32_e32 v0, v0, v2, vcc_lo
	v_cmp_le_u32_e32 vcc_lo, s36, v1
	v_add_nc_u32_e32 v2, 1, v0
	v_cndmask_b32_e32 v6, v0, v2, vcc_lo
.LBB144_9:
	s_or_b32 exec_lo, exec_lo, s0
	s_add_u32 s0, s36, 1
	s_addc_u32 s1, s37, 0
	s_mul_hi_u32 s2, s22, s0
	s_mul_i32 s1, s22, s1
	v_mul_lo_u32 v2, v7, s36
	s_add_i32 s1, s2, s1
	s_mul_i32 s2, s23, s0
	s_mul_i32 s0, s22, s0
	s_add_i32 s1, s1, s2
	v_mul_lo_u32 v3, v6, s37
	v_mad_u64_u32 v[12:13], null, v6, s36, 0
	v_mul_lo_u32 v10, s0, v7
	v_mad_u64_u32 v[0:1], null, s0, v6, 0
	v_mul_lo_u32 v11, s1, v6
	s_load_dword s1, s[4:5], 0x0
	v_mul_lo_u32 v16, v9, s12
	v_add3_u32 v13, v13, v3, v2
	v_mul_lo_u32 v17, v8, s13
	s_mov_b32 s6, exec_lo
	v_add3_u32 v1, v1, v10, v11
	v_sub_co_u32 v10, vcc_lo, v8, v12
	v_sub_co_ci_u32_e64 v11, null, v9, v13, vcc_lo
	v_lshlrev_b64 v[0:1], 3, v[0:1]
	v_mad_u64_u32 v[8:9], null, v8, s12, 0
	v_lshlrev_b64 v[14:15], 3, v[10:11]
	s_waitcnt lgkmcnt(0)
	v_add_co_u32 v0, vcc_lo, s30, v0
	v_add_co_ci_u32_e64 v1, null, s31, v1, vcc_lo
	v_add3_u32 v9, v9, v17, v16
	v_add_co_u32 v0, vcc_lo, v0, v14
	v_add_co_ci_u32_e64 v1, null, v1, v15, vcc_lo
	v_mov_b32_e32 v17, s9
	v_mov_b32_e32 v16, s8
	global_load_dwordx4 v[0:3], v[0:1], off
	s_waitcnt vmcnt(0)
	v_cmpx_lt_i64_e64 v[0:1], v[2:3]
	s_cbranch_execz .LBB144_28
; %bb.10:
	v_mul_lo_u32 v18, v7, s16
	v_mul_lo_u32 v19, v6, s17
	v_mad_u64_u32 v[16:17], null, v6, s16, 0
	s_cmp_lg_u32 s1, 0
	s_cselect_b32 s7, -1, 0
	s_and_b32 s0, s1, -3
	s_cmp_lg_u32 s0, 1
	v_add3_u32 v17, v17, v19, v18
	v_lshlrev_b64 v[18:19], 3, v[0:1]
	v_lshlrev_b64 v[16:17], 3, v[16:17]
	v_add_co_u32 v18, vcc_lo, v16, v18
	v_add_co_ci_u32_e64 v19, null, v17, v19, vcc_lo
	v_lshlrev_b64 v[16:17], 3, v[4:5]
	v_mul_lo_u32 v21, s15, v18
	v_mul_lo_u32 v20, s14, v19
	v_mad_u64_u32 v[16:17], null, s14, v18, v[16:17]
	v_lshlrev_b64 v[18:19], 3, v[8:9]
	v_add3_u32 v17, v21, v17, v20
	v_sub_co_u32 v16, vcc_lo, v16, v18
	v_mov_b32_e32 v21, s9
	v_mov_b32_e32 v20, s8
	v_sub_co_ci_u32_e64 v17, null, v17, v19, vcc_lo
	v_add_co_u32 v18, vcc_lo, s26, v16
	s_mov_b32 s8, 0
	v_add_co_ci_u32_e64 v19, null, s27, v17, vcc_lo
	s_cselect_b32 s9, -1, 0
	s_lshl_b64 s[2:3], s[14:15], 3
	s_branch .LBB144_12
.LBB144_11:                             ;   in Loop: Header=BB144_12 Depth=1
	v_add_co_u32 v0, vcc_lo, v0, 1
	v_add_co_ci_u32_e64 v1, null, 0, v1, vcc_lo
	v_add_co_u32 v18, s0, v18, s2
	v_mov_b32_e32 v21, v17
	v_cmp_ge_i64_e32 vcc_lo, v[0:1], v[2:3]
	v_add_co_ci_u32_e64 v19, null, s3, v19, s0
	v_mov_b32_e32 v20, v16
	s_or_b32 s8, vcc_lo, s8
	s_andn2_b32 exec_lo, exec_lo, s8
	s_cbranch_execz .LBB144_27
.LBB144_12:                             ; =>This Inner Loop Header: Depth=1
	global_load_dwordx2 v[22:23], v[18:19], off
	s_and_b32 vcc_lo, exec_lo, s7
	s_cbranch_vccz .LBB144_25
; %bb.13:                               ;   in Loop: Header=BB144_12 Depth=1
	s_and_b32 vcc_lo, exec_lo, s9
	s_mov_b32 s0, -1
                                        ; implicit-def: $vgpr16_vgpr17
	s_cbranch_vccz .LBB144_22
; %bb.14:                               ;   in Loop: Header=BB144_12 Depth=1
	s_cmp_lt_i32 s1, 4
                                        ; implicit-def: $vgpr16_vgpr17
	s_cbranch_scc1 .LBB144_18
; %bb.15:                               ;   in Loop: Header=BB144_12 Depth=1
	v_mov_b32_e32 v16, v20
	v_mov_b32_e32 v17, v21
	s_cmp_eq_u32 s1, 4
	s_cbranch_scc0 .LBB144_17
; %bb.16:                               ;   in Loop: Header=BB144_12 Depth=1
	s_waitcnt vmcnt(0)
	v_mul_f64 v[16:17], v[22:23], v[20:21]
.LBB144_17:                             ;   in Loop: Header=BB144_12 Depth=1
	s_mov_b32 s0, 0
.LBB144_18:                             ;   in Loop: Header=BB144_12 Depth=1
	s_andn2_b32 vcc_lo, exec_lo, s0
	s_cbranch_vccnz .LBB144_21
; %bb.19:                               ;   in Loop: Header=BB144_12 Depth=1
	v_mov_b32_e32 v16, v20
	v_mov_b32_e32 v17, v21
	s_cmp_lg_u32 s1, 2
	s_cbranch_scc1 .LBB144_21
; %bb.20:                               ;   in Loop: Header=BB144_12 Depth=1
	s_waitcnt vmcnt(0)
	v_cmp_u_f64_e32 vcc_lo, v[22:23], v[22:23]
	v_cmp_lt_f64_e64 s0, v[22:23], v[20:21]
	s_or_b32 vcc_lo, vcc_lo, s0
	v_cndmask_b32_e32 v17, v21, v23, vcc_lo
	v_cndmask_b32_e32 v16, v20, v22, vcc_lo
.LBB144_21:                             ;   in Loop: Header=BB144_12 Depth=1
	s_mov_b32 s0, 0
.LBB144_22:                             ;   in Loop: Header=BB144_12 Depth=1
	s_and_b32 vcc_lo, exec_lo, s0
	s_cbranch_vccz .LBB144_24
; %bb.23:                               ;   in Loop: Header=BB144_12 Depth=1
	s_waitcnt vmcnt(0)
	v_add_f64 v[16:17], v[22:23], v[20:21]
.LBB144_24:                             ;   in Loop: Header=BB144_12 Depth=1
	s_cbranch_execnz .LBB144_11
	s_branch .LBB144_26
.LBB144_25:                             ;   in Loop: Header=BB144_12 Depth=1
                                        ; implicit-def: $vgpr16_vgpr17
.LBB144_26:                             ;   in Loop: Header=BB144_12 Depth=1
	s_waitcnt vmcnt(0)
	v_cmp_u_f64_e32 vcc_lo, v[22:23], v[22:23]
	v_cmp_lt_f64_e64 s0, v[20:21], v[22:23]
	s_or_b32 vcc_lo, vcc_lo, s0
	v_cndmask_b32_e32 v17, v21, v23, vcc_lo
	v_cndmask_b32_e32 v16, v20, v22, vcc_lo
	s_branch .LBB144_11
.LBB144_27:
	s_or_b32 exec_lo, exec_lo, s8
.LBB144_28:
	s_or_b32 exec_lo, exec_lo, s6
	v_mul_lo_u32 v2, v13, s38
	v_mul_lo_u32 v3, v12, s39
	v_mad_u64_u32 v[0:1], null, v12, s38, 0
	s_mov_b32 s0, exec_lo
	v_add3_u32 v1, v1, v3, v2
	v_lshlrev_b64 v[0:1], 3, v[0:1]
	v_add_co_u32 v0, vcc_lo, s28, v0
	v_add_co_ci_u32_e64 v1, null, s29, v1, vcc_lo
	v_add_co_u32 v0, vcc_lo, v0, v14
	v_add_co_ci_u32_e64 v1, null, v1, v15, vcc_lo
	global_load_dwordx2 v[2:3], v[0:1], off
	s_waitcnt vmcnt(0)
	v_cmpx_lt_i64_e32 -1, v[2:3]
	s_xor_b32 s2, exec_lo, s0
	s_cbranch_execz .LBB144_34
; %bb.29:
	s_load_dword s0, s[4:5], 0x38
	v_cmp_ne_u64_e32 vcc_lo, 0, v[2:3]
	v_mov_b32_e32 v0, 0
	v_mov_b32_e32 v1, 0x7ff80000
	s_waitcnt lgkmcnt(0)
	s_bitcmp1_b32 s0, 0
	s_cselect_b32 s0, -1, 0
	s_or_b32 s0, s0, vcc_lo
	s_cmp_lg_u32 s1, 1
	s_cselect_b32 s3, -1, 0
	s_or_b32 s0, s3, s0
	s_and_saveexec_b32 s1, s0
	s_cbranch_execz .LBB144_33
; %bb.30:
	v_cmp_o_f64_e32 vcc_lo, v[16:17], v[16:17]
	v_cmp_ne_u64_e64 s0, 0, v[2:3]
	s_xor_b32 s3, s3, -1
	s_and_b32 s0, s3, s0
	s_and_b32 s3, s0, vcc_lo
	s_and_saveexec_b32 s0, s3
	s_cbranch_execz .LBB144_32
; %bb.31:
	v_cvt_f64_u32_e32 v[0:1], v3
	v_cvt_f64_u32_e32 v[2:3], v2
	v_ldexp_f64 v[0:1], v[0:1], 32
	v_add_f64 v[0:1], v[0:1], v[2:3]
	v_div_scale_f64 v[2:3], null, v[0:1], v[0:1], v[16:17]
	v_rcp_f64_e32 v[12:13], v[2:3]
	v_fma_f64 v[14:15], -v[2:3], v[12:13], 1.0
	v_fma_f64 v[12:13], v[12:13], v[14:15], v[12:13]
	v_fma_f64 v[14:15], -v[2:3], v[12:13], 1.0
	v_fma_f64 v[12:13], v[12:13], v[14:15], v[12:13]
	v_div_scale_f64 v[14:15], vcc_lo, v[16:17], v[0:1], v[16:17]
	v_mul_f64 v[18:19], v[14:15], v[12:13]
	v_fma_f64 v[2:3], -v[2:3], v[18:19], v[14:15]
	v_div_fmas_f64 v[2:3], v[2:3], v[12:13], v[18:19]
	v_div_fixup_f64 v[16:17], v[2:3], v[0:1], v[16:17]
.LBB144_32:
	s_or_b32 exec_lo, exec_lo, s0
	v_mov_b32_e32 v0, v16
	v_mov_b32_e32 v1, v17
.LBB144_33:
	s_or_b32 exec_lo, exec_lo, s1
	s_mul_i32 s0, s20, s19
	s_mul_hi_u32 s1, s20, s18
	s_mul_i32 s3, s21, s18
	s_add_i32 s0, s1, s0
	s_mul_i32 s1, s20, s18
	s_add_i32 s0, s0, s3
	v_mul_lo_u32 v13, s1, v7
	v_mul_lo_u32 v12, s0, v6
	v_mad_u64_u32 v[2:3], null, s1, v6, 0
	v_mul_lo_u32 v11, v11, s18
	v_mul_lo_u32 v14, v10, s19
	v_mad_u64_u32 v[6:7], null, v10, s18, 0
	v_sub_co_u32 v4, vcc_lo, v4, v8
	v_add3_u32 v3, v3, v13, v12
	v_sub_co_ci_u32_e64 v5, null, v5, v9, vcc_lo
	v_add3_u32 v7, v7, v14, v11
	v_lshlrev_b64 v[2:3], 3, v[2:3]
	v_lshlrev_b64 v[6:7], 3, v[6:7]
	v_add_co_u32 v8, vcc_lo, s24, v2
	v_add_co_ci_u32_e64 v9, null, s25, v3, vcc_lo
	v_lshlrev_b64 v[2:3], 3, v[4:5]
	v_add_co_u32 v4, vcc_lo, v8, v6
	v_add_co_ci_u32_e64 v5, null, v9, v7, vcc_lo
	v_add_co_u32 v2, vcc_lo, v4, v2
	v_add_co_ci_u32_e64 v3, null, v5, v3, vcc_lo
	global_store_dwordx2 v[2:3], v[0:1], off
.LBB144_34:
	s_andn2_saveexec_b32 s0, s2
	s_cbranch_execnz .LBB144_36
.LBB144_35:
	s_endpgm
.LBB144_36:
	s_trap 2
	; divergent unreachable
	s_endpgm
	.section	.rodata,"a",@progbits
	.p2align	6, 0x0
	.amdhsa_kernel _ZN2at6native12_GLOBAL__N_129segment_reduce_forward_kernelIdlEEvNS0_13ReductionTypeEPT_PKS4_PKT0_SA_llbS4_lllllll
		.amdhsa_group_segment_fixed_size 0
		.amdhsa_private_segment_fixed_size 0
		.amdhsa_kernarg_size 384
		.amdhsa_user_sgpr_count 6
		.amdhsa_user_sgpr_private_segment_buffer 1
		.amdhsa_user_sgpr_dispatch_ptr 0
		.amdhsa_user_sgpr_queue_ptr 0
		.amdhsa_user_sgpr_kernarg_segment_ptr 1
		.amdhsa_user_sgpr_dispatch_id 0
		.amdhsa_user_sgpr_flat_scratch_init 0
		.amdhsa_user_sgpr_private_segment_size 0
		.amdhsa_wavefront_size32 1
		.amdhsa_uses_dynamic_stack 0
		.amdhsa_system_sgpr_private_segment_wavefront_offset 0
		.amdhsa_system_sgpr_workgroup_id_x 1
		.amdhsa_system_sgpr_workgroup_id_y 0
		.amdhsa_system_sgpr_workgroup_id_z 0
		.amdhsa_system_sgpr_workgroup_info 0
		.amdhsa_system_vgpr_workitem_id 0
		.amdhsa_next_free_vgpr 24
		.amdhsa_next_free_sgpr 44
		.amdhsa_reserve_vcc 1
		.amdhsa_reserve_flat_scratch 0
		.amdhsa_float_round_mode_32 0
		.amdhsa_float_round_mode_16_64 0
		.amdhsa_float_denorm_mode_32 3
		.amdhsa_float_denorm_mode_16_64 3
		.amdhsa_dx10_clamp 1
		.amdhsa_ieee_mode 1
		.amdhsa_fp16_overflow 0
		.amdhsa_workgroup_processor_mode 1
		.amdhsa_memory_ordered 1
		.amdhsa_forward_progress 1
		.amdhsa_shared_vgpr_count 0
		.amdhsa_exception_fp_ieee_invalid_op 0
		.amdhsa_exception_fp_denorm_src 0
		.amdhsa_exception_fp_ieee_div_zero 0
		.amdhsa_exception_fp_ieee_overflow 0
		.amdhsa_exception_fp_ieee_underflow 0
		.amdhsa_exception_fp_ieee_inexact 0
		.amdhsa_exception_int_div_zero 0
	.end_amdhsa_kernel
	.section	.text._ZN2at6native12_GLOBAL__N_129segment_reduce_forward_kernelIdlEEvNS0_13ReductionTypeEPT_PKS4_PKT0_SA_llbS4_lllllll,"axG",@progbits,_ZN2at6native12_GLOBAL__N_129segment_reduce_forward_kernelIdlEEvNS0_13ReductionTypeEPT_PKS4_PKT0_SA_llbS4_lllllll,comdat
.Lfunc_end144:
	.size	_ZN2at6native12_GLOBAL__N_129segment_reduce_forward_kernelIdlEEvNS0_13ReductionTypeEPT_PKS4_PKT0_SA_llbS4_lllllll, .Lfunc_end144-_ZN2at6native12_GLOBAL__N_129segment_reduce_forward_kernelIdlEEvNS0_13ReductionTypeEPT_PKS4_PKT0_SA_llbS4_lllllll
                                        ; -- End function
	.set _ZN2at6native12_GLOBAL__N_129segment_reduce_forward_kernelIdlEEvNS0_13ReductionTypeEPT_PKS4_PKT0_SA_llbS4_lllllll.num_vgpr, 24
	.set _ZN2at6native12_GLOBAL__N_129segment_reduce_forward_kernelIdlEEvNS0_13ReductionTypeEPT_PKS4_PKT0_SA_llbS4_lllllll.num_agpr, 0
	.set _ZN2at6native12_GLOBAL__N_129segment_reduce_forward_kernelIdlEEvNS0_13ReductionTypeEPT_PKS4_PKT0_SA_llbS4_lllllll.numbered_sgpr, 44
	.set _ZN2at6native12_GLOBAL__N_129segment_reduce_forward_kernelIdlEEvNS0_13ReductionTypeEPT_PKS4_PKT0_SA_llbS4_lllllll.num_named_barrier, 0
	.set _ZN2at6native12_GLOBAL__N_129segment_reduce_forward_kernelIdlEEvNS0_13ReductionTypeEPT_PKS4_PKT0_SA_llbS4_lllllll.private_seg_size, 0
	.set _ZN2at6native12_GLOBAL__N_129segment_reduce_forward_kernelIdlEEvNS0_13ReductionTypeEPT_PKS4_PKT0_SA_llbS4_lllllll.uses_vcc, 1
	.set _ZN2at6native12_GLOBAL__N_129segment_reduce_forward_kernelIdlEEvNS0_13ReductionTypeEPT_PKS4_PKT0_SA_llbS4_lllllll.uses_flat_scratch, 0
	.set _ZN2at6native12_GLOBAL__N_129segment_reduce_forward_kernelIdlEEvNS0_13ReductionTypeEPT_PKS4_PKT0_SA_llbS4_lllllll.has_dyn_sized_stack, 0
	.set _ZN2at6native12_GLOBAL__N_129segment_reduce_forward_kernelIdlEEvNS0_13ReductionTypeEPT_PKS4_PKT0_SA_llbS4_lllllll.has_recursion, 0
	.set _ZN2at6native12_GLOBAL__N_129segment_reduce_forward_kernelIdlEEvNS0_13ReductionTypeEPT_PKS4_PKT0_SA_llbS4_lllllll.has_indirect_call, 0
	.section	.AMDGPU.csdata,"",@progbits
; Kernel info:
; codeLenInByte = 2844
; TotalNumSgprs: 46
; NumVgprs: 24
; ScratchSize: 0
; MemoryBound: 0
; FloatMode: 240
; IeeeMode: 1
; LDSByteSize: 0 bytes/workgroup (compile time only)
; SGPRBlocks: 0
; VGPRBlocks: 2
; NumSGPRsForWavesPerEU: 46
; NumVGPRsForWavesPerEU: 24
; Occupancy: 16
; WaveLimiterHint : 0
; COMPUTE_PGM_RSRC2:SCRATCH_EN: 0
; COMPUTE_PGM_RSRC2:USER_SGPR: 6
; COMPUTE_PGM_RSRC2:TRAP_HANDLER: 0
; COMPUTE_PGM_RSRC2:TGID_X_EN: 1
; COMPUTE_PGM_RSRC2:TGID_Y_EN: 0
; COMPUTE_PGM_RSRC2:TGID_Z_EN: 0
; COMPUTE_PGM_RSRC2:TIDIG_COMP_CNT: 0
	.section	.text._ZN7rocprim17ROCPRIM_400000_NS6detail17trampoline_kernelINS0_14default_configENS1_32segmented_reduce_config_selectorIdEEZNS1_21segmented_reduce_implIS3_PKdPdPKldN6hipcub16HIPCUB_304000_NS6detail27convert_result_type_wrapperIS8_S9_N2at6native12_GLOBAL__N_19CustomMaxEEEEE10hipError_tPvRmT0_T1_jT2_SQ_T4_T3_P12ihipStream_tbEUlT_E_NS1_11comp_targetILNS1_3genE0ELNS1_11target_archE4294967295ELNS1_3gpuE0ELNS1_3repE0EEENS1_30default_config_static_selectorELNS0_4arch9wavefront6targetE0EEEvSP_,"axG",@progbits,_ZN7rocprim17ROCPRIM_400000_NS6detail17trampoline_kernelINS0_14default_configENS1_32segmented_reduce_config_selectorIdEEZNS1_21segmented_reduce_implIS3_PKdPdPKldN6hipcub16HIPCUB_304000_NS6detail27convert_result_type_wrapperIS8_S9_N2at6native12_GLOBAL__N_19CustomMaxEEEEE10hipError_tPvRmT0_T1_jT2_SQ_T4_T3_P12ihipStream_tbEUlT_E_NS1_11comp_targetILNS1_3genE0ELNS1_11target_archE4294967295ELNS1_3gpuE0ELNS1_3repE0EEENS1_30default_config_static_selectorELNS0_4arch9wavefront6targetE0EEEvSP_,comdat
	.globl	_ZN7rocprim17ROCPRIM_400000_NS6detail17trampoline_kernelINS0_14default_configENS1_32segmented_reduce_config_selectorIdEEZNS1_21segmented_reduce_implIS3_PKdPdPKldN6hipcub16HIPCUB_304000_NS6detail27convert_result_type_wrapperIS8_S9_N2at6native12_GLOBAL__N_19CustomMaxEEEEE10hipError_tPvRmT0_T1_jT2_SQ_T4_T3_P12ihipStream_tbEUlT_E_NS1_11comp_targetILNS1_3genE0ELNS1_11target_archE4294967295ELNS1_3gpuE0ELNS1_3repE0EEENS1_30default_config_static_selectorELNS0_4arch9wavefront6targetE0EEEvSP_ ; -- Begin function _ZN7rocprim17ROCPRIM_400000_NS6detail17trampoline_kernelINS0_14default_configENS1_32segmented_reduce_config_selectorIdEEZNS1_21segmented_reduce_implIS3_PKdPdPKldN6hipcub16HIPCUB_304000_NS6detail27convert_result_type_wrapperIS8_S9_N2at6native12_GLOBAL__N_19CustomMaxEEEEE10hipError_tPvRmT0_T1_jT2_SQ_T4_T3_P12ihipStream_tbEUlT_E_NS1_11comp_targetILNS1_3genE0ELNS1_11target_archE4294967295ELNS1_3gpuE0ELNS1_3repE0EEENS1_30default_config_static_selectorELNS0_4arch9wavefront6targetE0EEEvSP_
	.p2align	8
	.type	_ZN7rocprim17ROCPRIM_400000_NS6detail17trampoline_kernelINS0_14default_configENS1_32segmented_reduce_config_selectorIdEEZNS1_21segmented_reduce_implIS3_PKdPdPKldN6hipcub16HIPCUB_304000_NS6detail27convert_result_type_wrapperIS8_S9_N2at6native12_GLOBAL__N_19CustomMaxEEEEE10hipError_tPvRmT0_T1_jT2_SQ_T4_T3_P12ihipStream_tbEUlT_E_NS1_11comp_targetILNS1_3genE0ELNS1_11target_archE4294967295ELNS1_3gpuE0ELNS1_3repE0EEENS1_30default_config_static_selectorELNS0_4arch9wavefront6targetE0EEEvSP_,@function
_ZN7rocprim17ROCPRIM_400000_NS6detail17trampoline_kernelINS0_14default_configENS1_32segmented_reduce_config_selectorIdEEZNS1_21segmented_reduce_implIS3_PKdPdPKldN6hipcub16HIPCUB_304000_NS6detail27convert_result_type_wrapperIS8_S9_N2at6native12_GLOBAL__N_19CustomMaxEEEEE10hipError_tPvRmT0_T1_jT2_SQ_T4_T3_P12ihipStream_tbEUlT_E_NS1_11comp_targetILNS1_3genE0ELNS1_11target_archE4294967295ELNS1_3gpuE0ELNS1_3repE0EEENS1_30default_config_static_selectorELNS0_4arch9wavefront6targetE0EEEvSP_: ; @_ZN7rocprim17ROCPRIM_400000_NS6detail17trampoline_kernelINS0_14default_configENS1_32segmented_reduce_config_selectorIdEEZNS1_21segmented_reduce_implIS3_PKdPdPKldN6hipcub16HIPCUB_304000_NS6detail27convert_result_type_wrapperIS8_S9_N2at6native12_GLOBAL__N_19CustomMaxEEEEE10hipError_tPvRmT0_T1_jT2_SQ_T4_T3_P12ihipStream_tbEUlT_E_NS1_11comp_targetILNS1_3genE0ELNS1_11target_archE4294967295ELNS1_3gpuE0ELNS1_3repE0EEENS1_30default_config_static_selectorELNS0_4arch9wavefront6targetE0EEEvSP_
; %bb.0:
	.section	.rodata,"a",@progbits
	.p2align	6, 0x0
	.amdhsa_kernel _ZN7rocprim17ROCPRIM_400000_NS6detail17trampoline_kernelINS0_14default_configENS1_32segmented_reduce_config_selectorIdEEZNS1_21segmented_reduce_implIS3_PKdPdPKldN6hipcub16HIPCUB_304000_NS6detail27convert_result_type_wrapperIS8_S9_N2at6native12_GLOBAL__N_19CustomMaxEEEEE10hipError_tPvRmT0_T1_jT2_SQ_T4_T3_P12ihipStream_tbEUlT_E_NS1_11comp_targetILNS1_3genE0ELNS1_11target_archE4294967295ELNS1_3gpuE0ELNS1_3repE0EEENS1_30default_config_static_selectorELNS0_4arch9wavefront6targetE0EEEvSP_
		.amdhsa_group_segment_fixed_size 0
		.amdhsa_private_segment_fixed_size 0
		.amdhsa_kernarg_size 56
		.amdhsa_user_sgpr_count 6
		.amdhsa_user_sgpr_private_segment_buffer 1
		.amdhsa_user_sgpr_dispatch_ptr 0
		.amdhsa_user_sgpr_queue_ptr 0
		.amdhsa_user_sgpr_kernarg_segment_ptr 1
		.amdhsa_user_sgpr_dispatch_id 0
		.amdhsa_user_sgpr_flat_scratch_init 0
		.amdhsa_user_sgpr_private_segment_size 0
		.amdhsa_wavefront_size32 1
		.amdhsa_uses_dynamic_stack 0
		.amdhsa_system_sgpr_private_segment_wavefront_offset 0
		.amdhsa_system_sgpr_workgroup_id_x 1
		.amdhsa_system_sgpr_workgroup_id_y 0
		.amdhsa_system_sgpr_workgroup_id_z 0
		.amdhsa_system_sgpr_workgroup_info 0
		.amdhsa_system_vgpr_workitem_id 0
		.amdhsa_next_free_vgpr 1
		.amdhsa_next_free_sgpr 1
		.amdhsa_reserve_vcc 0
		.amdhsa_reserve_flat_scratch 0
		.amdhsa_float_round_mode_32 0
		.amdhsa_float_round_mode_16_64 0
		.amdhsa_float_denorm_mode_32 3
		.amdhsa_float_denorm_mode_16_64 3
		.amdhsa_dx10_clamp 1
		.amdhsa_ieee_mode 1
		.amdhsa_fp16_overflow 0
		.amdhsa_workgroup_processor_mode 1
		.amdhsa_memory_ordered 1
		.amdhsa_forward_progress 1
		.amdhsa_shared_vgpr_count 0
		.amdhsa_exception_fp_ieee_invalid_op 0
		.amdhsa_exception_fp_denorm_src 0
		.amdhsa_exception_fp_ieee_div_zero 0
		.amdhsa_exception_fp_ieee_overflow 0
		.amdhsa_exception_fp_ieee_underflow 0
		.amdhsa_exception_fp_ieee_inexact 0
		.amdhsa_exception_int_div_zero 0
	.end_amdhsa_kernel
	.section	.text._ZN7rocprim17ROCPRIM_400000_NS6detail17trampoline_kernelINS0_14default_configENS1_32segmented_reduce_config_selectorIdEEZNS1_21segmented_reduce_implIS3_PKdPdPKldN6hipcub16HIPCUB_304000_NS6detail27convert_result_type_wrapperIS8_S9_N2at6native12_GLOBAL__N_19CustomMaxEEEEE10hipError_tPvRmT0_T1_jT2_SQ_T4_T3_P12ihipStream_tbEUlT_E_NS1_11comp_targetILNS1_3genE0ELNS1_11target_archE4294967295ELNS1_3gpuE0ELNS1_3repE0EEENS1_30default_config_static_selectorELNS0_4arch9wavefront6targetE0EEEvSP_,"axG",@progbits,_ZN7rocprim17ROCPRIM_400000_NS6detail17trampoline_kernelINS0_14default_configENS1_32segmented_reduce_config_selectorIdEEZNS1_21segmented_reduce_implIS3_PKdPdPKldN6hipcub16HIPCUB_304000_NS6detail27convert_result_type_wrapperIS8_S9_N2at6native12_GLOBAL__N_19CustomMaxEEEEE10hipError_tPvRmT0_T1_jT2_SQ_T4_T3_P12ihipStream_tbEUlT_E_NS1_11comp_targetILNS1_3genE0ELNS1_11target_archE4294967295ELNS1_3gpuE0ELNS1_3repE0EEENS1_30default_config_static_selectorELNS0_4arch9wavefront6targetE0EEEvSP_,comdat
.Lfunc_end145:
	.size	_ZN7rocprim17ROCPRIM_400000_NS6detail17trampoline_kernelINS0_14default_configENS1_32segmented_reduce_config_selectorIdEEZNS1_21segmented_reduce_implIS3_PKdPdPKldN6hipcub16HIPCUB_304000_NS6detail27convert_result_type_wrapperIS8_S9_N2at6native12_GLOBAL__N_19CustomMaxEEEEE10hipError_tPvRmT0_T1_jT2_SQ_T4_T3_P12ihipStream_tbEUlT_E_NS1_11comp_targetILNS1_3genE0ELNS1_11target_archE4294967295ELNS1_3gpuE0ELNS1_3repE0EEENS1_30default_config_static_selectorELNS0_4arch9wavefront6targetE0EEEvSP_, .Lfunc_end145-_ZN7rocprim17ROCPRIM_400000_NS6detail17trampoline_kernelINS0_14default_configENS1_32segmented_reduce_config_selectorIdEEZNS1_21segmented_reduce_implIS3_PKdPdPKldN6hipcub16HIPCUB_304000_NS6detail27convert_result_type_wrapperIS8_S9_N2at6native12_GLOBAL__N_19CustomMaxEEEEE10hipError_tPvRmT0_T1_jT2_SQ_T4_T3_P12ihipStream_tbEUlT_E_NS1_11comp_targetILNS1_3genE0ELNS1_11target_archE4294967295ELNS1_3gpuE0ELNS1_3repE0EEENS1_30default_config_static_selectorELNS0_4arch9wavefront6targetE0EEEvSP_
                                        ; -- End function
	.set _ZN7rocprim17ROCPRIM_400000_NS6detail17trampoline_kernelINS0_14default_configENS1_32segmented_reduce_config_selectorIdEEZNS1_21segmented_reduce_implIS3_PKdPdPKldN6hipcub16HIPCUB_304000_NS6detail27convert_result_type_wrapperIS8_S9_N2at6native12_GLOBAL__N_19CustomMaxEEEEE10hipError_tPvRmT0_T1_jT2_SQ_T4_T3_P12ihipStream_tbEUlT_E_NS1_11comp_targetILNS1_3genE0ELNS1_11target_archE4294967295ELNS1_3gpuE0ELNS1_3repE0EEENS1_30default_config_static_selectorELNS0_4arch9wavefront6targetE0EEEvSP_.num_vgpr, 0
	.set _ZN7rocprim17ROCPRIM_400000_NS6detail17trampoline_kernelINS0_14default_configENS1_32segmented_reduce_config_selectorIdEEZNS1_21segmented_reduce_implIS3_PKdPdPKldN6hipcub16HIPCUB_304000_NS6detail27convert_result_type_wrapperIS8_S9_N2at6native12_GLOBAL__N_19CustomMaxEEEEE10hipError_tPvRmT0_T1_jT2_SQ_T4_T3_P12ihipStream_tbEUlT_E_NS1_11comp_targetILNS1_3genE0ELNS1_11target_archE4294967295ELNS1_3gpuE0ELNS1_3repE0EEENS1_30default_config_static_selectorELNS0_4arch9wavefront6targetE0EEEvSP_.num_agpr, 0
	.set _ZN7rocprim17ROCPRIM_400000_NS6detail17trampoline_kernelINS0_14default_configENS1_32segmented_reduce_config_selectorIdEEZNS1_21segmented_reduce_implIS3_PKdPdPKldN6hipcub16HIPCUB_304000_NS6detail27convert_result_type_wrapperIS8_S9_N2at6native12_GLOBAL__N_19CustomMaxEEEEE10hipError_tPvRmT0_T1_jT2_SQ_T4_T3_P12ihipStream_tbEUlT_E_NS1_11comp_targetILNS1_3genE0ELNS1_11target_archE4294967295ELNS1_3gpuE0ELNS1_3repE0EEENS1_30default_config_static_selectorELNS0_4arch9wavefront6targetE0EEEvSP_.numbered_sgpr, 0
	.set _ZN7rocprim17ROCPRIM_400000_NS6detail17trampoline_kernelINS0_14default_configENS1_32segmented_reduce_config_selectorIdEEZNS1_21segmented_reduce_implIS3_PKdPdPKldN6hipcub16HIPCUB_304000_NS6detail27convert_result_type_wrapperIS8_S9_N2at6native12_GLOBAL__N_19CustomMaxEEEEE10hipError_tPvRmT0_T1_jT2_SQ_T4_T3_P12ihipStream_tbEUlT_E_NS1_11comp_targetILNS1_3genE0ELNS1_11target_archE4294967295ELNS1_3gpuE0ELNS1_3repE0EEENS1_30default_config_static_selectorELNS0_4arch9wavefront6targetE0EEEvSP_.num_named_barrier, 0
	.set _ZN7rocprim17ROCPRIM_400000_NS6detail17trampoline_kernelINS0_14default_configENS1_32segmented_reduce_config_selectorIdEEZNS1_21segmented_reduce_implIS3_PKdPdPKldN6hipcub16HIPCUB_304000_NS6detail27convert_result_type_wrapperIS8_S9_N2at6native12_GLOBAL__N_19CustomMaxEEEEE10hipError_tPvRmT0_T1_jT2_SQ_T4_T3_P12ihipStream_tbEUlT_E_NS1_11comp_targetILNS1_3genE0ELNS1_11target_archE4294967295ELNS1_3gpuE0ELNS1_3repE0EEENS1_30default_config_static_selectorELNS0_4arch9wavefront6targetE0EEEvSP_.private_seg_size, 0
	.set _ZN7rocprim17ROCPRIM_400000_NS6detail17trampoline_kernelINS0_14default_configENS1_32segmented_reduce_config_selectorIdEEZNS1_21segmented_reduce_implIS3_PKdPdPKldN6hipcub16HIPCUB_304000_NS6detail27convert_result_type_wrapperIS8_S9_N2at6native12_GLOBAL__N_19CustomMaxEEEEE10hipError_tPvRmT0_T1_jT2_SQ_T4_T3_P12ihipStream_tbEUlT_E_NS1_11comp_targetILNS1_3genE0ELNS1_11target_archE4294967295ELNS1_3gpuE0ELNS1_3repE0EEENS1_30default_config_static_selectorELNS0_4arch9wavefront6targetE0EEEvSP_.uses_vcc, 0
	.set _ZN7rocprim17ROCPRIM_400000_NS6detail17trampoline_kernelINS0_14default_configENS1_32segmented_reduce_config_selectorIdEEZNS1_21segmented_reduce_implIS3_PKdPdPKldN6hipcub16HIPCUB_304000_NS6detail27convert_result_type_wrapperIS8_S9_N2at6native12_GLOBAL__N_19CustomMaxEEEEE10hipError_tPvRmT0_T1_jT2_SQ_T4_T3_P12ihipStream_tbEUlT_E_NS1_11comp_targetILNS1_3genE0ELNS1_11target_archE4294967295ELNS1_3gpuE0ELNS1_3repE0EEENS1_30default_config_static_selectorELNS0_4arch9wavefront6targetE0EEEvSP_.uses_flat_scratch, 0
	.set _ZN7rocprim17ROCPRIM_400000_NS6detail17trampoline_kernelINS0_14default_configENS1_32segmented_reduce_config_selectorIdEEZNS1_21segmented_reduce_implIS3_PKdPdPKldN6hipcub16HIPCUB_304000_NS6detail27convert_result_type_wrapperIS8_S9_N2at6native12_GLOBAL__N_19CustomMaxEEEEE10hipError_tPvRmT0_T1_jT2_SQ_T4_T3_P12ihipStream_tbEUlT_E_NS1_11comp_targetILNS1_3genE0ELNS1_11target_archE4294967295ELNS1_3gpuE0ELNS1_3repE0EEENS1_30default_config_static_selectorELNS0_4arch9wavefront6targetE0EEEvSP_.has_dyn_sized_stack, 0
	.set _ZN7rocprim17ROCPRIM_400000_NS6detail17trampoline_kernelINS0_14default_configENS1_32segmented_reduce_config_selectorIdEEZNS1_21segmented_reduce_implIS3_PKdPdPKldN6hipcub16HIPCUB_304000_NS6detail27convert_result_type_wrapperIS8_S9_N2at6native12_GLOBAL__N_19CustomMaxEEEEE10hipError_tPvRmT0_T1_jT2_SQ_T4_T3_P12ihipStream_tbEUlT_E_NS1_11comp_targetILNS1_3genE0ELNS1_11target_archE4294967295ELNS1_3gpuE0ELNS1_3repE0EEENS1_30default_config_static_selectorELNS0_4arch9wavefront6targetE0EEEvSP_.has_recursion, 0
	.set _ZN7rocprim17ROCPRIM_400000_NS6detail17trampoline_kernelINS0_14default_configENS1_32segmented_reduce_config_selectorIdEEZNS1_21segmented_reduce_implIS3_PKdPdPKldN6hipcub16HIPCUB_304000_NS6detail27convert_result_type_wrapperIS8_S9_N2at6native12_GLOBAL__N_19CustomMaxEEEEE10hipError_tPvRmT0_T1_jT2_SQ_T4_T3_P12ihipStream_tbEUlT_E_NS1_11comp_targetILNS1_3genE0ELNS1_11target_archE4294967295ELNS1_3gpuE0ELNS1_3repE0EEENS1_30default_config_static_selectorELNS0_4arch9wavefront6targetE0EEEvSP_.has_indirect_call, 0
	.section	.AMDGPU.csdata,"",@progbits
; Kernel info:
; codeLenInByte = 0
; TotalNumSgprs: 0
; NumVgprs: 0
; ScratchSize: 0
; MemoryBound: 0
; FloatMode: 240
; IeeeMode: 1
; LDSByteSize: 0 bytes/workgroup (compile time only)
; SGPRBlocks: 0
; VGPRBlocks: 0
; NumSGPRsForWavesPerEU: 1
; NumVGPRsForWavesPerEU: 1
; Occupancy: 16
; WaveLimiterHint : 0
; COMPUTE_PGM_RSRC2:SCRATCH_EN: 0
; COMPUTE_PGM_RSRC2:USER_SGPR: 6
; COMPUTE_PGM_RSRC2:TRAP_HANDLER: 0
; COMPUTE_PGM_RSRC2:TGID_X_EN: 1
; COMPUTE_PGM_RSRC2:TGID_Y_EN: 0
; COMPUTE_PGM_RSRC2:TGID_Z_EN: 0
; COMPUTE_PGM_RSRC2:TIDIG_COMP_CNT: 0
	.section	.text._ZN7rocprim17ROCPRIM_400000_NS6detail17trampoline_kernelINS0_14default_configENS1_32segmented_reduce_config_selectorIdEEZNS1_21segmented_reduce_implIS3_PKdPdPKldN6hipcub16HIPCUB_304000_NS6detail27convert_result_type_wrapperIS8_S9_N2at6native12_GLOBAL__N_19CustomMaxEEEEE10hipError_tPvRmT0_T1_jT2_SQ_T4_T3_P12ihipStream_tbEUlT_E_NS1_11comp_targetILNS1_3genE5ELNS1_11target_archE942ELNS1_3gpuE9ELNS1_3repE0EEENS1_30default_config_static_selectorELNS0_4arch9wavefront6targetE0EEEvSP_,"axG",@progbits,_ZN7rocprim17ROCPRIM_400000_NS6detail17trampoline_kernelINS0_14default_configENS1_32segmented_reduce_config_selectorIdEEZNS1_21segmented_reduce_implIS3_PKdPdPKldN6hipcub16HIPCUB_304000_NS6detail27convert_result_type_wrapperIS8_S9_N2at6native12_GLOBAL__N_19CustomMaxEEEEE10hipError_tPvRmT0_T1_jT2_SQ_T4_T3_P12ihipStream_tbEUlT_E_NS1_11comp_targetILNS1_3genE5ELNS1_11target_archE942ELNS1_3gpuE9ELNS1_3repE0EEENS1_30default_config_static_selectorELNS0_4arch9wavefront6targetE0EEEvSP_,comdat
	.globl	_ZN7rocprim17ROCPRIM_400000_NS6detail17trampoline_kernelINS0_14default_configENS1_32segmented_reduce_config_selectorIdEEZNS1_21segmented_reduce_implIS3_PKdPdPKldN6hipcub16HIPCUB_304000_NS6detail27convert_result_type_wrapperIS8_S9_N2at6native12_GLOBAL__N_19CustomMaxEEEEE10hipError_tPvRmT0_T1_jT2_SQ_T4_T3_P12ihipStream_tbEUlT_E_NS1_11comp_targetILNS1_3genE5ELNS1_11target_archE942ELNS1_3gpuE9ELNS1_3repE0EEENS1_30default_config_static_selectorELNS0_4arch9wavefront6targetE0EEEvSP_ ; -- Begin function _ZN7rocprim17ROCPRIM_400000_NS6detail17trampoline_kernelINS0_14default_configENS1_32segmented_reduce_config_selectorIdEEZNS1_21segmented_reduce_implIS3_PKdPdPKldN6hipcub16HIPCUB_304000_NS6detail27convert_result_type_wrapperIS8_S9_N2at6native12_GLOBAL__N_19CustomMaxEEEEE10hipError_tPvRmT0_T1_jT2_SQ_T4_T3_P12ihipStream_tbEUlT_E_NS1_11comp_targetILNS1_3genE5ELNS1_11target_archE942ELNS1_3gpuE9ELNS1_3repE0EEENS1_30default_config_static_selectorELNS0_4arch9wavefront6targetE0EEEvSP_
	.p2align	8
	.type	_ZN7rocprim17ROCPRIM_400000_NS6detail17trampoline_kernelINS0_14default_configENS1_32segmented_reduce_config_selectorIdEEZNS1_21segmented_reduce_implIS3_PKdPdPKldN6hipcub16HIPCUB_304000_NS6detail27convert_result_type_wrapperIS8_S9_N2at6native12_GLOBAL__N_19CustomMaxEEEEE10hipError_tPvRmT0_T1_jT2_SQ_T4_T3_P12ihipStream_tbEUlT_E_NS1_11comp_targetILNS1_3genE5ELNS1_11target_archE942ELNS1_3gpuE9ELNS1_3repE0EEENS1_30default_config_static_selectorELNS0_4arch9wavefront6targetE0EEEvSP_,@function
_ZN7rocprim17ROCPRIM_400000_NS6detail17trampoline_kernelINS0_14default_configENS1_32segmented_reduce_config_selectorIdEEZNS1_21segmented_reduce_implIS3_PKdPdPKldN6hipcub16HIPCUB_304000_NS6detail27convert_result_type_wrapperIS8_S9_N2at6native12_GLOBAL__N_19CustomMaxEEEEE10hipError_tPvRmT0_T1_jT2_SQ_T4_T3_P12ihipStream_tbEUlT_E_NS1_11comp_targetILNS1_3genE5ELNS1_11target_archE942ELNS1_3gpuE9ELNS1_3repE0EEENS1_30default_config_static_selectorELNS0_4arch9wavefront6targetE0EEEvSP_: ; @_ZN7rocprim17ROCPRIM_400000_NS6detail17trampoline_kernelINS0_14default_configENS1_32segmented_reduce_config_selectorIdEEZNS1_21segmented_reduce_implIS3_PKdPdPKldN6hipcub16HIPCUB_304000_NS6detail27convert_result_type_wrapperIS8_S9_N2at6native12_GLOBAL__N_19CustomMaxEEEEE10hipError_tPvRmT0_T1_jT2_SQ_T4_T3_P12ihipStream_tbEUlT_E_NS1_11comp_targetILNS1_3genE5ELNS1_11target_archE942ELNS1_3gpuE9ELNS1_3repE0EEENS1_30default_config_static_selectorELNS0_4arch9wavefront6targetE0EEEvSP_
; %bb.0:
	.section	.rodata,"a",@progbits
	.p2align	6, 0x0
	.amdhsa_kernel _ZN7rocprim17ROCPRIM_400000_NS6detail17trampoline_kernelINS0_14default_configENS1_32segmented_reduce_config_selectorIdEEZNS1_21segmented_reduce_implIS3_PKdPdPKldN6hipcub16HIPCUB_304000_NS6detail27convert_result_type_wrapperIS8_S9_N2at6native12_GLOBAL__N_19CustomMaxEEEEE10hipError_tPvRmT0_T1_jT2_SQ_T4_T3_P12ihipStream_tbEUlT_E_NS1_11comp_targetILNS1_3genE5ELNS1_11target_archE942ELNS1_3gpuE9ELNS1_3repE0EEENS1_30default_config_static_selectorELNS0_4arch9wavefront6targetE0EEEvSP_
		.amdhsa_group_segment_fixed_size 0
		.amdhsa_private_segment_fixed_size 0
		.amdhsa_kernarg_size 56
		.amdhsa_user_sgpr_count 6
		.amdhsa_user_sgpr_private_segment_buffer 1
		.amdhsa_user_sgpr_dispatch_ptr 0
		.amdhsa_user_sgpr_queue_ptr 0
		.amdhsa_user_sgpr_kernarg_segment_ptr 1
		.amdhsa_user_sgpr_dispatch_id 0
		.amdhsa_user_sgpr_flat_scratch_init 0
		.amdhsa_user_sgpr_private_segment_size 0
		.amdhsa_wavefront_size32 1
		.amdhsa_uses_dynamic_stack 0
		.amdhsa_system_sgpr_private_segment_wavefront_offset 0
		.amdhsa_system_sgpr_workgroup_id_x 1
		.amdhsa_system_sgpr_workgroup_id_y 0
		.amdhsa_system_sgpr_workgroup_id_z 0
		.amdhsa_system_sgpr_workgroup_info 0
		.amdhsa_system_vgpr_workitem_id 0
		.amdhsa_next_free_vgpr 1
		.amdhsa_next_free_sgpr 1
		.amdhsa_reserve_vcc 0
		.amdhsa_reserve_flat_scratch 0
		.amdhsa_float_round_mode_32 0
		.amdhsa_float_round_mode_16_64 0
		.amdhsa_float_denorm_mode_32 3
		.amdhsa_float_denorm_mode_16_64 3
		.amdhsa_dx10_clamp 1
		.amdhsa_ieee_mode 1
		.amdhsa_fp16_overflow 0
		.amdhsa_workgroup_processor_mode 1
		.amdhsa_memory_ordered 1
		.amdhsa_forward_progress 1
		.amdhsa_shared_vgpr_count 0
		.amdhsa_exception_fp_ieee_invalid_op 0
		.amdhsa_exception_fp_denorm_src 0
		.amdhsa_exception_fp_ieee_div_zero 0
		.amdhsa_exception_fp_ieee_overflow 0
		.amdhsa_exception_fp_ieee_underflow 0
		.amdhsa_exception_fp_ieee_inexact 0
		.amdhsa_exception_int_div_zero 0
	.end_amdhsa_kernel
	.section	.text._ZN7rocprim17ROCPRIM_400000_NS6detail17trampoline_kernelINS0_14default_configENS1_32segmented_reduce_config_selectorIdEEZNS1_21segmented_reduce_implIS3_PKdPdPKldN6hipcub16HIPCUB_304000_NS6detail27convert_result_type_wrapperIS8_S9_N2at6native12_GLOBAL__N_19CustomMaxEEEEE10hipError_tPvRmT0_T1_jT2_SQ_T4_T3_P12ihipStream_tbEUlT_E_NS1_11comp_targetILNS1_3genE5ELNS1_11target_archE942ELNS1_3gpuE9ELNS1_3repE0EEENS1_30default_config_static_selectorELNS0_4arch9wavefront6targetE0EEEvSP_,"axG",@progbits,_ZN7rocprim17ROCPRIM_400000_NS6detail17trampoline_kernelINS0_14default_configENS1_32segmented_reduce_config_selectorIdEEZNS1_21segmented_reduce_implIS3_PKdPdPKldN6hipcub16HIPCUB_304000_NS6detail27convert_result_type_wrapperIS8_S9_N2at6native12_GLOBAL__N_19CustomMaxEEEEE10hipError_tPvRmT0_T1_jT2_SQ_T4_T3_P12ihipStream_tbEUlT_E_NS1_11comp_targetILNS1_3genE5ELNS1_11target_archE942ELNS1_3gpuE9ELNS1_3repE0EEENS1_30default_config_static_selectorELNS0_4arch9wavefront6targetE0EEEvSP_,comdat
.Lfunc_end146:
	.size	_ZN7rocprim17ROCPRIM_400000_NS6detail17trampoline_kernelINS0_14default_configENS1_32segmented_reduce_config_selectorIdEEZNS1_21segmented_reduce_implIS3_PKdPdPKldN6hipcub16HIPCUB_304000_NS6detail27convert_result_type_wrapperIS8_S9_N2at6native12_GLOBAL__N_19CustomMaxEEEEE10hipError_tPvRmT0_T1_jT2_SQ_T4_T3_P12ihipStream_tbEUlT_E_NS1_11comp_targetILNS1_3genE5ELNS1_11target_archE942ELNS1_3gpuE9ELNS1_3repE0EEENS1_30default_config_static_selectorELNS0_4arch9wavefront6targetE0EEEvSP_, .Lfunc_end146-_ZN7rocprim17ROCPRIM_400000_NS6detail17trampoline_kernelINS0_14default_configENS1_32segmented_reduce_config_selectorIdEEZNS1_21segmented_reduce_implIS3_PKdPdPKldN6hipcub16HIPCUB_304000_NS6detail27convert_result_type_wrapperIS8_S9_N2at6native12_GLOBAL__N_19CustomMaxEEEEE10hipError_tPvRmT0_T1_jT2_SQ_T4_T3_P12ihipStream_tbEUlT_E_NS1_11comp_targetILNS1_3genE5ELNS1_11target_archE942ELNS1_3gpuE9ELNS1_3repE0EEENS1_30default_config_static_selectorELNS0_4arch9wavefront6targetE0EEEvSP_
                                        ; -- End function
	.set _ZN7rocprim17ROCPRIM_400000_NS6detail17trampoline_kernelINS0_14default_configENS1_32segmented_reduce_config_selectorIdEEZNS1_21segmented_reduce_implIS3_PKdPdPKldN6hipcub16HIPCUB_304000_NS6detail27convert_result_type_wrapperIS8_S9_N2at6native12_GLOBAL__N_19CustomMaxEEEEE10hipError_tPvRmT0_T1_jT2_SQ_T4_T3_P12ihipStream_tbEUlT_E_NS1_11comp_targetILNS1_3genE5ELNS1_11target_archE942ELNS1_3gpuE9ELNS1_3repE0EEENS1_30default_config_static_selectorELNS0_4arch9wavefront6targetE0EEEvSP_.num_vgpr, 0
	.set _ZN7rocprim17ROCPRIM_400000_NS6detail17trampoline_kernelINS0_14default_configENS1_32segmented_reduce_config_selectorIdEEZNS1_21segmented_reduce_implIS3_PKdPdPKldN6hipcub16HIPCUB_304000_NS6detail27convert_result_type_wrapperIS8_S9_N2at6native12_GLOBAL__N_19CustomMaxEEEEE10hipError_tPvRmT0_T1_jT2_SQ_T4_T3_P12ihipStream_tbEUlT_E_NS1_11comp_targetILNS1_3genE5ELNS1_11target_archE942ELNS1_3gpuE9ELNS1_3repE0EEENS1_30default_config_static_selectorELNS0_4arch9wavefront6targetE0EEEvSP_.num_agpr, 0
	.set _ZN7rocprim17ROCPRIM_400000_NS6detail17trampoline_kernelINS0_14default_configENS1_32segmented_reduce_config_selectorIdEEZNS1_21segmented_reduce_implIS3_PKdPdPKldN6hipcub16HIPCUB_304000_NS6detail27convert_result_type_wrapperIS8_S9_N2at6native12_GLOBAL__N_19CustomMaxEEEEE10hipError_tPvRmT0_T1_jT2_SQ_T4_T3_P12ihipStream_tbEUlT_E_NS1_11comp_targetILNS1_3genE5ELNS1_11target_archE942ELNS1_3gpuE9ELNS1_3repE0EEENS1_30default_config_static_selectorELNS0_4arch9wavefront6targetE0EEEvSP_.numbered_sgpr, 0
	.set _ZN7rocprim17ROCPRIM_400000_NS6detail17trampoline_kernelINS0_14default_configENS1_32segmented_reduce_config_selectorIdEEZNS1_21segmented_reduce_implIS3_PKdPdPKldN6hipcub16HIPCUB_304000_NS6detail27convert_result_type_wrapperIS8_S9_N2at6native12_GLOBAL__N_19CustomMaxEEEEE10hipError_tPvRmT0_T1_jT2_SQ_T4_T3_P12ihipStream_tbEUlT_E_NS1_11comp_targetILNS1_3genE5ELNS1_11target_archE942ELNS1_3gpuE9ELNS1_3repE0EEENS1_30default_config_static_selectorELNS0_4arch9wavefront6targetE0EEEvSP_.num_named_barrier, 0
	.set _ZN7rocprim17ROCPRIM_400000_NS6detail17trampoline_kernelINS0_14default_configENS1_32segmented_reduce_config_selectorIdEEZNS1_21segmented_reduce_implIS3_PKdPdPKldN6hipcub16HIPCUB_304000_NS6detail27convert_result_type_wrapperIS8_S9_N2at6native12_GLOBAL__N_19CustomMaxEEEEE10hipError_tPvRmT0_T1_jT2_SQ_T4_T3_P12ihipStream_tbEUlT_E_NS1_11comp_targetILNS1_3genE5ELNS1_11target_archE942ELNS1_3gpuE9ELNS1_3repE0EEENS1_30default_config_static_selectorELNS0_4arch9wavefront6targetE0EEEvSP_.private_seg_size, 0
	.set _ZN7rocprim17ROCPRIM_400000_NS6detail17trampoline_kernelINS0_14default_configENS1_32segmented_reduce_config_selectorIdEEZNS1_21segmented_reduce_implIS3_PKdPdPKldN6hipcub16HIPCUB_304000_NS6detail27convert_result_type_wrapperIS8_S9_N2at6native12_GLOBAL__N_19CustomMaxEEEEE10hipError_tPvRmT0_T1_jT2_SQ_T4_T3_P12ihipStream_tbEUlT_E_NS1_11comp_targetILNS1_3genE5ELNS1_11target_archE942ELNS1_3gpuE9ELNS1_3repE0EEENS1_30default_config_static_selectorELNS0_4arch9wavefront6targetE0EEEvSP_.uses_vcc, 0
	.set _ZN7rocprim17ROCPRIM_400000_NS6detail17trampoline_kernelINS0_14default_configENS1_32segmented_reduce_config_selectorIdEEZNS1_21segmented_reduce_implIS3_PKdPdPKldN6hipcub16HIPCUB_304000_NS6detail27convert_result_type_wrapperIS8_S9_N2at6native12_GLOBAL__N_19CustomMaxEEEEE10hipError_tPvRmT0_T1_jT2_SQ_T4_T3_P12ihipStream_tbEUlT_E_NS1_11comp_targetILNS1_3genE5ELNS1_11target_archE942ELNS1_3gpuE9ELNS1_3repE0EEENS1_30default_config_static_selectorELNS0_4arch9wavefront6targetE0EEEvSP_.uses_flat_scratch, 0
	.set _ZN7rocprim17ROCPRIM_400000_NS6detail17trampoline_kernelINS0_14default_configENS1_32segmented_reduce_config_selectorIdEEZNS1_21segmented_reduce_implIS3_PKdPdPKldN6hipcub16HIPCUB_304000_NS6detail27convert_result_type_wrapperIS8_S9_N2at6native12_GLOBAL__N_19CustomMaxEEEEE10hipError_tPvRmT0_T1_jT2_SQ_T4_T3_P12ihipStream_tbEUlT_E_NS1_11comp_targetILNS1_3genE5ELNS1_11target_archE942ELNS1_3gpuE9ELNS1_3repE0EEENS1_30default_config_static_selectorELNS0_4arch9wavefront6targetE0EEEvSP_.has_dyn_sized_stack, 0
	.set _ZN7rocprim17ROCPRIM_400000_NS6detail17trampoline_kernelINS0_14default_configENS1_32segmented_reduce_config_selectorIdEEZNS1_21segmented_reduce_implIS3_PKdPdPKldN6hipcub16HIPCUB_304000_NS6detail27convert_result_type_wrapperIS8_S9_N2at6native12_GLOBAL__N_19CustomMaxEEEEE10hipError_tPvRmT0_T1_jT2_SQ_T4_T3_P12ihipStream_tbEUlT_E_NS1_11comp_targetILNS1_3genE5ELNS1_11target_archE942ELNS1_3gpuE9ELNS1_3repE0EEENS1_30default_config_static_selectorELNS0_4arch9wavefront6targetE0EEEvSP_.has_recursion, 0
	.set _ZN7rocprim17ROCPRIM_400000_NS6detail17trampoline_kernelINS0_14default_configENS1_32segmented_reduce_config_selectorIdEEZNS1_21segmented_reduce_implIS3_PKdPdPKldN6hipcub16HIPCUB_304000_NS6detail27convert_result_type_wrapperIS8_S9_N2at6native12_GLOBAL__N_19CustomMaxEEEEE10hipError_tPvRmT0_T1_jT2_SQ_T4_T3_P12ihipStream_tbEUlT_E_NS1_11comp_targetILNS1_3genE5ELNS1_11target_archE942ELNS1_3gpuE9ELNS1_3repE0EEENS1_30default_config_static_selectorELNS0_4arch9wavefront6targetE0EEEvSP_.has_indirect_call, 0
	.section	.AMDGPU.csdata,"",@progbits
; Kernel info:
; codeLenInByte = 0
; TotalNumSgprs: 0
; NumVgprs: 0
; ScratchSize: 0
; MemoryBound: 0
; FloatMode: 240
; IeeeMode: 1
; LDSByteSize: 0 bytes/workgroup (compile time only)
; SGPRBlocks: 0
; VGPRBlocks: 0
; NumSGPRsForWavesPerEU: 1
; NumVGPRsForWavesPerEU: 1
; Occupancy: 16
; WaveLimiterHint : 0
; COMPUTE_PGM_RSRC2:SCRATCH_EN: 0
; COMPUTE_PGM_RSRC2:USER_SGPR: 6
; COMPUTE_PGM_RSRC2:TRAP_HANDLER: 0
; COMPUTE_PGM_RSRC2:TGID_X_EN: 1
; COMPUTE_PGM_RSRC2:TGID_Y_EN: 0
; COMPUTE_PGM_RSRC2:TGID_Z_EN: 0
; COMPUTE_PGM_RSRC2:TIDIG_COMP_CNT: 0
	.section	.text._ZN7rocprim17ROCPRIM_400000_NS6detail17trampoline_kernelINS0_14default_configENS1_32segmented_reduce_config_selectorIdEEZNS1_21segmented_reduce_implIS3_PKdPdPKldN6hipcub16HIPCUB_304000_NS6detail27convert_result_type_wrapperIS8_S9_N2at6native12_GLOBAL__N_19CustomMaxEEEEE10hipError_tPvRmT0_T1_jT2_SQ_T4_T3_P12ihipStream_tbEUlT_E_NS1_11comp_targetILNS1_3genE10ELNS1_11target_archE1201ELNS1_3gpuE5ELNS1_3repE0EEENS1_30default_config_static_selectorELNS0_4arch9wavefront6targetE0EEEvSP_,"axG",@progbits,_ZN7rocprim17ROCPRIM_400000_NS6detail17trampoline_kernelINS0_14default_configENS1_32segmented_reduce_config_selectorIdEEZNS1_21segmented_reduce_implIS3_PKdPdPKldN6hipcub16HIPCUB_304000_NS6detail27convert_result_type_wrapperIS8_S9_N2at6native12_GLOBAL__N_19CustomMaxEEEEE10hipError_tPvRmT0_T1_jT2_SQ_T4_T3_P12ihipStream_tbEUlT_E_NS1_11comp_targetILNS1_3genE10ELNS1_11target_archE1201ELNS1_3gpuE5ELNS1_3repE0EEENS1_30default_config_static_selectorELNS0_4arch9wavefront6targetE0EEEvSP_,comdat
	.globl	_ZN7rocprim17ROCPRIM_400000_NS6detail17trampoline_kernelINS0_14default_configENS1_32segmented_reduce_config_selectorIdEEZNS1_21segmented_reduce_implIS3_PKdPdPKldN6hipcub16HIPCUB_304000_NS6detail27convert_result_type_wrapperIS8_S9_N2at6native12_GLOBAL__N_19CustomMaxEEEEE10hipError_tPvRmT0_T1_jT2_SQ_T4_T3_P12ihipStream_tbEUlT_E_NS1_11comp_targetILNS1_3genE10ELNS1_11target_archE1201ELNS1_3gpuE5ELNS1_3repE0EEENS1_30default_config_static_selectorELNS0_4arch9wavefront6targetE0EEEvSP_ ; -- Begin function _ZN7rocprim17ROCPRIM_400000_NS6detail17trampoline_kernelINS0_14default_configENS1_32segmented_reduce_config_selectorIdEEZNS1_21segmented_reduce_implIS3_PKdPdPKldN6hipcub16HIPCUB_304000_NS6detail27convert_result_type_wrapperIS8_S9_N2at6native12_GLOBAL__N_19CustomMaxEEEEE10hipError_tPvRmT0_T1_jT2_SQ_T4_T3_P12ihipStream_tbEUlT_E_NS1_11comp_targetILNS1_3genE10ELNS1_11target_archE1201ELNS1_3gpuE5ELNS1_3repE0EEENS1_30default_config_static_selectorELNS0_4arch9wavefront6targetE0EEEvSP_
	.p2align	8
	.type	_ZN7rocprim17ROCPRIM_400000_NS6detail17trampoline_kernelINS0_14default_configENS1_32segmented_reduce_config_selectorIdEEZNS1_21segmented_reduce_implIS3_PKdPdPKldN6hipcub16HIPCUB_304000_NS6detail27convert_result_type_wrapperIS8_S9_N2at6native12_GLOBAL__N_19CustomMaxEEEEE10hipError_tPvRmT0_T1_jT2_SQ_T4_T3_P12ihipStream_tbEUlT_E_NS1_11comp_targetILNS1_3genE10ELNS1_11target_archE1201ELNS1_3gpuE5ELNS1_3repE0EEENS1_30default_config_static_selectorELNS0_4arch9wavefront6targetE0EEEvSP_,@function
_ZN7rocprim17ROCPRIM_400000_NS6detail17trampoline_kernelINS0_14default_configENS1_32segmented_reduce_config_selectorIdEEZNS1_21segmented_reduce_implIS3_PKdPdPKldN6hipcub16HIPCUB_304000_NS6detail27convert_result_type_wrapperIS8_S9_N2at6native12_GLOBAL__N_19CustomMaxEEEEE10hipError_tPvRmT0_T1_jT2_SQ_T4_T3_P12ihipStream_tbEUlT_E_NS1_11comp_targetILNS1_3genE10ELNS1_11target_archE1201ELNS1_3gpuE5ELNS1_3repE0EEENS1_30default_config_static_selectorELNS0_4arch9wavefront6targetE0EEEvSP_: ; @_ZN7rocprim17ROCPRIM_400000_NS6detail17trampoline_kernelINS0_14default_configENS1_32segmented_reduce_config_selectorIdEEZNS1_21segmented_reduce_implIS3_PKdPdPKldN6hipcub16HIPCUB_304000_NS6detail27convert_result_type_wrapperIS8_S9_N2at6native12_GLOBAL__N_19CustomMaxEEEEE10hipError_tPvRmT0_T1_jT2_SQ_T4_T3_P12ihipStream_tbEUlT_E_NS1_11comp_targetILNS1_3genE10ELNS1_11target_archE1201ELNS1_3gpuE5ELNS1_3repE0EEENS1_30default_config_static_selectorELNS0_4arch9wavefront6targetE0EEEvSP_
; %bb.0:
	.section	.rodata,"a",@progbits
	.p2align	6, 0x0
	.amdhsa_kernel _ZN7rocprim17ROCPRIM_400000_NS6detail17trampoline_kernelINS0_14default_configENS1_32segmented_reduce_config_selectorIdEEZNS1_21segmented_reduce_implIS3_PKdPdPKldN6hipcub16HIPCUB_304000_NS6detail27convert_result_type_wrapperIS8_S9_N2at6native12_GLOBAL__N_19CustomMaxEEEEE10hipError_tPvRmT0_T1_jT2_SQ_T4_T3_P12ihipStream_tbEUlT_E_NS1_11comp_targetILNS1_3genE10ELNS1_11target_archE1201ELNS1_3gpuE5ELNS1_3repE0EEENS1_30default_config_static_selectorELNS0_4arch9wavefront6targetE0EEEvSP_
		.amdhsa_group_segment_fixed_size 0
		.amdhsa_private_segment_fixed_size 0
		.amdhsa_kernarg_size 56
		.amdhsa_user_sgpr_count 6
		.amdhsa_user_sgpr_private_segment_buffer 1
		.amdhsa_user_sgpr_dispatch_ptr 0
		.amdhsa_user_sgpr_queue_ptr 0
		.amdhsa_user_sgpr_kernarg_segment_ptr 1
		.amdhsa_user_sgpr_dispatch_id 0
		.amdhsa_user_sgpr_flat_scratch_init 0
		.amdhsa_user_sgpr_private_segment_size 0
		.amdhsa_wavefront_size32 1
		.amdhsa_uses_dynamic_stack 0
		.amdhsa_system_sgpr_private_segment_wavefront_offset 0
		.amdhsa_system_sgpr_workgroup_id_x 1
		.amdhsa_system_sgpr_workgroup_id_y 0
		.amdhsa_system_sgpr_workgroup_id_z 0
		.amdhsa_system_sgpr_workgroup_info 0
		.amdhsa_system_vgpr_workitem_id 0
		.amdhsa_next_free_vgpr 1
		.amdhsa_next_free_sgpr 1
		.amdhsa_reserve_vcc 0
		.amdhsa_reserve_flat_scratch 0
		.amdhsa_float_round_mode_32 0
		.amdhsa_float_round_mode_16_64 0
		.amdhsa_float_denorm_mode_32 3
		.amdhsa_float_denorm_mode_16_64 3
		.amdhsa_dx10_clamp 1
		.amdhsa_ieee_mode 1
		.amdhsa_fp16_overflow 0
		.amdhsa_workgroup_processor_mode 1
		.amdhsa_memory_ordered 1
		.amdhsa_forward_progress 1
		.amdhsa_shared_vgpr_count 0
		.amdhsa_exception_fp_ieee_invalid_op 0
		.amdhsa_exception_fp_denorm_src 0
		.amdhsa_exception_fp_ieee_div_zero 0
		.amdhsa_exception_fp_ieee_overflow 0
		.amdhsa_exception_fp_ieee_underflow 0
		.amdhsa_exception_fp_ieee_inexact 0
		.amdhsa_exception_int_div_zero 0
	.end_amdhsa_kernel
	.section	.text._ZN7rocprim17ROCPRIM_400000_NS6detail17trampoline_kernelINS0_14default_configENS1_32segmented_reduce_config_selectorIdEEZNS1_21segmented_reduce_implIS3_PKdPdPKldN6hipcub16HIPCUB_304000_NS6detail27convert_result_type_wrapperIS8_S9_N2at6native12_GLOBAL__N_19CustomMaxEEEEE10hipError_tPvRmT0_T1_jT2_SQ_T4_T3_P12ihipStream_tbEUlT_E_NS1_11comp_targetILNS1_3genE10ELNS1_11target_archE1201ELNS1_3gpuE5ELNS1_3repE0EEENS1_30default_config_static_selectorELNS0_4arch9wavefront6targetE0EEEvSP_,"axG",@progbits,_ZN7rocprim17ROCPRIM_400000_NS6detail17trampoline_kernelINS0_14default_configENS1_32segmented_reduce_config_selectorIdEEZNS1_21segmented_reduce_implIS3_PKdPdPKldN6hipcub16HIPCUB_304000_NS6detail27convert_result_type_wrapperIS8_S9_N2at6native12_GLOBAL__N_19CustomMaxEEEEE10hipError_tPvRmT0_T1_jT2_SQ_T4_T3_P12ihipStream_tbEUlT_E_NS1_11comp_targetILNS1_3genE10ELNS1_11target_archE1201ELNS1_3gpuE5ELNS1_3repE0EEENS1_30default_config_static_selectorELNS0_4arch9wavefront6targetE0EEEvSP_,comdat
.Lfunc_end147:
	.size	_ZN7rocprim17ROCPRIM_400000_NS6detail17trampoline_kernelINS0_14default_configENS1_32segmented_reduce_config_selectorIdEEZNS1_21segmented_reduce_implIS3_PKdPdPKldN6hipcub16HIPCUB_304000_NS6detail27convert_result_type_wrapperIS8_S9_N2at6native12_GLOBAL__N_19CustomMaxEEEEE10hipError_tPvRmT0_T1_jT2_SQ_T4_T3_P12ihipStream_tbEUlT_E_NS1_11comp_targetILNS1_3genE10ELNS1_11target_archE1201ELNS1_3gpuE5ELNS1_3repE0EEENS1_30default_config_static_selectorELNS0_4arch9wavefront6targetE0EEEvSP_, .Lfunc_end147-_ZN7rocprim17ROCPRIM_400000_NS6detail17trampoline_kernelINS0_14default_configENS1_32segmented_reduce_config_selectorIdEEZNS1_21segmented_reduce_implIS3_PKdPdPKldN6hipcub16HIPCUB_304000_NS6detail27convert_result_type_wrapperIS8_S9_N2at6native12_GLOBAL__N_19CustomMaxEEEEE10hipError_tPvRmT0_T1_jT2_SQ_T4_T3_P12ihipStream_tbEUlT_E_NS1_11comp_targetILNS1_3genE10ELNS1_11target_archE1201ELNS1_3gpuE5ELNS1_3repE0EEENS1_30default_config_static_selectorELNS0_4arch9wavefront6targetE0EEEvSP_
                                        ; -- End function
	.set _ZN7rocprim17ROCPRIM_400000_NS6detail17trampoline_kernelINS0_14default_configENS1_32segmented_reduce_config_selectorIdEEZNS1_21segmented_reduce_implIS3_PKdPdPKldN6hipcub16HIPCUB_304000_NS6detail27convert_result_type_wrapperIS8_S9_N2at6native12_GLOBAL__N_19CustomMaxEEEEE10hipError_tPvRmT0_T1_jT2_SQ_T4_T3_P12ihipStream_tbEUlT_E_NS1_11comp_targetILNS1_3genE10ELNS1_11target_archE1201ELNS1_3gpuE5ELNS1_3repE0EEENS1_30default_config_static_selectorELNS0_4arch9wavefront6targetE0EEEvSP_.num_vgpr, 0
	.set _ZN7rocprim17ROCPRIM_400000_NS6detail17trampoline_kernelINS0_14default_configENS1_32segmented_reduce_config_selectorIdEEZNS1_21segmented_reduce_implIS3_PKdPdPKldN6hipcub16HIPCUB_304000_NS6detail27convert_result_type_wrapperIS8_S9_N2at6native12_GLOBAL__N_19CustomMaxEEEEE10hipError_tPvRmT0_T1_jT2_SQ_T4_T3_P12ihipStream_tbEUlT_E_NS1_11comp_targetILNS1_3genE10ELNS1_11target_archE1201ELNS1_3gpuE5ELNS1_3repE0EEENS1_30default_config_static_selectorELNS0_4arch9wavefront6targetE0EEEvSP_.num_agpr, 0
	.set _ZN7rocprim17ROCPRIM_400000_NS6detail17trampoline_kernelINS0_14default_configENS1_32segmented_reduce_config_selectorIdEEZNS1_21segmented_reduce_implIS3_PKdPdPKldN6hipcub16HIPCUB_304000_NS6detail27convert_result_type_wrapperIS8_S9_N2at6native12_GLOBAL__N_19CustomMaxEEEEE10hipError_tPvRmT0_T1_jT2_SQ_T4_T3_P12ihipStream_tbEUlT_E_NS1_11comp_targetILNS1_3genE10ELNS1_11target_archE1201ELNS1_3gpuE5ELNS1_3repE0EEENS1_30default_config_static_selectorELNS0_4arch9wavefront6targetE0EEEvSP_.numbered_sgpr, 0
	.set _ZN7rocprim17ROCPRIM_400000_NS6detail17trampoline_kernelINS0_14default_configENS1_32segmented_reduce_config_selectorIdEEZNS1_21segmented_reduce_implIS3_PKdPdPKldN6hipcub16HIPCUB_304000_NS6detail27convert_result_type_wrapperIS8_S9_N2at6native12_GLOBAL__N_19CustomMaxEEEEE10hipError_tPvRmT0_T1_jT2_SQ_T4_T3_P12ihipStream_tbEUlT_E_NS1_11comp_targetILNS1_3genE10ELNS1_11target_archE1201ELNS1_3gpuE5ELNS1_3repE0EEENS1_30default_config_static_selectorELNS0_4arch9wavefront6targetE0EEEvSP_.num_named_barrier, 0
	.set _ZN7rocprim17ROCPRIM_400000_NS6detail17trampoline_kernelINS0_14default_configENS1_32segmented_reduce_config_selectorIdEEZNS1_21segmented_reduce_implIS3_PKdPdPKldN6hipcub16HIPCUB_304000_NS6detail27convert_result_type_wrapperIS8_S9_N2at6native12_GLOBAL__N_19CustomMaxEEEEE10hipError_tPvRmT0_T1_jT2_SQ_T4_T3_P12ihipStream_tbEUlT_E_NS1_11comp_targetILNS1_3genE10ELNS1_11target_archE1201ELNS1_3gpuE5ELNS1_3repE0EEENS1_30default_config_static_selectorELNS0_4arch9wavefront6targetE0EEEvSP_.private_seg_size, 0
	.set _ZN7rocprim17ROCPRIM_400000_NS6detail17trampoline_kernelINS0_14default_configENS1_32segmented_reduce_config_selectorIdEEZNS1_21segmented_reduce_implIS3_PKdPdPKldN6hipcub16HIPCUB_304000_NS6detail27convert_result_type_wrapperIS8_S9_N2at6native12_GLOBAL__N_19CustomMaxEEEEE10hipError_tPvRmT0_T1_jT2_SQ_T4_T3_P12ihipStream_tbEUlT_E_NS1_11comp_targetILNS1_3genE10ELNS1_11target_archE1201ELNS1_3gpuE5ELNS1_3repE0EEENS1_30default_config_static_selectorELNS0_4arch9wavefront6targetE0EEEvSP_.uses_vcc, 0
	.set _ZN7rocprim17ROCPRIM_400000_NS6detail17trampoline_kernelINS0_14default_configENS1_32segmented_reduce_config_selectorIdEEZNS1_21segmented_reduce_implIS3_PKdPdPKldN6hipcub16HIPCUB_304000_NS6detail27convert_result_type_wrapperIS8_S9_N2at6native12_GLOBAL__N_19CustomMaxEEEEE10hipError_tPvRmT0_T1_jT2_SQ_T4_T3_P12ihipStream_tbEUlT_E_NS1_11comp_targetILNS1_3genE10ELNS1_11target_archE1201ELNS1_3gpuE5ELNS1_3repE0EEENS1_30default_config_static_selectorELNS0_4arch9wavefront6targetE0EEEvSP_.uses_flat_scratch, 0
	.set _ZN7rocprim17ROCPRIM_400000_NS6detail17trampoline_kernelINS0_14default_configENS1_32segmented_reduce_config_selectorIdEEZNS1_21segmented_reduce_implIS3_PKdPdPKldN6hipcub16HIPCUB_304000_NS6detail27convert_result_type_wrapperIS8_S9_N2at6native12_GLOBAL__N_19CustomMaxEEEEE10hipError_tPvRmT0_T1_jT2_SQ_T4_T3_P12ihipStream_tbEUlT_E_NS1_11comp_targetILNS1_3genE10ELNS1_11target_archE1201ELNS1_3gpuE5ELNS1_3repE0EEENS1_30default_config_static_selectorELNS0_4arch9wavefront6targetE0EEEvSP_.has_dyn_sized_stack, 0
	.set _ZN7rocprim17ROCPRIM_400000_NS6detail17trampoline_kernelINS0_14default_configENS1_32segmented_reduce_config_selectorIdEEZNS1_21segmented_reduce_implIS3_PKdPdPKldN6hipcub16HIPCUB_304000_NS6detail27convert_result_type_wrapperIS8_S9_N2at6native12_GLOBAL__N_19CustomMaxEEEEE10hipError_tPvRmT0_T1_jT2_SQ_T4_T3_P12ihipStream_tbEUlT_E_NS1_11comp_targetILNS1_3genE10ELNS1_11target_archE1201ELNS1_3gpuE5ELNS1_3repE0EEENS1_30default_config_static_selectorELNS0_4arch9wavefront6targetE0EEEvSP_.has_recursion, 0
	.set _ZN7rocprim17ROCPRIM_400000_NS6detail17trampoline_kernelINS0_14default_configENS1_32segmented_reduce_config_selectorIdEEZNS1_21segmented_reduce_implIS3_PKdPdPKldN6hipcub16HIPCUB_304000_NS6detail27convert_result_type_wrapperIS8_S9_N2at6native12_GLOBAL__N_19CustomMaxEEEEE10hipError_tPvRmT0_T1_jT2_SQ_T4_T3_P12ihipStream_tbEUlT_E_NS1_11comp_targetILNS1_3genE10ELNS1_11target_archE1201ELNS1_3gpuE5ELNS1_3repE0EEENS1_30default_config_static_selectorELNS0_4arch9wavefront6targetE0EEEvSP_.has_indirect_call, 0
	.section	.AMDGPU.csdata,"",@progbits
; Kernel info:
; codeLenInByte = 0
; TotalNumSgprs: 0
; NumVgprs: 0
; ScratchSize: 0
; MemoryBound: 0
; FloatMode: 240
; IeeeMode: 1
; LDSByteSize: 0 bytes/workgroup (compile time only)
; SGPRBlocks: 0
; VGPRBlocks: 0
; NumSGPRsForWavesPerEU: 1
; NumVGPRsForWavesPerEU: 1
; Occupancy: 16
; WaveLimiterHint : 0
; COMPUTE_PGM_RSRC2:SCRATCH_EN: 0
; COMPUTE_PGM_RSRC2:USER_SGPR: 6
; COMPUTE_PGM_RSRC2:TRAP_HANDLER: 0
; COMPUTE_PGM_RSRC2:TGID_X_EN: 1
; COMPUTE_PGM_RSRC2:TGID_Y_EN: 0
; COMPUTE_PGM_RSRC2:TGID_Z_EN: 0
; COMPUTE_PGM_RSRC2:TIDIG_COMP_CNT: 0
	.section	.text._ZN7rocprim17ROCPRIM_400000_NS6detail17trampoline_kernelINS0_14default_configENS1_32segmented_reduce_config_selectorIdEEZNS1_21segmented_reduce_implIS3_PKdPdPKldN6hipcub16HIPCUB_304000_NS6detail27convert_result_type_wrapperIS8_S9_N2at6native12_GLOBAL__N_19CustomMaxEEEEE10hipError_tPvRmT0_T1_jT2_SQ_T4_T3_P12ihipStream_tbEUlT_E_NS1_11comp_targetILNS1_3genE4ELNS1_11target_archE910ELNS1_3gpuE8ELNS1_3repE0EEENS1_30default_config_static_selectorELNS0_4arch9wavefront6targetE0EEEvSP_,"axG",@progbits,_ZN7rocprim17ROCPRIM_400000_NS6detail17trampoline_kernelINS0_14default_configENS1_32segmented_reduce_config_selectorIdEEZNS1_21segmented_reduce_implIS3_PKdPdPKldN6hipcub16HIPCUB_304000_NS6detail27convert_result_type_wrapperIS8_S9_N2at6native12_GLOBAL__N_19CustomMaxEEEEE10hipError_tPvRmT0_T1_jT2_SQ_T4_T3_P12ihipStream_tbEUlT_E_NS1_11comp_targetILNS1_3genE4ELNS1_11target_archE910ELNS1_3gpuE8ELNS1_3repE0EEENS1_30default_config_static_selectorELNS0_4arch9wavefront6targetE0EEEvSP_,comdat
	.globl	_ZN7rocprim17ROCPRIM_400000_NS6detail17trampoline_kernelINS0_14default_configENS1_32segmented_reduce_config_selectorIdEEZNS1_21segmented_reduce_implIS3_PKdPdPKldN6hipcub16HIPCUB_304000_NS6detail27convert_result_type_wrapperIS8_S9_N2at6native12_GLOBAL__N_19CustomMaxEEEEE10hipError_tPvRmT0_T1_jT2_SQ_T4_T3_P12ihipStream_tbEUlT_E_NS1_11comp_targetILNS1_3genE4ELNS1_11target_archE910ELNS1_3gpuE8ELNS1_3repE0EEENS1_30default_config_static_selectorELNS0_4arch9wavefront6targetE0EEEvSP_ ; -- Begin function _ZN7rocprim17ROCPRIM_400000_NS6detail17trampoline_kernelINS0_14default_configENS1_32segmented_reduce_config_selectorIdEEZNS1_21segmented_reduce_implIS3_PKdPdPKldN6hipcub16HIPCUB_304000_NS6detail27convert_result_type_wrapperIS8_S9_N2at6native12_GLOBAL__N_19CustomMaxEEEEE10hipError_tPvRmT0_T1_jT2_SQ_T4_T3_P12ihipStream_tbEUlT_E_NS1_11comp_targetILNS1_3genE4ELNS1_11target_archE910ELNS1_3gpuE8ELNS1_3repE0EEENS1_30default_config_static_selectorELNS0_4arch9wavefront6targetE0EEEvSP_
	.p2align	8
	.type	_ZN7rocprim17ROCPRIM_400000_NS6detail17trampoline_kernelINS0_14default_configENS1_32segmented_reduce_config_selectorIdEEZNS1_21segmented_reduce_implIS3_PKdPdPKldN6hipcub16HIPCUB_304000_NS6detail27convert_result_type_wrapperIS8_S9_N2at6native12_GLOBAL__N_19CustomMaxEEEEE10hipError_tPvRmT0_T1_jT2_SQ_T4_T3_P12ihipStream_tbEUlT_E_NS1_11comp_targetILNS1_3genE4ELNS1_11target_archE910ELNS1_3gpuE8ELNS1_3repE0EEENS1_30default_config_static_selectorELNS0_4arch9wavefront6targetE0EEEvSP_,@function
_ZN7rocprim17ROCPRIM_400000_NS6detail17trampoline_kernelINS0_14default_configENS1_32segmented_reduce_config_selectorIdEEZNS1_21segmented_reduce_implIS3_PKdPdPKldN6hipcub16HIPCUB_304000_NS6detail27convert_result_type_wrapperIS8_S9_N2at6native12_GLOBAL__N_19CustomMaxEEEEE10hipError_tPvRmT0_T1_jT2_SQ_T4_T3_P12ihipStream_tbEUlT_E_NS1_11comp_targetILNS1_3genE4ELNS1_11target_archE910ELNS1_3gpuE8ELNS1_3repE0EEENS1_30default_config_static_selectorELNS0_4arch9wavefront6targetE0EEEvSP_: ; @_ZN7rocprim17ROCPRIM_400000_NS6detail17trampoline_kernelINS0_14default_configENS1_32segmented_reduce_config_selectorIdEEZNS1_21segmented_reduce_implIS3_PKdPdPKldN6hipcub16HIPCUB_304000_NS6detail27convert_result_type_wrapperIS8_S9_N2at6native12_GLOBAL__N_19CustomMaxEEEEE10hipError_tPvRmT0_T1_jT2_SQ_T4_T3_P12ihipStream_tbEUlT_E_NS1_11comp_targetILNS1_3genE4ELNS1_11target_archE910ELNS1_3gpuE8ELNS1_3repE0EEENS1_30default_config_static_selectorELNS0_4arch9wavefront6targetE0EEEvSP_
; %bb.0:
	.section	.rodata,"a",@progbits
	.p2align	6, 0x0
	.amdhsa_kernel _ZN7rocprim17ROCPRIM_400000_NS6detail17trampoline_kernelINS0_14default_configENS1_32segmented_reduce_config_selectorIdEEZNS1_21segmented_reduce_implIS3_PKdPdPKldN6hipcub16HIPCUB_304000_NS6detail27convert_result_type_wrapperIS8_S9_N2at6native12_GLOBAL__N_19CustomMaxEEEEE10hipError_tPvRmT0_T1_jT2_SQ_T4_T3_P12ihipStream_tbEUlT_E_NS1_11comp_targetILNS1_3genE4ELNS1_11target_archE910ELNS1_3gpuE8ELNS1_3repE0EEENS1_30default_config_static_selectorELNS0_4arch9wavefront6targetE0EEEvSP_
		.amdhsa_group_segment_fixed_size 0
		.amdhsa_private_segment_fixed_size 0
		.amdhsa_kernarg_size 56
		.amdhsa_user_sgpr_count 6
		.amdhsa_user_sgpr_private_segment_buffer 1
		.amdhsa_user_sgpr_dispatch_ptr 0
		.amdhsa_user_sgpr_queue_ptr 0
		.amdhsa_user_sgpr_kernarg_segment_ptr 1
		.amdhsa_user_sgpr_dispatch_id 0
		.amdhsa_user_sgpr_flat_scratch_init 0
		.amdhsa_user_sgpr_private_segment_size 0
		.amdhsa_wavefront_size32 1
		.amdhsa_uses_dynamic_stack 0
		.amdhsa_system_sgpr_private_segment_wavefront_offset 0
		.amdhsa_system_sgpr_workgroup_id_x 1
		.amdhsa_system_sgpr_workgroup_id_y 0
		.amdhsa_system_sgpr_workgroup_id_z 0
		.amdhsa_system_sgpr_workgroup_info 0
		.amdhsa_system_vgpr_workitem_id 0
		.amdhsa_next_free_vgpr 1
		.amdhsa_next_free_sgpr 1
		.amdhsa_reserve_vcc 0
		.amdhsa_reserve_flat_scratch 0
		.amdhsa_float_round_mode_32 0
		.amdhsa_float_round_mode_16_64 0
		.amdhsa_float_denorm_mode_32 3
		.amdhsa_float_denorm_mode_16_64 3
		.amdhsa_dx10_clamp 1
		.amdhsa_ieee_mode 1
		.amdhsa_fp16_overflow 0
		.amdhsa_workgroup_processor_mode 1
		.amdhsa_memory_ordered 1
		.amdhsa_forward_progress 1
		.amdhsa_shared_vgpr_count 0
		.amdhsa_exception_fp_ieee_invalid_op 0
		.amdhsa_exception_fp_denorm_src 0
		.amdhsa_exception_fp_ieee_div_zero 0
		.amdhsa_exception_fp_ieee_overflow 0
		.amdhsa_exception_fp_ieee_underflow 0
		.amdhsa_exception_fp_ieee_inexact 0
		.amdhsa_exception_int_div_zero 0
	.end_amdhsa_kernel
	.section	.text._ZN7rocprim17ROCPRIM_400000_NS6detail17trampoline_kernelINS0_14default_configENS1_32segmented_reduce_config_selectorIdEEZNS1_21segmented_reduce_implIS3_PKdPdPKldN6hipcub16HIPCUB_304000_NS6detail27convert_result_type_wrapperIS8_S9_N2at6native12_GLOBAL__N_19CustomMaxEEEEE10hipError_tPvRmT0_T1_jT2_SQ_T4_T3_P12ihipStream_tbEUlT_E_NS1_11comp_targetILNS1_3genE4ELNS1_11target_archE910ELNS1_3gpuE8ELNS1_3repE0EEENS1_30default_config_static_selectorELNS0_4arch9wavefront6targetE0EEEvSP_,"axG",@progbits,_ZN7rocprim17ROCPRIM_400000_NS6detail17trampoline_kernelINS0_14default_configENS1_32segmented_reduce_config_selectorIdEEZNS1_21segmented_reduce_implIS3_PKdPdPKldN6hipcub16HIPCUB_304000_NS6detail27convert_result_type_wrapperIS8_S9_N2at6native12_GLOBAL__N_19CustomMaxEEEEE10hipError_tPvRmT0_T1_jT2_SQ_T4_T3_P12ihipStream_tbEUlT_E_NS1_11comp_targetILNS1_3genE4ELNS1_11target_archE910ELNS1_3gpuE8ELNS1_3repE0EEENS1_30default_config_static_selectorELNS0_4arch9wavefront6targetE0EEEvSP_,comdat
.Lfunc_end148:
	.size	_ZN7rocprim17ROCPRIM_400000_NS6detail17trampoline_kernelINS0_14default_configENS1_32segmented_reduce_config_selectorIdEEZNS1_21segmented_reduce_implIS3_PKdPdPKldN6hipcub16HIPCUB_304000_NS6detail27convert_result_type_wrapperIS8_S9_N2at6native12_GLOBAL__N_19CustomMaxEEEEE10hipError_tPvRmT0_T1_jT2_SQ_T4_T3_P12ihipStream_tbEUlT_E_NS1_11comp_targetILNS1_3genE4ELNS1_11target_archE910ELNS1_3gpuE8ELNS1_3repE0EEENS1_30default_config_static_selectorELNS0_4arch9wavefront6targetE0EEEvSP_, .Lfunc_end148-_ZN7rocprim17ROCPRIM_400000_NS6detail17trampoline_kernelINS0_14default_configENS1_32segmented_reduce_config_selectorIdEEZNS1_21segmented_reduce_implIS3_PKdPdPKldN6hipcub16HIPCUB_304000_NS6detail27convert_result_type_wrapperIS8_S9_N2at6native12_GLOBAL__N_19CustomMaxEEEEE10hipError_tPvRmT0_T1_jT2_SQ_T4_T3_P12ihipStream_tbEUlT_E_NS1_11comp_targetILNS1_3genE4ELNS1_11target_archE910ELNS1_3gpuE8ELNS1_3repE0EEENS1_30default_config_static_selectorELNS0_4arch9wavefront6targetE0EEEvSP_
                                        ; -- End function
	.set _ZN7rocprim17ROCPRIM_400000_NS6detail17trampoline_kernelINS0_14default_configENS1_32segmented_reduce_config_selectorIdEEZNS1_21segmented_reduce_implIS3_PKdPdPKldN6hipcub16HIPCUB_304000_NS6detail27convert_result_type_wrapperIS8_S9_N2at6native12_GLOBAL__N_19CustomMaxEEEEE10hipError_tPvRmT0_T1_jT2_SQ_T4_T3_P12ihipStream_tbEUlT_E_NS1_11comp_targetILNS1_3genE4ELNS1_11target_archE910ELNS1_3gpuE8ELNS1_3repE0EEENS1_30default_config_static_selectorELNS0_4arch9wavefront6targetE0EEEvSP_.num_vgpr, 0
	.set _ZN7rocprim17ROCPRIM_400000_NS6detail17trampoline_kernelINS0_14default_configENS1_32segmented_reduce_config_selectorIdEEZNS1_21segmented_reduce_implIS3_PKdPdPKldN6hipcub16HIPCUB_304000_NS6detail27convert_result_type_wrapperIS8_S9_N2at6native12_GLOBAL__N_19CustomMaxEEEEE10hipError_tPvRmT0_T1_jT2_SQ_T4_T3_P12ihipStream_tbEUlT_E_NS1_11comp_targetILNS1_3genE4ELNS1_11target_archE910ELNS1_3gpuE8ELNS1_3repE0EEENS1_30default_config_static_selectorELNS0_4arch9wavefront6targetE0EEEvSP_.num_agpr, 0
	.set _ZN7rocprim17ROCPRIM_400000_NS6detail17trampoline_kernelINS0_14default_configENS1_32segmented_reduce_config_selectorIdEEZNS1_21segmented_reduce_implIS3_PKdPdPKldN6hipcub16HIPCUB_304000_NS6detail27convert_result_type_wrapperIS8_S9_N2at6native12_GLOBAL__N_19CustomMaxEEEEE10hipError_tPvRmT0_T1_jT2_SQ_T4_T3_P12ihipStream_tbEUlT_E_NS1_11comp_targetILNS1_3genE4ELNS1_11target_archE910ELNS1_3gpuE8ELNS1_3repE0EEENS1_30default_config_static_selectorELNS0_4arch9wavefront6targetE0EEEvSP_.numbered_sgpr, 0
	.set _ZN7rocprim17ROCPRIM_400000_NS6detail17trampoline_kernelINS0_14default_configENS1_32segmented_reduce_config_selectorIdEEZNS1_21segmented_reduce_implIS3_PKdPdPKldN6hipcub16HIPCUB_304000_NS6detail27convert_result_type_wrapperIS8_S9_N2at6native12_GLOBAL__N_19CustomMaxEEEEE10hipError_tPvRmT0_T1_jT2_SQ_T4_T3_P12ihipStream_tbEUlT_E_NS1_11comp_targetILNS1_3genE4ELNS1_11target_archE910ELNS1_3gpuE8ELNS1_3repE0EEENS1_30default_config_static_selectorELNS0_4arch9wavefront6targetE0EEEvSP_.num_named_barrier, 0
	.set _ZN7rocprim17ROCPRIM_400000_NS6detail17trampoline_kernelINS0_14default_configENS1_32segmented_reduce_config_selectorIdEEZNS1_21segmented_reduce_implIS3_PKdPdPKldN6hipcub16HIPCUB_304000_NS6detail27convert_result_type_wrapperIS8_S9_N2at6native12_GLOBAL__N_19CustomMaxEEEEE10hipError_tPvRmT0_T1_jT2_SQ_T4_T3_P12ihipStream_tbEUlT_E_NS1_11comp_targetILNS1_3genE4ELNS1_11target_archE910ELNS1_3gpuE8ELNS1_3repE0EEENS1_30default_config_static_selectorELNS0_4arch9wavefront6targetE0EEEvSP_.private_seg_size, 0
	.set _ZN7rocprim17ROCPRIM_400000_NS6detail17trampoline_kernelINS0_14default_configENS1_32segmented_reduce_config_selectorIdEEZNS1_21segmented_reduce_implIS3_PKdPdPKldN6hipcub16HIPCUB_304000_NS6detail27convert_result_type_wrapperIS8_S9_N2at6native12_GLOBAL__N_19CustomMaxEEEEE10hipError_tPvRmT0_T1_jT2_SQ_T4_T3_P12ihipStream_tbEUlT_E_NS1_11comp_targetILNS1_3genE4ELNS1_11target_archE910ELNS1_3gpuE8ELNS1_3repE0EEENS1_30default_config_static_selectorELNS0_4arch9wavefront6targetE0EEEvSP_.uses_vcc, 0
	.set _ZN7rocprim17ROCPRIM_400000_NS6detail17trampoline_kernelINS0_14default_configENS1_32segmented_reduce_config_selectorIdEEZNS1_21segmented_reduce_implIS3_PKdPdPKldN6hipcub16HIPCUB_304000_NS6detail27convert_result_type_wrapperIS8_S9_N2at6native12_GLOBAL__N_19CustomMaxEEEEE10hipError_tPvRmT0_T1_jT2_SQ_T4_T3_P12ihipStream_tbEUlT_E_NS1_11comp_targetILNS1_3genE4ELNS1_11target_archE910ELNS1_3gpuE8ELNS1_3repE0EEENS1_30default_config_static_selectorELNS0_4arch9wavefront6targetE0EEEvSP_.uses_flat_scratch, 0
	.set _ZN7rocprim17ROCPRIM_400000_NS6detail17trampoline_kernelINS0_14default_configENS1_32segmented_reduce_config_selectorIdEEZNS1_21segmented_reduce_implIS3_PKdPdPKldN6hipcub16HIPCUB_304000_NS6detail27convert_result_type_wrapperIS8_S9_N2at6native12_GLOBAL__N_19CustomMaxEEEEE10hipError_tPvRmT0_T1_jT2_SQ_T4_T3_P12ihipStream_tbEUlT_E_NS1_11comp_targetILNS1_3genE4ELNS1_11target_archE910ELNS1_3gpuE8ELNS1_3repE0EEENS1_30default_config_static_selectorELNS0_4arch9wavefront6targetE0EEEvSP_.has_dyn_sized_stack, 0
	.set _ZN7rocprim17ROCPRIM_400000_NS6detail17trampoline_kernelINS0_14default_configENS1_32segmented_reduce_config_selectorIdEEZNS1_21segmented_reduce_implIS3_PKdPdPKldN6hipcub16HIPCUB_304000_NS6detail27convert_result_type_wrapperIS8_S9_N2at6native12_GLOBAL__N_19CustomMaxEEEEE10hipError_tPvRmT0_T1_jT2_SQ_T4_T3_P12ihipStream_tbEUlT_E_NS1_11comp_targetILNS1_3genE4ELNS1_11target_archE910ELNS1_3gpuE8ELNS1_3repE0EEENS1_30default_config_static_selectorELNS0_4arch9wavefront6targetE0EEEvSP_.has_recursion, 0
	.set _ZN7rocprim17ROCPRIM_400000_NS6detail17trampoline_kernelINS0_14default_configENS1_32segmented_reduce_config_selectorIdEEZNS1_21segmented_reduce_implIS3_PKdPdPKldN6hipcub16HIPCUB_304000_NS6detail27convert_result_type_wrapperIS8_S9_N2at6native12_GLOBAL__N_19CustomMaxEEEEE10hipError_tPvRmT0_T1_jT2_SQ_T4_T3_P12ihipStream_tbEUlT_E_NS1_11comp_targetILNS1_3genE4ELNS1_11target_archE910ELNS1_3gpuE8ELNS1_3repE0EEENS1_30default_config_static_selectorELNS0_4arch9wavefront6targetE0EEEvSP_.has_indirect_call, 0
	.section	.AMDGPU.csdata,"",@progbits
; Kernel info:
; codeLenInByte = 0
; TotalNumSgprs: 0
; NumVgprs: 0
; ScratchSize: 0
; MemoryBound: 0
; FloatMode: 240
; IeeeMode: 1
; LDSByteSize: 0 bytes/workgroup (compile time only)
; SGPRBlocks: 0
; VGPRBlocks: 0
; NumSGPRsForWavesPerEU: 1
; NumVGPRsForWavesPerEU: 1
; Occupancy: 16
; WaveLimiterHint : 0
; COMPUTE_PGM_RSRC2:SCRATCH_EN: 0
; COMPUTE_PGM_RSRC2:USER_SGPR: 6
; COMPUTE_PGM_RSRC2:TRAP_HANDLER: 0
; COMPUTE_PGM_RSRC2:TGID_X_EN: 1
; COMPUTE_PGM_RSRC2:TGID_Y_EN: 0
; COMPUTE_PGM_RSRC2:TGID_Z_EN: 0
; COMPUTE_PGM_RSRC2:TIDIG_COMP_CNT: 0
	.section	.text._ZN7rocprim17ROCPRIM_400000_NS6detail17trampoline_kernelINS0_14default_configENS1_32segmented_reduce_config_selectorIdEEZNS1_21segmented_reduce_implIS3_PKdPdPKldN6hipcub16HIPCUB_304000_NS6detail27convert_result_type_wrapperIS8_S9_N2at6native12_GLOBAL__N_19CustomMaxEEEEE10hipError_tPvRmT0_T1_jT2_SQ_T4_T3_P12ihipStream_tbEUlT_E_NS1_11comp_targetILNS1_3genE3ELNS1_11target_archE908ELNS1_3gpuE7ELNS1_3repE0EEENS1_30default_config_static_selectorELNS0_4arch9wavefront6targetE0EEEvSP_,"axG",@progbits,_ZN7rocprim17ROCPRIM_400000_NS6detail17trampoline_kernelINS0_14default_configENS1_32segmented_reduce_config_selectorIdEEZNS1_21segmented_reduce_implIS3_PKdPdPKldN6hipcub16HIPCUB_304000_NS6detail27convert_result_type_wrapperIS8_S9_N2at6native12_GLOBAL__N_19CustomMaxEEEEE10hipError_tPvRmT0_T1_jT2_SQ_T4_T3_P12ihipStream_tbEUlT_E_NS1_11comp_targetILNS1_3genE3ELNS1_11target_archE908ELNS1_3gpuE7ELNS1_3repE0EEENS1_30default_config_static_selectorELNS0_4arch9wavefront6targetE0EEEvSP_,comdat
	.globl	_ZN7rocprim17ROCPRIM_400000_NS6detail17trampoline_kernelINS0_14default_configENS1_32segmented_reduce_config_selectorIdEEZNS1_21segmented_reduce_implIS3_PKdPdPKldN6hipcub16HIPCUB_304000_NS6detail27convert_result_type_wrapperIS8_S9_N2at6native12_GLOBAL__N_19CustomMaxEEEEE10hipError_tPvRmT0_T1_jT2_SQ_T4_T3_P12ihipStream_tbEUlT_E_NS1_11comp_targetILNS1_3genE3ELNS1_11target_archE908ELNS1_3gpuE7ELNS1_3repE0EEENS1_30default_config_static_selectorELNS0_4arch9wavefront6targetE0EEEvSP_ ; -- Begin function _ZN7rocprim17ROCPRIM_400000_NS6detail17trampoline_kernelINS0_14default_configENS1_32segmented_reduce_config_selectorIdEEZNS1_21segmented_reduce_implIS3_PKdPdPKldN6hipcub16HIPCUB_304000_NS6detail27convert_result_type_wrapperIS8_S9_N2at6native12_GLOBAL__N_19CustomMaxEEEEE10hipError_tPvRmT0_T1_jT2_SQ_T4_T3_P12ihipStream_tbEUlT_E_NS1_11comp_targetILNS1_3genE3ELNS1_11target_archE908ELNS1_3gpuE7ELNS1_3repE0EEENS1_30default_config_static_selectorELNS0_4arch9wavefront6targetE0EEEvSP_
	.p2align	8
	.type	_ZN7rocprim17ROCPRIM_400000_NS6detail17trampoline_kernelINS0_14default_configENS1_32segmented_reduce_config_selectorIdEEZNS1_21segmented_reduce_implIS3_PKdPdPKldN6hipcub16HIPCUB_304000_NS6detail27convert_result_type_wrapperIS8_S9_N2at6native12_GLOBAL__N_19CustomMaxEEEEE10hipError_tPvRmT0_T1_jT2_SQ_T4_T3_P12ihipStream_tbEUlT_E_NS1_11comp_targetILNS1_3genE3ELNS1_11target_archE908ELNS1_3gpuE7ELNS1_3repE0EEENS1_30default_config_static_selectorELNS0_4arch9wavefront6targetE0EEEvSP_,@function
_ZN7rocprim17ROCPRIM_400000_NS6detail17trampoline_kernelINS0_14default_configENS1_32segmented_reduce_config_selectorIdEEZNS1_21segmented_reduce_implIS3_PKdPdPKldN6hipcub16HIPCUB_304000_NS6detail27convert_result_type_wrapperIS8_S9_N2at6native12_GLOBAL__N_19CustomMaxEEEEE10hipError_tPvRmT0_T1_jT2_SQ_T4_T3_P12ihipStream_tbEUlT_E_NS1_11comp_targetILNS1_3genE3ELNS1_11target_archE908ELNS1_3gpuE7ELNS1_3repE0EEENS1_30default_config_static_selectorELNS0_4arch9wavefront6targetE0EEEvSP_: ; @_ZN7rocprim17ROCPRIM_400000_NS6detail17trampoline_kernelINS0_14default_configENS1_32segmented_reduce_config_selectorIdEEZNS1_21segmented_reduce_implIS3_PKdPdPKldN6hipcub16HIPCUB_304000_NS6detail27convert_result_type_wrapperIS8_S9_N2at6native12_GLOBAL__N_19CustomMaxEEEEE10hipError_tPvRmT0_T1_jT2_SQ_T4_T3_P12ihipStream_tbEUlT_E_NS1_11comp_targetILNS1_3genE3ELNS1_11target_archE908ELNS1_3gpuE7ELNS1_3repE0EEENS1_30default_config_static_selectorELNS0_4arch9wavefront6targetE0EEEvSP_
; %bb.0:
	.section	.rodata,"a",@progbits
	.p2align	6, 0x0
	.amdhsa_kernel _ZN7rocprim17ROCPRIM_400000_NS6detail17trampoline_kernelINS0_14default_configENS1_32segmented_reduce_config_selectorIdEEZNS1_21segmented_reduce_implIS3_PKdPdPKldN6hipcub16HIPCUB_304000_NS6detail27convert_result_type_wrapperIS8_S9_N2at6native12_GLOBAL__N_19CustomMaxEEEEE10hipError_tPvRmT0_T1_jT2_SQ_T4_T3_P12ihipStream_tbEUlT_E_NS1_11comp_targetILNS1_3genE3ELNS1_11target_archE908ELNS1_3gpuE7ELNS1_3repE0EEENS1_30default_config_static_selectorELNS0_4arch9wavefront6targetE0EEEvSP_
		.amdhsa_group_segment_fixed_size 0
		.amdhsa_private_segment_fixed_size 0
		.amdhsa_kernarg_size 56
		.amdhsa_user_sgpr_count 6
		.amdhsa_user_sgpr_private_segment_buffer 1
		.amdhsa_user_sgpr_dispatch_ptr 0
		.amdhsa_user_sgpr_queue_ptr 0
		.amdhsa_user_sgpr_kernarg_segment_ptr 1
		.amdhsa_user_sgpr_dispatch_id 0
		.amdhsa_user_sgpr_flat_scratch_init 0
		.amdhsa_user_sgpr_private_segment_size 0
		.amdhsa_wavefront_size32 1
		.amdhsa_uses_dynamic_stack 0
		.amdhsa_system_sgpr_private_segment_wavefront_offset 0
		.amdhsa_system_sgpr_workgroup_id_x 1
		.amdhsa_system_sgpr_workgroup_id_y 0
		.amdhsa_system_sgpr_workgroup_id_z 0
		.amdhsa_system_sgpr_workgroup_info 0
		.amdhsa_system_vgpr_workitem_id 0
		.amdhsa_next_free_vgpr 1
		.amdhsa_next_free_sgpr 1
		.amdhsa_reserve_vcc 0
		.amdhsa_reserve_flat_scratch 0
		.amdhsa_float_round_mode_32 0
		.amdhsa_float_round_mode_16_64 0
		.amdhsa_float_denorm_mode_32 3
		.amdhsa_float_denorm_mode_16_64 3
		.amdhsa_dx10_clamp 1
		.amdhsa_ieee_mode 1
		.amdhsa_fp16_overflow 0
		.amdhsa_workgroup_processor_mode 1
		.amdhsa_memory_ordered 1
		.amdhsa_forward_progress 1
		.amdhsa_shared_vgpr_count 0
		.amdhsa_exception_fp_ieee_invalid_op 0
		.amdhsa_exception_fp_denorm_src 0
		.amdhsa_exception_fp_ieee_div_zero 0
		.amdhsa_exception_fp_ieee_overflow 0
		.amdhsa_exception_fp_ieee_underflow 0
		.amdhsa_exception_fp_ieee_inexact 0
		.amdhsa_exception_int_div_zero 0
	.end_amdhsa_kernel
	.section	.text._ZN7rocprim17ROCPRIM_400000_NS6detail17trampoline_kernelINS0_14default_configENS1_32segmented_reduce_config_selectorIdEEZNS1_21segmented_reduce_implIS3_PKdPdPKldN6hipcub16HIPCUB_304000_NS6detail27convert_result_type_wrapperIS8_S9_N2at6native12_GLOBAL__N_19CustomMaxEEEEE10hipError_tPvRmT0_T1_jT2_SQ_T4_T3_P12ihipStream_tbEUlT_E_NS1_11comp_targetILNS1_3genE3ELNS1_11target_archE908ELNS1_3gpuE7ELNS1_3repE0EEENS1_30default_config_static_selectorELNS0_4arch9wavefront6targetE0EEEvSP_,"axG",@progbits,_ZN7rocprim17ROCPRIM_400000_NS6detail17trampoline_kernelINS0_14default_configENS1_32segmented_reduce_config_selectorIdEEZNS1_21segmented_reduce_implIS3_PKdPdPKldN6hipcub16HIPCUB_304000_NS6detail27convert_result_type_wrapperIS8_S9_N2at6native12_GLOBAL__N_19CustomMaxEEEEE10hipError_tPvRmT0_T1_jT2_SQ_T4_T3_P12ihipStream_tbEUlT_E_NS1_11comp_targetILNS1_3genE3ELNS1_11target_archE908ELNS1_3gpuE7ELNS1_3repE0EEENS1_30default_config_static_selectorELNS0_4arch9wavefront6targetE0EEEvSP_,comdat
.Lfunc_end149:
	.size	_ZN7rocprim17ROCPRIM_400000_NS6detail17trampoline_kernelINS0_14default_configENS1_32segmented_reduce_config_selectorIdEEZNS1_21segmented_reduce_implIS3_PKdPdPKldN6hipcub16HIPCUB_304000_NS6detail27convert_result_type_wrapperIS8_S9_N2at6native12_GLOBAL__N_19CustomMaxEEEEE10hipError_tPvRmT0_T1_jT2_SQ_T4_T3_P12ihipStream_tbEUlT_E_NS1_11comp_targetILNS1_3genE3ELNS1_11target_archE908ELNS1_3gpuE7ELNS1_3repE0EEENS1_30default_config_static_selectorELNS0_4arch9wavefront6targetE0EEEvSP_, .Lfunc_end149-_ZN7rocprim17ROCPRIM_400000_NS6detail17trampoline_kernelINS0_14default_configENS1_32segmented_reduce_config_selectorIdEEZNS1_21segmented_reduce_implIS3_PKdPdPKldN6hipcub16HIPCUB_304000_NS6detail27convert_result_type_wrapperIS8_S9_N2at6native12_GLOBAL__N_19CustomMaxEEEEE10hipError_tPvRmT0_T1_jT2_SQ_T4_T3_P12ihipStream_tbEUlT_E_NS1_11comp_targetILNS1_3genE3ELNS1_11target_archE908ELNS1_3gpuE7ELNS1_3repE0EEENS1_30default_config_static_selectorELNS0_4arch9wavefront6targetE0EEEvSP_
                                        ; -- End function
	.set _ZN7rocprim17ROCPRIM_400000_NS6detail17trampoline_kernelINS0_14default_configENS1_32segmented_reduce_config_selectorIdEEZNS1_21segmented_reduce_implIS3_PKdPdPKldN6hipcub16HIPCUB_304000_NS6detail27convert_result_type_wrapperIS8_S9_N2at6native12_GLOBAL__N_19CustomMaxEEEEE10hipError_tPvRmT0_T1_jT2_SQ_T4_T3_P12ihipStream_tbEUlT_E_NS1_11comp_targetILNS1_3genE3ELNS1_11target_archE908ELNS1_3gpuE7ELNS1_3repE0EEENS1_30default_config_static_selectorELNS0_4arch9wavefront6targetE0EEEvSP_.num_vgpr, 0
	.set _ZN7rocprim17ROCPRIM_400000_NS6detail17trampoline_kernelINS0_14default_configENS1_32segmented_reduce_config_selectorIdEEZNS1_21segmented_reduce_implIS3_PKdPdPKldN6hipcub16HIPCUB_304000_NS6detail27convert_result_type_wrapperIS8_S9_N2at6native12_GLOBAL__N_19CustomMaxEEEEE10hipError_tPvRmT0_T1_jT2_SQ_T4_T3_P12ihipStream_tbEUlT_E_NS1_11comp_targetILNS1_3genE3ELNS1_11target_archE908ELNS1_3gpuE7ELNS1_3repE0EEENS1_30default_config_static_selectorELNS0_4arch9wavefront6targetE0EEEvSP_.num_agpr, 0
	.set _ZN7rocprim17ROCPRIM_400000_NS6detail17trampoline_kernelINS0_14default_configENS1_32segmented_reduce_config_selectorIdEEZNS1_21segmented_reduce_implIS3_PKdPdPKldN6hipcub16HIPCUB_304000_NS6detail27convert_result_type_wrapperIS8_S9_N2at6native12_GLOBAL__N_19CustomMaxEEEEE10hipError_tPvRmT0_T1_jT2_SQ_T4_T3_P12ihipStream_tbEUlT_E_NS1_11comp_targetILNS1_3genE3ELNS1_11target_archE908ELNS1_3gpuE7ELNS1_3repE0EEENS1_30default_config_static_selectorELNS0_4arch9wavefront6targetE0EEEvSP_.numbered_sgpr, 0
	.set _ZN7rocprim17ROCPRIM_400000_NS6detail17trampoline_kernelINS0_14default_configENS1_32segmented_reduce_config_selectorIdEEZNS1_21segmented_reduce_implIS3_PKdPdPKldN6hipcub16HIPCUB_304000_NS6detail27convert_result_type_wrapperIS8_S9_N2at6native12_GLOBAL__N_19CustomMaxEEEEE10hipError_tPvRmT0_T1_jT2_SQ_T4_T3_P12ihipStream_tbEUlT_E_NS1_11comp_targetILNS1_3genE3ELNS1_11target_archE908ELNS1_3gpuE7ELNS1_3repE0EEENS1_30default_config_static_selectorELNS0_4arch9wavefront6targetE0EEEvSP_.num_named_barrier, 0
	.set _ZN7rocprim17ROCPRIM_400000_NS6detail17trampoline_kernelINS0_14default_configENS1_32segmented_reduce_config_selectorIdEEZNS1_21segmented_reduce_implIS3_PKdPdPKldN6hipcub16HIPCUB_304000_NS6detail27convert_result_type_wrapperIS8_S9_N2at6native12_GLOBAL__N_19CustomMaxEEEEE10hipError_tPvRmT0_T1_jT2_SQ_T4_T3_P12ihipStream_tbEUlT_E_NS1_11comp_targetILNS1_3genE3ELNS1_11target_archE908ELNS1_3gpuE7ELNS1_3repE0EEENS1_30default_config_static_selectorELNS0_4arch9wavefront6targetE0EEEvSP_.private_seg_size, 0
	.set _ZN7rocprim17ROCPRIM_400000_NS6detail17trampoline_kernelINS0_14default_configENS1_32segmented_reduce_config_selectorIdEEZNS1_21segmented_reduce_implIS3_PKdPdPKldN6hipcub16HIPCUB_304000_NS6detail27convert_result_type_wrapperIS8_S9_N2at6native12_GLOBAL__N_19CustomMaxEEEEE10hipError_tPvRmT0_T1_jT2_SQ_T4_T3_P12ihipStream_tbEUlT_E_NS1_11comp_targetILNS1_3genE3ELNS1_11target_archE908ELNS1_3gpuE7ELNS1_3repE0EEENS1_30default_config_static_selectorELNS0_4arch9wavefront6targetE0EEEvSP_.uses_vcc, 0
	.set _ZN7rocprim17ROCPRIM_400000_NS6detail17trampoline_kernelINS0_14default_configENS1_32segmented_reduce_config_selectorIdEEZNS1_21segmented_reduce_implIS3_PKdPdPKldN6hipcub16HIPCUB_304000_NS6detail27convert_result_type_wrapperIS8_S9_N2at6native12_GLOBAL__N_19CustomMaxEEEEE10hipError_tPvRmT0_T1_jT2_SQ_T4_T3_P12ihipStream_tbEUlT_E_NS1_11comp_targetILNS1_3genE3ELNS1_11target_archE908ELNS1_3gpuE7ELNS1_3repE0EEENS1_30default_config_static_selectorELNS0_4arch9wavefront6targetE0EEEvSP_.uses_flat_scratch, 0
	.set _ZN7rocprim17ROCPRIM_400000_NS6detail17trampoline_kernelINS0_14default_configENS1_32segmented_reduce_config_selectorIdEEZNS1_21segmented_reduce_implIS3_PKdPdPKldN6hipcub16HIPCUB_304000_NS6detail27convert_result_type_wrapperIS8_S9_N2at6native12_GLOBAL__N_19CustomMaxEEEEE10hipError_tPvRmT0_T1_jT2_SQ_T4_T3_P12ihipStream_tbEUlT_E_NS1_11comp_targetILNS1_3genE3ELNS1_11target_archE908ELNS1_3gpuE7ELNS1_3repE0EEENS1_30default_config_static_selectorELNS0_4arch9wavefront6targetE0EEEvSP_.has_dyn_sized_stack, 0
	.set _ZN7rocprim17ROCPRIM_400000_NS6detail17trampoline_kernelINS0_14default_configENS1_32segmented_reduce_config_selectorIdEEZNS1_21segmented_reduce_implIS3_PKdPdPKldN6hipcub16HIPCUB_304000_NS6detail27convert_result_type_wrapperIS8_S9_N2at6native12_GLOBAL__N_19CustomMaxEEEEE10hipError_tPvRmT0_T1_jT2_SQ_T4_T3_P12ihipStream_tbEUlT_E_NS1_11comp_targetILNS1_3genE3ELNS1_11target_archE908ELNS1_3gpuE7ELNS1_3repE0EEENS1_30default_config_static_selectorELNS0_4arch9wavefront6targetE0EEEvSP_.has_recursion, 0
	.set _ZN7rocprim17ROCPRIM_400000_NS6detail17trampoline_kernelINS0_14default_configENS1_32segmented_reduce_config_selectorIdEEZNS1_21segmented_reduce_implIS3_PKdPdPKldN6hipcub16HIPCUB_304000_NS6detail27convert_result_type_wrapperIS8_S9_N2at6native12_GLOBAL__N_19CustomMaxEEEEE10hipError_tPvRmT0_T1_jT2_SQ_T4_T3_P12ihipStream_tbEUlT_E_NS1_11comp_targetILNS1_3genE3ELNS1_11target_archE908ELNS1_3gpuE7ELNS1_3repE0EEENS1_30default_config_static_selectorELNS0_4arch9wavefront6targetE0EEEvSP_.has_indirect_call, 0
	.section	.AMDGPU.csdata,"",@progbits
; Kernel info:
; codeLenInByte = 0
; TotalNumSgprs: 0
; NumVgprs: 0
; ScratchSize: 0
; MemoryBound: 0
; FloatMode: 240
; IeeeMode: 1
; LDSByteSize: 0 bytes/workgroup (compile time only)
; SGPRBlocks: 0
; VGPRBlocks: 0
; NumSGPRsForWavesPerEU: 1
; NumVGPRsForWavesPerEU: 1
; Occupancy: 16
; WaveLimiterHint : 0
; COMPUTE_PGM_RSRC2:SCRATCH_EN: 0
; COMPUTE_PGM_RSRC2:USER_SGPR: 6
; COMPUTE_PGM_RSRC2:TRAP_HANDLER: 0
; COMPUTE_PGM_RSRC2:TGID_X_EN: 1
; COMPUTE_PGM_RSRC2:TGID_Y_EN: 0
; COMPUTE_PGM_RSRC2:TGID_Z_EN: 0
; COMPUTE_PGM_RSRC2:TIDIG_COMP_CNT: 0
	.section	.text._ZN7rocprim17ROCPRIM_400000_NS6detail17trampoline_kernelINS0_14default_configENS1_32segmented_reduce_config_selectorIdEEZNS1_21segmented_reduce_implIS3_PKdPdPKldN6hipcub16HIPCUB_304000_NS6detail27convert_result_type_wrapperIS8_S9_N2at6native12_GLOBAL__N_19CustomMaxEEEEE10hipError_tPvRmT0_T1_jT2_SQ_T4_T3_P12ihipStream_tbEUlT_E_NS1_11comp_targetILNS1_3genE2ELNS1_11target_archE906ELNS1_3gpuE6ELNS1_3repE0EEENS1_30default_config_static_selectorELNS0_4arch9wavefront6targetE0EEEvSP_,"axG",@progbits,_ZN7rocprim17ROCPRIM_400000_NS6detail17trampoline_kernelINS0_14default_configENS1_32segmented_reduce_config_selectorIdEEZNS1_21segmented_reduce_implIS3_PKdPdPKldN6hipcub16HIPCUB_304000_NS6detail27convert_result_type_wrapperIS8_S9_N2at6native12_GLOBAL__N_19CustomMaxEEEEE10hipError_tPvRmT0_T1_jT2_SQ_T4_T3_P12ihipStream_tbEUlT_E_NS1_11comp_targetILNS1_3genE2ELNS1_11target_archE906ELNS1_3gpuE6ELNS1_3repE0EEENS1_30default_config_static_selectorELNS0_4arch9wavefront6targetE0EEEvSP_,comdat
	.globl	_ZN7rocprim17ROCPRIM_400000_NS6detail17trampoline_kernelINS0_14default_configENS1_32segmented_reduce_config_selectorIdEEZNS1_21segmented_reduce_implIS3_PKdPdPKldN6hipcub16HIPCUB_304000_NS6detail27convert_result_type_wrapperIS8_S9_N2at6native12_GLOBAL__N_19CustomMaxEEEEE10hipError_tPvRmT0_T1_jT2_SQ_T4_T3_P12ihipStream_tbEUlT_E_NS1_11comp_targetILNS1_3genE2ELNS1_11target_archE906ELNS1_3gpuE6ELNS1_3repE0EEENS1_30default_config_static_selectorELNS0_4arch9wavefront6targetE0EEEvSP_ ; -- Begin function _ZN7rocprim17ROCPRIM_400000_NS6detail17trampoline_kernelINS0_14default_configENS1_32segmented_reduce_config_selectorIdEEZNS1_21segmented_reduce_implIS3_PKdPdPKldN6hipcub16HIPCUB_304000_NS6detail27convert_result_type_wrapperIS8_S9_N2at6native12_GLOBAL__N_19CustomMaxEEEEE10hipError_tPvRmT0_T1_jT2_SQ_T4_T3_P12ihipStream_tbEUlT_E_NS1_11comp_targetILNS1_3genE2ELNS1_11target_archE906ELNS1_3gpuE6ELNS1_3repE0EEENS1_30default_config_static_selectorELNS0_4arch9wavefront6targetE0EEEvSP_
	.p2align	8
	.type	_ZN7rocprim17ROCPRIM_400000_NS6detail17trampoline_kernelINS0_14default_configENS1_32segmented_reduce_config_selectorIdEEZNS1_21segmented_reduce_implIS3_PKdPdPKldN6hipcub16HIPCUB_304000_NS6detail27convert_result_type_wrapperIS8_S9_N2at6native12_GLOBAL__N_19CustomMaxEEEEE10hipError_tPvRmT0_T1_jT2_SQ_T4_T3_P12ihipStream_tbEUlT_E_NS1_11comp_targetILNS1_3genE2ELNS1_11target_archE906ELNS1_3gpuE6ELNS1_3repE0EEENS1_30default_config_static_selectorELNS0_4arch9wavefront6targetE0EEEvSP_,@function
_ZN7rocprim17ROCPRIM_400000_NS6detail17trampoline_kernelINS0_14default_configENS1_32segmented_reduce_config_selectorIdEEZNS1_21segmented_reduce_implIS3_PKdPdPKldN6hipcub16HIPCUB_304000_NS6detail27convert_result_type_wrapperIS8_S9_N2at6native12_GLOBAL__N_19CustomMaxEEEEE10hipError_tPvRmT0_T1_jT2_SQ_T4_T3_P12ihipStream_tbEUlT_E_NS1_11comp_targetILNS1_3genE2ELNS1_11target_archE906ELNS1_3gpuE6ELNS1_3repE0EEENS1_30default_config_static_selectorELNS0_4arch9wavefront6targetE0EEEvSP_: ; @_ZN7rocprim17ROCPRIM_400000_NS6detail17trampoline_kernelINS0_14default_configENS1_32segmented_reduce_config_selectorIdEEZNS1_21segmented_reduce_implIS3_PKdPdPKldN6hipcub16HIPCUB_304000_NS6detail27convert_result_type_wrapperIS8_S9_N2at6native12_GLOBAL__N_19CustomMaxEEEEE10hipError_tPvRmT0_T1_jT2_SQ_T4_T3_P12ihipStream_tbEUlT_E_NS1_11comp_targetILNS1_3genE2ELNS1_11target_archE906ELNS1_3gpuE6ELNS1_3repE0EEENS1_30default_config_static_selectorELNS0_4arch9wavefront6targetE0EEEvSP_
; %bb.0:
	.section	.rodata,"a",@progbits
	.p2align	6, 0x0
	.amdhsa_kernel _ZN7rocprim17ROCPRIM_400000_NS6detail17trampoline_kernelINS0_14default_configENS1_32segmented_reduce_config_selectorIdEEZNS1_21segmented_reduce_implIS3_PKdPdPKldN6hipcub16HIPCUB_304000_NS6detail27convert_result_type_wrapperIS8_S9_N2at6native12_GLOBAL__N_19CustomMaxEEEEE10hipError_tPvRmT0_T1_jT2_SQ_T4_T3_P12ihipStream_tbEUlT_E_NS1_11comp_targetILNS1_3genE2ELNS1_11target_archE906ELNS1_3gpuE6ELNS1_3repE0EEENS1_30default_config_static_selectorELNS0_4arch9wavefront6targetE0EEEvSP_
		.amdhsa_group_segment_fixed_size 0
		.amdhsa_private_segment_fixed_size 0
		.amdhsa_kernarg_size 56
		.amdhsa_user_sgpr_count 6
		.amdhsa_user_sgpr_private_segment_buffer 1
		.amdhsa_user_sgpr_dispatch_ptr 0
		.amdhsa_user_sgpr_queue_ptr 0
		.amdhsa_user_sgpr_kernarg_segment_ptr 1
		.amdhsa_user_sgpr_dispatch_id 0
		.amdhsa_user_sgpr_flat_scratch_init 0
		.amdhsa_user_sgpr_private_segment_size 0
		.amdhsa_wavefront_size32 1
		.amdhsa_uses_dynamic_stack 0
		.amdhsa_system_sgpr_private_segment_wavefront_offset 0
		.amdhsa_system_sgpr_workgroup_id_x 1
		.amdhsa_system_sgpr_workgroup_id_y 0
		.amdhsa_system_sgpr_workgroup_id_z 0
		.amdhsa_system_sgpr_workgroup_info 0
		.amdhsa_system_vgpr_workitem_id 0
		.amdhsa_next_free_vgpr 1
		.amdhsa_next_free_sgpr 1
		.amdhsa_reserve_vcc 0
		.amdhsa_reserve_flat_scratch 0
		.amdhsa_float_round_mode_32 0
		.amdhsa_float_round_mode_16_64 0
		.amdhsa_float_denorm_mode_32 3
		.amdhsa_float_denorm_mode_16_64 3
		.amdhsa_dx10_clamp 1
		.amdhsa_ieee_mode 1
		.amdhsa_fp16_overflow 0
		.amdhsa_workgroup_processor_mode 1
		.amdhsa_memory_ordered 1
		.amdhsa_forward_progress 1
		.amdhsa_shared_vgpr_count 0
		.amdhsa_exception_fp_ieee_invalid_op 0
		.amdhsa_exception_fp_denorm_src 0
		.amdhsa_exception_fp_ieee_div_zero 0
		.amdhsa_exception_fp_ieee_overflow 0
		.amdhsa_exception_fp_ieee_underflow 0
		.amdhsa_exception_fp_ieee_inexact 0
		.amdhsa_exception_int_div_zero 0
	.end_amdhsa_kernel
	.section	.text._ZN7rocprim17ROCPRIM_400000_NS6detail17trampoline_kernelINS0_14default_configENS1_32segmented_reduce_config_selectorIdEEZNS1_21segmented_reduce_implIS3_PKdPdPKldN6hipcub16HIPCUB_304000_NS6detail27convert_result_type_wrapperIS8_S9_N2at6native12_GLOBAL__N_19CustomMaxEEEEE10hipError_tPvRmT0_T1_jT2_SQ_T4_T3_P12ihipStream_tbEUlT_E_NS1_11comp_targetILNS1_3genE2ELNS1_11target_archE906ELNS1_3gpuE6ELNS1_3repE0EEENS1_30default_config_static_selectorELNS0_4arch9wavefront6targetE0EEEvSP_,"axG",@progbits,_ZN7rocprim17ROCPRIM_400000_NS6detail17trampoline_kernelINS0_14default_configENS1_32segmented_reduce_config_selectorIdEEZNS1_21segmented_reduce_implIS3_PKdPdPKldN6hipcub16HIPCUB_304000_NS6detail27convert_result_type_wrapperIS8_S9_N2at6native12_GLOBAL__N_19CustomMaxEEEEE10hipError_tPvRmT0_T1_jT2_SQ_T4_T3_P12ihipStream_tbEUlT_E_NS1_11comp_targetILNS1_3genE2ELNS1_11target_archE906ELNS1_3gpuE6ELNS1_3repE0EEENS1_30default_config_static_selectorELNS0_4arch9wavefront6targetE0EEEvSP_,comdat
.Lfunc_end150:
	.size	_ZN7rocprim17ROCPRIM_400000_NS6detail17trampoline_kernelINS0_14default_configENS1_32segmented_reduce_config_selectorIdEEZNS1_21segmented_reduce_implIS3_PKdPdPKldN6hipcub16HIPCUB_304000_NS6detail27convert_result_type_wrapperIS8_S9_N2at6native12_GLOBAL__N_19CustomMaxEEEEE10hipError_tPvRmT0_T1_jT2_SQ_T4_T3_P12ihipStream_tbEUlT_E_NS1_11comp_targetILNS1_3genE2ELNS1_11target_archE906ELNS1_3gpuE6ELNS1_3repE0EEENS1_30default_config_static_selectorELNS0_4arch9wavefront6targetE0EEEvSP_, .Lfunc_end150-_ZN7rocprim17ROCPRIM_400000_NS6detail17trampoline_kernelINS0_14default_configENS1_32segmented_reduce_config_selectorIdEEZNS1_21segmented_reduce_implIS3_PKdPdPKldN6hipcub16HIPCUB_304000_NS6detail27convert_result_type_wrapperIS8_S9_N2at6native12_GLOBAL__N_19CustomMaxEEEEE10hipError_tPvRmT0_T1_jT2_SQ_T4_T3_P12ihipStream_tbEUlT_E_NS1_11comp_targetILNS1_3genE2ELNS1_11target_archE906ELNS1_3gpuE6ELNS1_3repE0EEENS1_30default_config_static_selectorELNS0_4arch9wavefront6targetE0EEEvSP_
                                        ; -- End function
	.set _ZN7rocprim17ROCPRIM_400000_NS6detail17trampoline_kernelINS0_14default_configENS1_32segmented_reduce_config_selectorIdEEZNS1_21segmented_reduce_implIS3_PKdPdPKldN6hipcub16HIPCUB_304000_NS6detail27convert_result_type_wrapperIS8_S9_N2at6native12_GLOBAL__N_19CustomMaxEEEEE10hipError_tPvRmT0_T1_jT2_SQ_T4_T3_P12ihipStream_tbEUlT_E_NS1_11comp_targetILNS1_3genE2ELNS1_11target_archE906ELNS1_3gpuE6ELNS1_3repE0EEENS1_30default_config_static_selectorELNS0_4arch9wavefront6targetE0EEEvSP_.num_vgpr, 0
	.set _ZN7rocprim17ROCPRIM_400000_NS6detail17trampoline_kernelINS0_14default_configENS1_32segmented_reduce_config_selectorIdEEZNS1_21segmented_reduce_implIS3_PKdPdPKldN6hipcub16HIPCUB_304000_NS6detail27convert_result_type_wrapperIS8_S9_N2at6native12_GLOBAL__N_19CustomMaxEEEEE10hipError_tPvRmT0_T1_jT2_SQ_T4_T3_P12ihipStream_tbEUlT_E_NS1_11comp_targetILNS1_3genE2ELNS1_11target_archE906ELNS1_3gpuE6ELNS1_3repE0EEENS1_30default_config_static_selectorELNS0_4arch9wavefront6targetE0EEEvSP_.num_agpr, 0
	.set _ZN7rocprim17ROCPRIM_400000_NS6detail17trampoline_kernelINS0_14default_configENS1_32segmented_reduce_config_selectorIdEEZNS1_21segmented_reduce_implIS3_PKdPdPKldN6hipcub16HIPCUB_304000_NS6detail27convert_result_type_wrapperIS8_S9_N2at6native12_GLOBAL__N_19CustomMaxEEEEE10hipError_tPvRmT0_T1_jT2_SQ_T4_T3_P12ihipStream_tbEUlT_E_NS1_11comp_targetILNS1_3genE2ELNS1_11target_archE906ELNS1_3gpuE6ELNS1_3repE0EEENS1_30default_config_static_selectorELNS0_4arch9wavefront6targetE0EEEvSP_.numbered_sgpr, 0
	.set _ZN7rocprim17ROCPRIM_400000_NS6detail17trampoline_kernelINS0_14default_configENS1_32segmented_reduce_config_selectorIdEEZNS1_21segmented_reduce_implIS3_PKdPdPKldN6hipcub16HIPCUB_304000_NS6detail27convert_result_type_wrapperIS8_S9_N2at6native12_GLOBAL__N_19CustomMaxEEEEE10hipError_tPvRmT0_T1_jT2_SQ_T4_T3_P12ihipStream_tbEUlT_E_NS1_11comp_targetILNS1_3genE2ELNS1_11target_archE906ELNS1_3gpuE6ELNS1_3repE0EEENS1_30default_config_static_selectorELNS0_4arch9wavefront6targetE0EEEvSP_.num_named_barrier, 0
	.set _ZN7rocprim17ROCPRIM_400000_NS6detail17trampoline_kernelINS0_14default_configENS1_32segmented_reduce_config_selectorIdEEZNS1_21segmented_reduce_implIS3_PKdPdPKldN6hipcub16HIPCUB_304000_NS6detail27convert_result_type_wrapperIS8_S9_N2at6native12_GLOBAL__N_19CustomMaxEEEEE10hipError_tPvRmT0_T1_jT2_SQ_T4_T3_P12ihipStream_tbEUlT_E_NS1_11comp_targetILNS1_3genE2ELNS1_11target_archE906ELNS1_3gpuE6ELNS1_3repE0EEENS1_30default_config_static_selectorELNS0_4arch9wavefront6targetE0EEEvSP_.private_seg_size, 0
	.set _ZN7rocprim17ROCPRIM_400000_NS6detail17trampoline_kernelINS0_14default_configENS1_32segmented_reduce_config_selectorIdEEZNS1_21segmented_reduce_implIS3_PKdPdPKldN6hipcub16HIPCUB_304000_NS6detail27convert_result_type_wrapperIS8_S9_N2at6native12_GLOBAL__N_19CustomMaxEEEEE10hipError_tPvRmT0_T1_jT2_SQ_T4_T3_P12ihipStream_tbEUlT_E_NS1_11comp_targetILNS1_3genE2ELNS1_11target_archE906ELNS1_3gpuE6ELNS1_3repE0EEENS1_30default_config_static_selectorELNS0_4arch9wavefront6targetE0EEEvSP_.uses_vcc, 0
	.set _ZN7rocprim17ROCPRIM_400000_NS6detail17trampoline_kernelINS0_14default_configENS1_32segmented_reduce_config_selectorIdEEZNS1_21segmented_reduce_implIS3_PKdPdPKldN6hipcub16HIPCUB_304000_NS6detail27convert_result_type_wrapperIS8_S9_N2at6native12_GLOBAL__N_19CustomMaxEEEEE10hipError_tPvRmT0_T1_jT2_SQ_T4_T3_P12ihipStream_tbEUlT_E_NS1_11comp_targetILNS1_3genE2ELNS1_11target_archE906ELNS1_3gpuE6ELNS1_3repE0EEENS1_30default_config_static_selectorELNS0_4arch9wavefront6targetE0EEEvSP_.uses_flat_scratch, 0
	.set _ZN7rocprim17ROCPRIM_400000_NS6detail17trampoline_kernelINS0_14default_configENS1_32segmented_reduce_config_selectorIdEEZNS1_21segmented_reduce_implIS3_PKdPdPKldN6hipcub16HIPCUB_304000_NS6detail27convert_result_type_wrapperIS8_S9_N2at6native12_GLOBAL__N_19CustomMaxEEEEE10hipError_tPvRmT0_T1_jT2_SQ_T4_T3_P12ihipStream_tbEUlT_E_NS1_11comp_targetILNS1_3genE2ELNS1_11target_archE906ELNS1_3gpuE6ELNS1_3repE0EEENS1_30default_config_static_selectorELNS0_4arch9wavefront6targetE0EEEvSP_.has_dyn_sized_stack, 0
	.set _ZN7rocprim17ROCPRIM_400000_NS6detail17trampoline_kernelINS0_14default_configENS1_32segmented_reduce_config_selectorIdEEZNS1_21segmented_reduce_implIS3_PKdPdPKldN6hipcub16HIPCUB_304000_NS6detail27convert_result_type_wrapperIS8_S9_N2at6native12_GLOBAL__N_19CustomMaxEEEEE10hipError_tPvRmT0_T1_jT2_SQ_T4_T3_P12ihipStream_tbEUlT_E_NS1_11comp_targetILNS1_3genE2ELNS1_11target_archE906ELNS1_3gpuE6ELNS1_3repE0EEENS1_30default_config_static_selectorELNS0_4arch9wavefront6targetE0EEEvSP_.has_recursion, 0
	.set _ZN7rocprim17ROCPRIM_400000_NS6detail17trampoline_kernelINS0_14default_configENS1_32segmented_reduce_config_selectorIdEEZNS1_21segmented_reduce_implIS3_PKdPdPKldN6hipcub16HIPCUB_304000_NS6detail27convert_result_type_wrapperIS8_S9_N2at6native12_GLOBAL__N_19CustomMaxEEEEE10hipError_tPvRmT0_T1_jT2_SQ_T4_T3_P12ihipStream_tbEUlT_E_NS1_11comp_targetILNS1_3genE2ELNS1_11target_archE906ELNS1_3gpuE6ELNS1_3repE0EEENS1_30default_config_static_selectorELNS0_4arch9wavefront6targetE0EEEvSP_.has_indirect_call, 0
	.section	.AMDGPU.csdata,"",@progbits
; Kernel info:
; codeLenInByte = 0
; TotalNumSgprs: 0
; NumVgprs: 0
; ScratchSize: 0
; MemoryBound: 0
; FloatMode: 240
; IeeeMode: 1
; LDSByteSize: 0 bytes/workgroup (compile time only)
; SGPRBlocks: 0
; VGPRBlocks: 0
; NumSGPRsForWavesPerEU: 1
; NumVGPRsForWavesPerEU: 1
; Occupancy: 16
; WaveLimiterHint : 0
; COMPUTE_PGM_RSRC2:SCRATCH_EN: 0
; COMPUTE_PGM_RSRC2:USER_SGPR: 6
; COMPUTE_PGM_RSRC2:TRAP_HANDLER: 0
; COMPUTE_PGM_RSRC2:TGID_X_EN: 1
; COMPUTE_PGM_RSRC2:TGID_Y_EN: 0
; COMPUTE_PGM_RSRC2:TGID_Z_EN: 0
; COMPUTE_PGM_RSRC2:TIDIG_COMP_CNT: 0
	.section	.text._ZN7rocprim17ROCPRIM_400000_NS6detail17trampoline_kernelINS0_14default_configENS1_32segmented_reduce_config_selectorIdEEZNS1_21segmented_reduce_implIS3_PKdPdPKldN6hipcub16HIPCUB_304000_NS6detail27convert_result_type_wrapperIS8_S9_N2at6native12_GLOBAL__N_19CustomMaxEEEEE10hipError_tPvRmT0_T1_jT2_SQ_T4_T3_P12ihipStream_tbEUlT_E_NS1_11comp_targetILNS1_3genE9ELNS1_11target_archE1100ELNS1_3gpuE3ELNS1_3repE0EEENS1_30default_config_static_selectorELNS0_4arch9wavefront6targetE0EEEvSP_,"axG",@progbits,_ZN7rocprim17ROCPRIM_400000_NS6detail17trampoline_kernelINS0_14default_configENS1_32segmented_reduce_config_selectorIdEEZNS1_21segmented_reduce_implIS3_PKdPdPKldN6hipcub16HIPCUB_304000_NS6detail27convert_result_type_wrapperIS8_S9_N2at6native12_GLOBAL__N_19CustomMaxEEEEE10hipError_tPvRmT0_T1_jT2_SQ_T4_T3_P12ihipStream_tbEUlT_E_NS1_11comp_targetILNS1_3genE9ELNS1_11target_archE1100ELNS1_3gpuE3ELNS1_3repE0EEENS1_30default_config_static_selectorELNS0_4arch9wavefront6targetE0EEEvSP_,comdat
	.globl	_ZN7rocprim17ROCPRIM_400000_NS6detail17trampoline_kernelINS0_14default_configENS1_32segmented_reduce_config_selectorIdEEZNS1_21segmented_reduce_implIS3_PKdPdPKldN6hipcub16HIPCUB_304000_NS6detail27convert_result_type_wrapperIS8_S9_N2at6native12_GLOBAL__N_19CustomMaxEEEEE10hipError_tPvRmT0_T1_jT2_SQ_T4_T3_P12ihipStream_tbEUlT_E_NS1_11comp_targetILNS1_3genE9ELNS1_11target_archE1100ELNS1_3gpuE3ELNS1_3repE0EEENS1_30default_config_static_selectorELNS0_4arch9wavefront6targetE0EEEvSP_ ; -- Begin function _ZN7rocprim17ROCPRIM_400000_NS6detail17trampoline_kernelINS0_14default_configENS1_32segmented_reduce_config_selectorIdEEZNS1_21segmented_reduce_implIS3_PKdPdPKldN6hipcub16HIPCUB_304000_NS6detail27convert_result_type_wrapperIS8_S9_N2at6native12_GLOBAL__N_19CustomMaxEEEEE10hipError_tPvRmT0_T1_jT2_SQ_T4_T3_P12ihipStream_tbEUlT_E_NS1_11comp_targetILNS1_3genE9ELNS1_11target_archE1100ELNS1_3gpuE3ELNS1_3repE0EEENS1_30default_config_static_selectorELNS0_4arch9wavefront6targetE0EEEvSP_
	.p2align	8
	.type	_ZN7rocprim17ROCPRIM_400000_NS6detail17trampoline_kernelINS0_14default_configENS1_32segmented_reduce_config_selectorIdEEZNS1_21segmented_reduce_implIS3_PKdPdPKldN6hipcub16HIPCUB_304000_NS6detail27convert_result_type_wrapperIS8_S9_N2at6native12_GLOBAL__N_19CustomMaxEEEEE10hipError_tPvRmT0_T1_jT2_SQ_T4_T3_P12ihipStream_tbEUlT_E_NS1_11comp_targetILNS1_3genE9ELNS1_11target_archE1100ELNS1_3gpuE3ELNS1_3repE0EEENS1_30default_config_static_selectorELNS0_4arch9wavefront6targetE0EEEvSP_,@function
_ZN7rocprim17ROCPRIM_400000_NS6detail17trampoline_kernelINS0_14default_configENS1_32segmented_reduce_config_selectorIdEEZNS1_21segmented_reduce_implIS3_PKdPdPKldN6hipcub16HIPCUB_304000_NS6detail27convert_result_type_wrapperIS8_S9_N2at6native12_GLOBAL__N_19CustomMaxEEEEE10hipError_tPvRmT0_T1_jT2_SQ_T4_T3_P12ihipStream_tbEUlT_E_NS1_11comp_targetILNS1_3genE9ELNS1_11target_archE1100ELNS1_3gpuE3ELNS1_3repE0EEENS1_30default_config_static_selectorELNS0_4arch9wavefront6targetE0EEEvSP_: ; @_ZN7rocprim17ROCPRIM_400000_NS6detail17trampoline_kernelINS0_14default_configENS1_32segmented_reduce_config_selectorIdEEZNS1_21segmented_reduce_implIS3_PKdPdPKldN6hipcub16HIPCUB_304000_NS6detail27convert_result_type_wrapperIS8_S9_N2at6native12_GLOBAL__N_19CustomMaxEEEEE10hipError_tPvRmT0_T1_jT2_SQ_T4_T3_P12ihipStream_tbEUlT_E_NS1_11comp_targetILNS1_3genE9ELNS1_11target_archE1100ELNS1_3gpuE3ELNS1_3repE0EEENS1_30default_config_static_selectorELNS0_4arch9wavefront6targetE0EEEvSP_
; %bb.0:
	.section	.rodata,"a",@progbits
	.p2align	6, 0x0
	.amdhsa_kernel _ZN7rocprim17ROCPRIM_400000_NS6detail17trampoline_kernelINS0_14default_configENS1_32segmented_reduce_config_selectorIdEEZNS1_21segmented_reduce_implIS3_PKdPdPKldN6hipcub16HIPCUB_304000_NS6detail27convert_result_type_wrapperIS8_S9_N2at6native12_GLOBAL__N_19CustomMaxEEEEE10hipError_tPvRmT0_T1_jT2_SQ_T4_T3_P12ihipStream_tbEUlT_E_NS1_11comp_targetILNS1_3genE9ELNS1_11target_archE1100ELNS1_3gpuE3ELNS1_3repE0EEENS1_30default_config_static_selectorELNS0_4arch9wavefront6targetE0EEEvSP_
		.amdhsa_group_segment_fixed_size 0
		.amdhsa_private_segment_fixed_size 0
		.amdhsa_kernarg_size 56
		.amdhsa_user_sgpr_count 6
		.amdhsa_user_sgpr_private_segment_buffer 1
		.amdhsa_user_sgpr_dispatch_ptr 0
		.amdhsa_user_sgpr_queue_ptr 0
		.amdhsa_user_sgpr_kernarg_segment_ptr 1
		.amdhsa_user_sgpr_dispatch_id 0
		.amdhsa_user_sgpr_flat_scratch_init 0
		.amdhsa_user_sgpr_private_segment_size 0
		.amdhsa_wavefront_size32 1
		.amdhsa_uses_dynamic_stack 0
		.amdhsa_system_sgpr_private_segment_wavefront_offset 0
		.amdhsa_system_sgpr_workgroup_id_x 1
		.amdhsa_system_sgpr_workgroup_id_y 0
		.amdhsa_system_sgpr_workgroup_id_z 0
		.amdhsa_system_sgpr_workgroup_info 0
		.amdhsa_system_vgpr_workitem_id 0
		.amdhsa_next_free_vgpr 1
		.amdhsa_next_free_sgpr 1
		.amdhsa_reserve_vcc 0
		.amdhsa_reserve_flat_scratch 0
		.amdhsa_float_round_mode_32 0
		.amdhsa_float_round_mode_16_64 0
		.amdhsa_float_denorm_mode_32 3
		.amdhsa_float_denorm_mode_16_64 3
		.amdhsa_dx10_clamp 1
		.amdhsa_ieee_mode 1
		.amdhsa_fp16_overflow 0
		.amdhsa_workgroup_processor_mode 1
		.amdhsa_memory_ordered 1
		.amdhsa_forward_progress 1
		.amdhsa_shared_vgpr_count 0
		.amdhsa_exception_fp_ieee_invalid_op 0
		.amdhsa_exception_fp_denorm_src 0
		.amdhsa_exception_fp_ieee_div_zero 0
		.amdhsa_exception_fp_ieee_overflow 0
		.amdhsa_exception_fp_ieee_underflow 0
		.amdhsa_exception_fp_ieee_inexact 0
		.amdhsa_exception_int_div_zero 0
	.end_amdhsa_kernel
	.section	.text._ZN7rocprim17ROCPRIM_400000_NS6detail17trampoline_kernelINS0_14default_configENS1_32segmented_reduce_config_selectorIdEEZNS1_21segmented_reduce_implIS3_PKdPdPKldN6hipcub16HIPCUB_304000_NS6detail27convert_result_type_wrapperIS8_S9_N2at6native12_GLOBAL__N_19CustomMaxEEEEE10hipError_tPvRmT0_T1_jT2_SQ_T4_T3_P12ihipStream_tbEUlT_E_NS1_11comp_targetILNS1_3genE9ELNS1_11target_archE1100ELNS1_3gpuE3ELNS1_3repE0EEENS1_30default_config_static_selectorELNS0_4arch9wavefront6targetE0EEEvSP_,"axG",@progbits,_ZN7rocprim17ROCPRIM_400000_NS6detail17trampoline_kernelINS0_14default_configENS1_32segmented_reduce_config_selectorIdEEZNS1_21segmented_reduce_implIS3_PKdPdPKldN6hipcub16HIPCUB_304000_NS6detail27convert_result_type_wrapperIS8_S9_N2at6native12_GLOBAL__N_19CustomMaxEEEEE10hipError_tPvRmT0_T1_jT2_SQ_T4_T3_P12ihipStream_tbEUlT_E_NS1_11comp_targetILNS1_3genE9ELNS1_11target_archE1100ELNS1_3gpuE3ELNS1_3repE0EEENS1_30default_config_static_selectorELNS0_4arch9wavefront6targetE0EEEvSP_,comdat
.Lfunc_end151:
	.size	_ZN7rocprim17ROCPRIM_400000_NS6detail17trampoline_kernelINS0_14default_configENS1_32segmented_reduce_config_selectorIdEEZNS1_21segmented_reduce_implIS3_PKdPdPKldN6hipcub16HIPCUB_304000_NS6detail27convert_result_type_wrapperIS8_S9_N2at6native12_GLOBAL__N_19CustomMaxEEEEE10hipError_tPvRmT0_T1_jT2_SQ_T4_T3_P12ihipStream_tbEUlT_E_NS1_11comp_targetILNS1_3genE9ELNS1_11target_archE1100ELNS1_3gpuE3ELNS1_3repE0EEENS1_30default_config_static_selectorELNS0_4arch9wavefront6targetE0EEEvSP_, .Lfunc_end151-_ZN7rocprim17ROCPRIM_400000_NS6detail17trampoline_kernelINS0_14default_configENS1_32segmented_reduce_config_selectorIdEEZNS1_21segmented_reduce_implIS3_PKdPdPKldN6hipcub16HIPCUB_304000_NS6detail27convert_result_type_wrapperIS8_S9_N2at6native12_GLOBAL__N_19CustomMaxEEEEE10hipError_tPvRmT0_T1_jT2_SQ_T4_T3_P12ihipStream_tbEUlT_E_NS1_11comp_targetILNS1_3genE9ELNS1_11target_archE1100ELNS1_3gpuE3ELNS1_3repE0EEENS1_30default_config_static_selectorELNS0_4arch9wavefront6targetE0EEEvSP_
                                        ; -- End function
	.set _ZN7rocprim17ROCPRIM_400000_NS6detail17trampoline_kernelINS0_14default_configENS1_32segmented_reduce_config_selectorIdEEZNS1_21segmented_reduce_implIS3_PKdPdPKldN6hipcub16HIPCUB_304000_NS6detail27convert_result_type_wrapperIS8_S9_N2at6native12_GLOBAL__N_19CustomMaxEEEEE10hipError_tPvRmT0_T1_jT2_SQ_T4_T3_P12ihipStream_tbEUlT_E_NS1_11comp_targetILNS1_3genE9ELNS1_11target_archE1100ELNS1_3gpuE3ELNS1_3repE0EEENS1_30default_config_static_selectorELNS0_4arch9wavefront6targetE0EEEvSP_.num_vgpr, 0
	.set _ZN7rocprim17ROCPRIM_400000_NS6detail17trampoline_kernelINS0_14default_configENS1_32segmented_reduce_config_selectorIdEEZNS1_21segmented_reduce_implIS3_PKdPdPKldN6hipcub16HIPCUB_304000_NS6detail27convert_result_type_wrapperIS8_S9_N2at6native12_GLOBAL__N_19CustomMaxEEEEE10hipError_tPvRmT0_T1_jT2_SQ_T4_T3_P12ihipStream_tbEUlT_E_NS1_11comp_targetILNS1_3genE9ELNS1_11target_archE1100ELNS1_3gpuE3ELNS1_3repE0EEENS1_30default_config_static_selectorELNS0_4arch9wavefront6targetE0EEEvSP_.num_agpr, 0
	.set _ZN7rocprim17ROCPRIM_400000_NS6detail17trampoline_kernelINS0_14default_configENS1_32segmented_reduce_config_selectorIdEEZNS1_21segmented_reduce_implIS3_PKdPdPKldN6hipcub16HIPCUB_304000_NS6detail27convert_result_type_wrapperIS8_S9_N2at6native12_GLOBAL__N_19CustomMaxEEEEE10hipError_tPvRmT0_T1_jT2_SQ_T4_T3_P12ihipStream_tbEUlT_E_NS1_11comp_targetILNS1_3genE9ELNS1_11target_archE1100ELNS1_3gpuE3ELNS1_3repE0EEENS1_30default_config_static_selectorELNS0_4arch9wavefront6targetE0EEEvSP_.numbered_sgpr, 0
	.set _ZN7rocprim17ROCPRIM_400000_NS6detail17trampoline_kernelINS0_14default_configENS1_32segmented_reduce_config_selectorIdEEZNS1_21segmented_reduce_implIS3_PKdPdPKldN6hipcub16HIPCUB_304000_NS6detail27convert_result_type_wrapperIS8_S9_N2at6native12_GLOBAL__N_19CustomMaxEEEEE10hipError_tPvRmT0_T1_jT2_SQ_T4_T3_P12ihipStream_tbEUlT_E_NS1_11comp_targetILNS1_3genE9ELNS1_11target_archE1100ELNS1_3gpuE3ELNS1_3repE0EEENS1_30default_config_static_selectorELNS0_4arch9wavefront6targetE0EEEvSP_.num_named_barrier, 0
	.set _ZN7rocprim17ROCPRIM_400000_NS6detail17trampoline_kernelINS0_14default_configENS1_32segmented_reduce_config_selectorIdEEZNS1_21segmented_reduce_implIS3_PKdPdPKldN6hipcub16HIPCUB_304000_NS6detail27convert_result_type_wrapperIS8_S9_N2at6native12_GLOBAL__N_19CustomMaxEEEEE10hipError_tPvRmT0_T1_jT2_SQ_T4_T3_P12ihipStream_tbEUlT_E_NS1_11comp_targetILNS1_3genE9ELNS1_11target_archE1100ELNS1_3gpuE3ELNS1_3repE0EEENS1_30default_config_static_selectorELNS0_4arch9wavefront6targetE0EEEvSP_.private_seg_size, 0
	.set _ZN7rocprim17ROCPRIM_400000_NS6detail17trampoline_kernelINS0_14default_configENS1_32segmented_reduce_config_selectorIdEEZNS1_21segmented_reduce_implIS3_PKdPdPKldN6hipcub16HIPCUB_304000_NS6detail27convert_result_type_wrapperIS8_S9_N2at6native12_GLOBAL__N_19CustomMaxEEEEE10hipError_tPvRmT0_T1_jT2_SQ_T4_T3_P12ihipStream_tbEUlT_E_NS1_11comp_targetILNS1_3genE9ELNS1_11target_archE1100ELNS1_3gpuE3ELNS1_3repE0EEENS1_30default_config_static_selectorELNS0_4arch9wavefront6targetE0EEEvSP_.uses_vcc, 0
	.set _ZN7rocprim17ROCPRIM_400000_NS6detail17trampoline_kernelINS0_14default_configENS1_32segmented_reduce_config_selectorIdEEZNS1_21segmented_reduce_implIS3_PKdPdPKldN6hipcub16HIPCUB_304000_NS6detail27convert_result_type_wrapperIS8_S9_N2at6native12_GLOBAL__N_19CustomMaxEEEEE10hipError_tPvRmT0_T1_jT2_SQ_T4_T3_P12ihipStream_tbEUlT_E_NS1_11comp_targetILNS1_3genE9ELNS1_11target_archE1100ELNS1_3gpuE3ELNS1_3repE0EEENS1_30default_config_static_selectorELNS0_4arch9wavefront6targetE0EEEvSP_.uses_flat_scratch, 0
	.set _ZN7rocprim17ROCPRIM_400000_NS6detail17trampoline_kernelINS0_14default_configENS1_32segmented_reduce_config_selectorIdEEZNS1_21segmented_reduce_implIS3_PKdPdPKldN6hipcub16HIPCUB_304000_NS6detail27convert_result_type_wrapperIS8_S9_N2at6native12_GLOBAL__N_19CustomMaxEEEEE10hipError_tPvRmT0_T1_jT2_SQ_T4_T3_P12ihipStream_tbEUlT_E_NS1_11comp_targetILNS1_3genE9ELNS1_11target_archE1100ELNS1_3gpuE3ELNS1_3repE0EEENS1_30default_config_static_selectorELNS0_4arch9wavefront6targetE0EEEvSP_.has_dyn_sized_stack, 0
	.set _ZN7rocprim17ROCPRIM_400000_NS6detail17trampoline_kernelINS0_14default_configENS1_32segmented_reduce_config_selectorIdEEZNS1_21segmented_reduce_implIS3_PKdPdPKldN6hipcub16HIPCUB_304000_NS6detail27convert_result_type_wrapperIS8_S9_N2at6native12_GLOBAL__N_19CustomMaxEEEEE10hipError_tPvRmT0_T1_jT2_SQ_T4_T3_P12ihipStream_tbEUlT_E_NS1_11comp_targetILNS1_3genE9ELNS1_11target_archE1100ELNS1_3gpuE3ELNS1_3repE0EEENS1_30default_config_static_selectorELNS0_4arch9wavefront6targetE0EEEvSP_.has_recursion, 0
	.set _ZN7rocprim17ROCPRIM_400000_NS6detail17trampoline_kernelINS0_14default_configENS1_32segmented_reduce_config_selectorIdEEZNS1_21segmented_reduce_implIS3_PKdPdPKldN6hipcub16HIPCUB_304000_NS6detail27convert_result_type_wrapperIS8_S9_N2at6native12_GLOBAL__N_19CustomMaxEEEEE10hipError_tPvRmT0_T1_jT2_SQ_T4_T3_P12ihipStream_tbEUlT_E_NS1_11comp_targetILNS1_3genE9ELNS1_11target_archE1100ELNS1_3gpuE3ELNS1_3repE0EEENS1_30default_config_static_selectorELNS0_4arch9wavefront6targetE0EEEvSP_.has_indirect_call, 0
	.section	.AMDGPU.csdata,"",@progbits
; Kernel info:
; codeLenInByte = 0
; TotalNumSgprs: 0
; NumVgprs: 0
; ScratchSize: 0
; MemoryBound: 0
; FloatMode: 240
; IeeeMode: 1
; LDSByteSize: 0 bytes/workgroup (compile time only)
; SGPRBlocks: 0
; VGPRBlocks: 0
; NumSGPRsForWavesPerEU: 1
; NumVGPRsForWavesPerEU: 1
; Occupancy: 16
; WaveLimiterHint : 0
; COMPUTE_PGM_RSRC2:SCRATCH_EN: 0
; COMPUTE_PGM_RSRC2:USER_SGPR: 6
; COMPUTE_PGM_RSRC2:TRAP_HANDLER: 0
; COMPUTE_PGM_RSRC2:TGID_X_EN: 1
; COMPUTE_PGM_RSRC2:TGID_Y_EN: 0
; COMPUTE_PGM_RSRC2:TGID_Z_EN: 0
; COMPUTE_PGM_RSRC2:TIDIG_COMP_CNT: 0
	.section	.text._ZN7rocprim17ROCPRIM_400000_NS6detail17trampoline_kernelINS0_14default_configENS1_32segmented_reduce_config_selectorIdEEZNS1_21segmented_reduce_implIS3_PKdPdPKldN6hipcub16HIPCUB_304000_NS6detail27convert_result_type_wrapperIS8_S9_N2at6native12_GLOBAL__N_19CustomMaxEEEEE10hipError_tPvRmT0_T1_jT2_SQ_T4_T3_P12ihipStream_tbEUlT_E_NS1_11comp_targetILNS1_3genE8ELNS1_11target_archE1030ELNS1_3gpuE2ELNS1_3repE0EEENS1_30default_config_static_selectorELNS0_4arch9wavefront6targetE0EEEvSP_,"axG",@progbits,_ZN7rocprim17ROCPRIM_400000_NS6detail17trampoline_kernelINS0_14default_configENS1_32segmented_reduce_config_selectorIdEEZNS1_21segmented_reduce_implIS3_PKdPdPKldN6hipcub16HIPCUB_304000_NS6detail27convert_result_type_wrapperIS8_S9_N2at6native12_GLOBAL__N_19CustomMaxEEEEE10hipError_tPvRmT0_T1_jT2_SQ_T4_T3_P12ihipStream_tbEUlT_E_NS1_11comp_targetILNS1_3genE8ELNS1_11target_archE1030ELNS1_3gpuE2ELNS1_3repE0EEENS1_30default_config_static_selectorELNS0_4arch9wavefront6targetE0EEEvSP_,comdat
	.globl	_ZN7rocprim17ROCPRIM_400000_NS6detail17trampoline_kernelINS0_14default_configENS1_32segmented_reduce_config_selectorIdEEZNS1_21segmented_reduce_implIS3_PKdPdPKldN6hipcub16HIPCUB_304000_NS6detail27convert_result_type_wrapperIS8_S9_N2at6native12_GLOBAL__N_19CustomMaxEEEEE10hipError_tPvRmT0_T1_jT2_SQ_T4_T3_P12ihipStream_tbEUlT_E_NS1_11comp_targetILNS1_3genE8ELNS1_11target_archE1030ELNS1_3gpuE2ELNS1_3repE0EEENS1_30default_config_static_selectorELNS0_4arch9wavefront6targetE0EEEvSP_ ; -- Begin function _ZN7rocprim17ROCPRIM_400000_NS6detail17trampoline_kernelINS0_14default_configENS1_32segmented_reduce_config_selectorIdEEZNS1_21segmented_reduce_implIS3_PKdPdPKldN6hipcub16HIPCUB_304000_NS6detail27convert_result_type_wrapperIS8_S9_N2at6native12_GLOBAL__N_19CustomMaxEEEEE10hipError_tPvRmT0_T1_jT2_SQ_T4_T3_P12ihipStream_tbEUlT_E_NS1_11comp_targetILNS1_3genE8ELNS1_11target_archE1030ELNS1_3gpuE2ELNS1_3repE0EEENS1_30default_config_static_selectorELNS0_4arch9wavefront6targetE0EEEvSP_
	.p2align	8
	.type	_ZN7rocprim17ROCPRIM_400000_NS6detail17trampoline_kernelINS0_14default_configENS1_32segmented_reduce_config_selectorIdEEZNS1_21segmented_reduce_implIS3_PKdPdPKldN6hipcub16HIPCUB_304000_NS6detail27convert_result_type_wrapperIS8_S9_N2at6native12_GLOBAL__N_19CustomMaxEEEEE10hipError_tPvRmT0_T1_jT2_SQ_T4_T3_P12ihipStream_tbEUlT_E_NS1_11comp_targetILNS1_3genE8ELNS1_11target_archE1030ELNS1_3gpuE2ELNS1_3repE0EEENS1_30default_config_static_selectorELNS0_4arch9wavefront6targetE0EEEvSP_,@function
_ZN7rocprim17ROCPRIM_400000_NS6detail17trampoline_kernelINS0_14default_configENS1_32segmented_reduce_config_selectorIdEEZNS1_21segmented_reduce_implIS3_PKdPdPKldN6hipcub16HIPCUB_304000_NS6detail27convert_result_type_wrapperIS8_S9_N2at6native12_GLOBAL__N_19CustomMaxEEEEE10hipError_tPvRmT0_T1_jT2_SQ_T4_T3_P12ihipStream_tbEUlT_E_NS1_11comp_targetILNS1_3genE8ELNS1_11target_archE1030ELNS1_3gpuE2ELNS1_3repE0EEENS1_30default_config_static_selectorELNS0_4arch9wavefront6targetE0EEEvSP_: ; @_ZN7rocprim17ROCPRIM_400000_NS6detail17trampoline_kernelINS0_14default_configENS1_32segmented_reduce_config_selectorIdEEZNS1_21segmented_reduce_implIS3_PKdPdPKldN6hipcub16HIPCUB_304000_NS6detail27convert_result_type_wrapperIS8_S9_N2at6native12_GLOBAL__N_19CustomMaxEEEEE10hipError_tPvRmT0_T1_jT2_SQ_T4_T3_P12ihipStream_tbEUlT_E_NS1_11comp_targetILNS1_3genE8ELNS1_11target_archE1030ELNS1_3gpuE2ELNS1_3repE0EEENS1_30default_config_static_selectorELNS0_4arch9wavefront6targetE0EEEvSP_
; %bb.0:
	s_clause 0x1
	s_load_dwordx8 s[8:15], s[4:5], 0x0
	s_load_dwordx2 s[0:1], s[4:5], 0x20
	s_mov_b32 s7, 0
	s_waitcnt lgkmcnt(0)
	s_lshl_b64 s[2:3], s[12:13], 3
	s_load_dwordx2 s[12:13], s[4:5], 0x30
	s_add_u32 s14, s14, s2
	s_addc_u32 s15, s15, s3
	s_add_u32 s16, s0, s2
	s_addc_u32 s17, s1, s3
	s_lshl_b64 s[4:5], s[6:7], 3
	s_add_u32 s0, s14, s4
	s_addc_u32 s1, s15, s5
	s_add_u32 s14, s16, s4
	s_addc_u32 s15, s17, s5
	s_load_dwordx2 s[16:17], s[0:1], 0x0
	s_load_dwordx2 s[14:15], s[14:15], 0x0
	s_mov_b32 s1, -1
	s_waitcnt lgkmcnt(0)
	v_cmp_gt_i64_e64 s0, s[14:15], s[16:17]
	s_and_b32 vcc_lo, exec_lo, s0
	v_cmp_eq_u32_e64 s0, 0, v0
	s_cbranch_vccnz .LBB152_2
; %bb.1:
	s_mov_b32 s1, 0
	s_and_b32 s7, s0, exec_lo
.LBB152_2:
	s_andn2_b32 vcc_lo, exec_lo, s1
	s_cbranch_vccnz .LBB152_132
; %bb.3:
	s_add_u32 s0, s16, 0x1000
	s_addc_u32 s1, s17, 0
	v_cmp_le_i64_e64 s6, s[0:1], s[14:15]
	s_and_b32 vcc_lo, exec_lo, s6
	s_cbranch_vccz .LBB152_133
; %bb.4:
	v_lshlrev_b32_e32 v39, 3, v0
	s_lshl_b64 s[18:19], s[16:17], 3
	s_add_u32 s20, s8, s18
	s_addc_u32 s21, s9, s19
	v_add_co_u32 v29, s6, s20, v39
	v_add_co_ci_u32_e64 v30, null, s21, 0, s6
	global_load_dwordx2 v[31:32], v39, s[20:21]
	v_add_co_u32 v1, vcc_lo, v29, 0x1000
	v_add_co_ci_u32_e64 v2, null, 0, v30, vcc_lo
	v_add_co_u32 v3, vcc_lo, v29, 0x2000
	v_add_co_ci_u32_e64 v4, null, 0, v30, vcc_lo
	;; [unrolled: 2-line block ×5, first 2 shown]
	s_clause 0x7
	global_load_dwordx2 v[27:28], v[3:4], off offset:-2048
	global_load_dwordx2 v[25:26], v[3:4], off
	global_load_dwordx2 v[23:24], v[5:6], off offset:-2048
	global_load_dwordx2 v[21:22], v[5:6], off
	;; [unrolled: 2-line block ×4, first 2 shown]
	v_add_co_u32 v3, vcc_lo, v29, 0x6000
	v_add_co_ci_u32_e64 v4, null, 0, v30, vcc_lo
	v_add_co_u32 v19, vcc_lo, v29, 0x7000
	v_add_co_ci_u32_e64 v20, null, 0, v30, vcc_lo
	;; [unrolled: 2-line block ×3, first 2 shown]
	s_clause 0x6
	global_load_dwordx2 v[9:10], v[3:4], off offset:-2048
	global_load_dwordx2 v[7:8], v[3:4], off
	global_load_dwordx2 v[5:6], v[19:20], off offset:-2048
	global_load_dwordx2 v[3:4], v[19:20], off
	;; [unrolled: 2-line block ×3, first 2 shown]
	global_load_dwordx2 v[1:2], v[35:36], off
	s_mov_b32 s6, exec_lo
	s_waitcnt vmcnt(15)
	v_mov_b32_e32 v19, v31
	v_mov_b32_e32 v20, v32
	v_cmpx_o_f64_e32 v[31:32], v[31:32]
	s_cbranch_execz .LBB152_8
; %bb.5:
	s_waitcnt vmcnt(2)
	v_mov_b32_e32 v19, v33
	v_mov_b32_e32 v20, v34
	s_mov_b32 s20, exec_lo
	v_cmpx_o_f64_e32 v[33:34], v[33:34]
; %bb.6:
	v_cmp_lt_f64_e32 vcc_lo, v[31:32], v[33:34]
	v_cndmask_b32_e32 v20, v32, v34, vcc_lo
	v_cndmask_b32_e32 v19, v31, v33, vcc_lo
; %bb.7:
	s_or_b32 exec_lo, exec_lo, s20
.LBB152_8:
	s_or_b32 exec_lo, exec_lo, s6
	s_mov_b32 s6, exec_lo
	v_cmpx_o_f64_e32 v[19:20], v[19:20]
	s_cbranch_execz .LBB152_12
; %bb.9:
	s_waitcnt vmcnt(1)
	v_mov_b32_e32 v36, v30
	v_mov_b32_e32 v35, v29
	s_mov_b32 s20, exec_lo
	v_cmpx_o_f64_e32 v[29:30], v[29:30]
; %bb.10:
	v_cmp_lt_f64_e32 vcc_lo, v[19:20], v[29:30]
	v_cndmask_b32_e32 v36, v20, v30, vcc_lo
	v_cndmask_b32_e32 v35, v19, v29, vcc_lo
; %bb.11:
	s_or_b32 exec_lo, exec_lo, s20
	v_mov_b32_e32 v19, v35
	v_mov_b32_e32 v20, v36
.LBB152_12:
	s_or_b32 exec_lo, exec_lo, s6
	s_mov_b32 s6, exec_lo
	v_cmpx_o_f64_e32 v[19:20], v[19:20]
	s_cbranch_execz .LBB152_16
; %bb.13:
	s_waitcnt vmcnt(14)
	v_mov_b32_e32 v36, v28
	v_mov_b32_e32 v35, v27
	s_mov_b32 s20, exec_lo
	v_cmpx_o_f64_e32 v[27:28], v[27:28]
; %bb.14:
	v_cmp_lt_f64_e32 vcc_lo, v[19:20], v[27:28]
	v_cndmask_b32_e32 v36, v20, v28, vcc_lo
	v_cndmask_b32_e32 v35, v19, v27, vcc_lo
; %bb.15:
	s_or_b32 exec_lo, exec_lo, s20
	v_mov_b32_e32 v19, v35
	v_mov_b32_e32 v20, v36
.LBB152_16:
	;; [unrolled: 19-line block ×14, first 2 shown]
	s_or_b32 exec_lo, exec_lo, s6
	s_add_u32 s20, s16, 0x2000
	s_addc_u32 s21, s17, 0
	v_cmp_ge_i64_e64 s6, s[20:21], s[14:15]
	s_and_b32 vcc_lo, exec_lo, s6
	s_cbranch_vccnz .LBB152_135
; %bb.65:
	s_add_u32 s6, s8, s18
	s_addc_u32 s18, s9, s19
	s_waitcnt vmcnt(0)
	v_add_co_u32 v1, s6, s6, v39
	v_add_co_ci_u32_e64 v2, null, s18, 0, s6
	v_add_co_u32 v35, vcc_lo, 0x8000, v1
	v_add_co_ci_u32_e64 v36, null, 0, v2, vcc_lo
.LBB152_66:                             ; =>This Inner Loop Header: Depth=1
	s_waitcnt vmcnt(0)
	v_add_co_u32 v1, vcc_lo, v35, 0x1000
	v_add_co_ci_u32_e64 v2, null, 0, v36, vcc_lo
	v_add_co_u32 v27, vcc_lo, v35, 0x2000
	v_add_co_ci_u32_e64 v28, null, 0, v36, vcc_lo
	;; [unrolled: 2-line block ×6, first 2 shown]
	s_clause 0x7
	global_load_dwordx2 v[25:26], v[27:28], off
	global_load_dwordx2 v[23:24], v[3:4], off offset:-2048
	global_load_dwordx2 v[21:22], v[3:4], off
	global_load_dwordx2 v[17:18], v[5:6], off offset:-2048
	;; [unrolled: 2-line block ×4, first 2 shown]
	v_add_co_u32 v3, vcc_lo, v35, 0x7000
	v_add_co_ci_u32_e64 v4, null, 0, v36, vcc_lo
	v_add_co_u32 v37, vcc_lo, 0x7800, v35
	v_add_co_ci_u32_e64 v38, null, 0, v36, vcc_lo
	s_clause 0x7
	global_load_dwordx2 v[31:32], v[35:36], off
	global_load_dwordx2 v[7:8], v[29:30], off
	global_load_dwordx2 v[5:6], v[3:4], off offset:-2048
	global_load_dwordx2 v[3:4], v[3:4], off
	global_load_dwordx2 v[33:34], v[1:2], off offset:-2048
	;; [unrolled: 2-line block ×3, first 2 shown]
	global_load_dwordx2 v[1:2], v[37:38], off
	s_mov_b32 s6, exec_lo
	v_cmpx_o_f64_e32 v[19:20], v[19:20]
	s_cbranch_execz .LBB152_70
; %bb.67:                               ;   in Loop: Header=BB152_66 Depth=1
	s_waitcnt vmcnt(7)
	v_mov_b32_e32 v38, v32
	v_mov_b32_e32 v37, v31
	s_mov_b32 s18, exec_lo
	v_cmpx_o_f64_e32 v[31:32], v[31:32]
; %bb.68:                               ;   in Loop: Header=BB152_66 Depth=1
	v_cmp_lt_f64_e32 vcc_lo, v[19:20], v[31:32]
	v_cndmask_b32_e32 v38, v20, v32, vcc_lo
	v_cndmask_b32_e32 v37, v19, v31, vcc_lo
; %bb.69:                               ;   in Loop: Header=BB152_66 Depth=1
	s_or_b32 exec_lo, exec_lo, s18
	v_mov_b32_e32 v19, v37
	v_mov_b32_e32 v20, v38
.LBB152_70:                             ;   in Loop: Header=BB152_66 Depth=1
	s_or_b32 exec_lo, exec_lo, s6
	s_mov_b32 s6, exec_lo
	v_cmpx_o_f64_e32 v[19:20], v[19:20]
	s_cbranch_execz .LBB152_74
; %bb.71:                               ;   in Loop: Header=BB152_66 Depth=1
	s_waitcnt vmcnt(3)
	v_mov_b32_e32 v38, v34
	v_mov_b32_e32 v37, v33
	s_mov_b32 s18, exec_lo
	v_cmpx_o_f64_e32 v[33:34], v[33:34]
; %bb.72:                               ;   in Loop: Header=BB152_66 Depth=1
	v_cmp_lt_f64_e32 vcc_lo, v[19:20], v[33:34]
	v_cndmask_b32_e32 v38, v20, v34, vcc_lo
	v_cndmask_b32_e32 v37, v19, v33, vcc_lo
; %bb.73:                               ;   in Loop: Header=BB152_66 Depth=1
	s_or_b32 exec_lo, exec_lo, s18
	v_mov_b32_e32 v19, v37
	v_mov_b32_e32 v20, v38
.LBB152_74:                             ;   in Loop: Header=BB152_66 Depth=1
	s_or_b32 exec_lo, exec_lo, s6
	;; [unrolled: 19-line block ×8, first 2 shown]
	s_mov_b32 s6, exec_lo
	v_cmpx_o_f64_e32 v[19:20], v[19:20]
	s_cbranch_execz .LBB152_102
; %bb.99:                               ;   in Loop: Header=BB152_66 Depth=1
	s_waitcnt vmcnt(11)
	v_mov_b32_e32 v38, v16
	v_mov_b32_e32 v37, v15
	s_mov_b32 s18, exec_lo
	v_cmpx_o_f64_e32 v[15:16], v[15:16]
; %bb.100:                              ;   in Loop: Header=BB152_66 Depth=1
	v_cmp_lt_f64_e32 vcc_lo, v[19:20], v[15:16]
	v_cndmask_b32_e32 v38, v20, v16, vcc_lo
	v_cndmask_b32_e32 v37, v19, v15, vcc_lo
; %bb.101:                              ;   in Loop: Header=BB152_66 Depth=1
	s_or_b32 exec_lo, exec_lo, s18
	v_mov_b32_e32 v19, v37
	v_mov_b32_e32 v20, v38
.LBB152_102:                            ;   in Loop: Header=BB152_66 Depth=1
	s_or_b32 exec_lo, exec_lo, s6
	s_mov_b32 s6, exec_lo
	v_cmpx_o_f64_e32 v[19:20], v[19:20]
	s_cbranch_execz .LBB152_106
; %bb.103:                              ;   in Loop: Header=BB152_66 Depth=1
	s_waitcnt vmcnt(10)
	v_mov_b32_e32 v38, v14
	v_mov_b32_e32 v37, v13
	s_mov_b32 s18, exec_lo
	v_cmpx_o_f64_e32 v[13:14], v[13:14]
; %bb.104:                              ;   in Loop: Header=BB152_66 Depth=1
	v_cmp_lt_f64_e32 vcc_lo, v[19:20], v[13:14]
	v_cndmask_b32_e32 v38, v20, v14, vcc_lo
	v_cndmask_b32_e32 v37, v19, v13, vcc_lo
; %bb.105:                              ;   in Loop: Header=BB152_66 Depth=1
	s_or_b32 exec_lo, exec_lo, s18
	v_mov_b32_e32 v19, v37
	v_mov_b32_e32 v20, v38
.LBB152_106:                            ;   in Loop: Header=BB152_66 Depth=1
	s_or_b32 exec_lo, exec_lo, s6
	s_mov_b32 s6, exec_lo
	v_cmpx_o_f64_e32 v[19:20], v[19:20]
	s_cbranch_execz .LBB152_110
; %bb.107:                              ;   in Loop: Header=BB152_66 Depth=1
	s_waitcnt vmcnt(9)
	v_mov_b32_e32 v38, v12
	v_mov_b32_e32 v37, v11
	s_mov_b32 s18, exec_lo
	v_cmpx_o_f64_e32 v[11:12], v[11:12]
; %bb.108:                              ;   in Loop: Header=BB152_66 Depth=1
	v_cmp_lt_f64_e32 vcc_lo, v[19:20], v[11:12]
	v_cndmask_b32_e32 v38, v20, v12, vcc_lo
	v_cndmask_b32_e32 v37, v19, v11, vcc_lo
; %bb.109:                              ;   in Loop: Header=BB152_66 Depth=1
	s_or_b32 exec_lo, exec_lo, s18
	v_mov_b32_e32 v19, v37
	v_mov_b32_e32 v20, v38
.LBB152_110:                            ;   in Loop: Header=BB152_66 Depth=1
	;; [unrolled: 19-line block ×7, first 2 shown]
	s_or_b32 exec_lo, exec_lo, s6
	s_add_u32 s18, s0, 0x1000
	s_addc_u32 s19, s1, 0
	s_add_u32 s0, s0, 0x2000
	s_addc_u32 s1, s1, 0
	v_add_co_u32 v35, vcc_lo, 0x8000, v35
	v_cmp_lt_i64_e64 s0, s[0:1], s[14:15]
	v_add_co_ci_u32_e64 v36, null, 0, v36, vcc_lo
	s_and_b32 vcc_lo, exec_lo, s0
	s_cbranch_vccz .LBB152_134
; %bb.131:                              ;   in Loop: Header=BB152_66 Depth=1
	s_mov_b64 s[0:1], s[18:19]
	s_branch .LBB152_66
.LBB152_132:
	v_mov_b32_e32 v3, s12
	v_mov_b32_e32 v4, s13
	s_and_saveexec_b32 s0, s7
	s_cbranch_execnz .LBB152_373
	s_branch .LBB152_374
.LBB152_133:
                                        ; implicit-def: $vgpr1_vgpr2
	s_cbranch_execnz .LBB152_268
	s_branch .LBB152_366
.LBB152_134:
	s_mov_b64 s[0:1], s[18:19]
.LBB152_135:
	s_sub_i32 s6, s14, s0
	s_lshl_b64 s[0:1], s[0:1], 3
	s_mov_b32 s18, exec_lo
	s_add_u32 s0, s8, s0
	s_addc_u32 s1, s9, s1
	v_cmpx_gt_u32_e64 s6, v0
	s_cbranch_execz .LBB152_137
; %bb.136:
	global_load_dwordx2 v[31:32], v39, s[0:1]
.LBB152_137:
	s_or_b32 exec_lo, exec_lo, s18
	v_or_b32_e32 v49, 0x100, v0
	s_mov_b32 s18, exec_lo
	v_cmpx_gt_u32_e64 s6, v49
	s_cbranch_execz .LBB152_139
; %bb.138:
	s_waitcnt vmcnt(2)
	v_lshlrev_b32_e32 v33, 3, v49
	global_load_dwordx2 v[33:34], v33, s[0:1]
.LBB152_139:
	s_or_b32 exec_lo, exec_lo, s18
	v_or_b32_e32 v48, 0x200, v0
	s_mov_b32 s18, exec_lo
	v_cmpx_gt_u32_e64 s6, v48
	s_cbranch_execz .LBB152_141
; %bb.140:
	s_waitcnt vmcnt(1)
	v_lshlrev_b32_e32 v29, 3, v48
	global_load_dwordx2 v[29:30], v29, s[0:1]
.LBB152_141:
	;; [unrolled: 10-line block ×15, first 2 shown]
	s_or_b32 exec_lo, exec_lo, s18
	v_cmp_o_f64_e32 vcc_lo, v[19:20], v[19:20]
	v_cmp_gt_u32_e64 s0, s6, v0
	s_and_b32 s1, s0, vcc_lo
	s_and_saveexec_b32 s0, s1
	s_cbranch_execz .LBB152_171
; %bb.168:
	s_mov_b32 s1, exec_lo
	s_waitcnt vmcnt(0)
	v_cmpx_o_f64_e32 v[31:32], v[31:32]
; %bb.169:
	v_cmp_lt_f64_e32 vcc_lo, v[19:20], v[31:32]
	v_cndmask_b32_e32 v32, v20, v32, vcc_lo
	v_cndmask_b32_e32 v31, v19, v31, vcc_lo
; %bb.170:
	s_or_b32 exec_lo, exec_lo, s1
	v_mov_b32_e32 v19, v31
	v_mov_b32_e32 v20, v32
.LBB152_171:
	s_or_b32 exec_lo, exec_lo, s0
	v_cmp_o_f64_e32 vcc_lo, v[19:20], v[19:20]
	v_cmp_gt_u32_e64 s0, s6, v49
	s_and_b32 s1, s0, vcc_lo
	s_and_saveexec_b32 s0, s1
	s_cbranch_execz .LBB152_175
; %bb.172:
	s_mov_b32 s1, exec_lo
	s_waitcnt vmcnt(0)
	v_cmpx_o_f64_e32 v[33:34], v[33:34]
; %bb.173:
	v_cmp_lt_f64_e32 vcc_lo, v[19:20], v[33:34]
	v_cndmask_b32_e32 v34, v20, v34, vcc_lo
	v_cndmask_b32_e32 v33, v19, v33, vcc_lo
; %bb.174:
	s_or_b32 exec_lo, exec_lo, s1
	v_mov_b32_e32 v19, v33
	v_mov_b32_e32 v20, v34
.LBB152_175:
	;; [unrolled: 19-line block ×16, first 2 shown]
	s_or_b32 exec_lo, exec_lo, s0
	s_waitcnt vmcnt(0)
	v_mov_b32_dpp v1, v19 quad_perm:[1,0,3,2] row_mask:0xf bank_mask:0xf
	v_mov_b32_dpp v2, v20 quad_perm:[1,0,3,2] row_mask:0xf bank_mask:0xf
	s_mov_b32 s0, exec_lo
	v_cmpx_o_f64_e32 v[1:2], v[1:2]
	s_xor_b32 s0, exec_lo, s0
	s_cbranch_execz .LBB152_235
; %bb.232:
	s_mov_b32 s1, exec_lo
	v_cmpx_o_f64_e32 v[19:20], v[19:20]
; %bb.233:
	v_cmp_gt_f64_e32 vcc_lo, v[19:20], v[1:2]
	v_cndmask_b32_e32 v20, v2, v20, vcc_lo
	v_cndmask_b32_e32 v19, v1, v19, vcc_lo
; %bb.234:
	s_or_b32 exec_lo, exec_lo, s1
	v_mov_b32_e32 v1, v19
	v_mov_b32_e32 v2, v20
.LBB152_235:
	s_or_b32 exec_lo, exec_lo, s0
	v_mov_b32_dpp v3, v1 quad_perm:[2,3,0,1] row_mask:0xf bank_mask:0xf
	v_mov_b32_dpp v4, v2 quad_perm:[2,3,0,1] row_mask:0xf bank_mask:0xf
	s_mov_b32 s0, exec_lo
	v_cmpx_o_f64_e32 v[3:4], v[3:4]
	s_cbranch_execz .LBB152_239
; %bb.236:
	s_mov_b32 s1, exec_lo
	v_cmpx_o_f64_e32 v[1:2], v[1:2]
; %bb.237:
	v_cmp_gt_f64_e32 vcc_lo, v[1:2], v[3:4]
	v_cndmask_b32_e32 v2, v4, v2, vcc_lo
	v_cndmask_b32_e32 v1, v3, v1, vcc_lo
; %bb.238:
	s_or_b32 exec_lo, exec_lo, s1
	v_mov_b32_e32 v4, v2
	v_mov_b32_e32 v3, v1
.LBB152_239:
	s_or_b32 exec_lo, exec_lo, s0
	v_mov_b32_dpp v1, v3 row_ror:4 row_mask:0xf bank_mask:0xf
	v_mov_b32_dpp v2, v4 row_ror:4 row_mask:0xf bank_mask:0xf
	s_mov_b32 s0, exec_lo
	v_cmpx_o_f64_e32 v[1:2], v[1:2]
	s_cbranch_execz .LBB152_243
; %bb.240:
	s_mov_b32 s1, exec_lo
	v_cmpx_o_f64_e32 v[3:4], v[3:4]
; %bb.241:
	v_cmp_gt_f64_e32 vcc_lo, v[3:4], v[1:2]
	v_cndmask_b32_e32 v4, v2, v4, vcc_lo
	v_cndmask_b32_e32 v3, v1, v3, vcc_lo
; %bb.242:
	s_or_b32 exec_lo, exec_lo, s1
	v_mov_b32_e32 v1, v3
	v_mov_b32_e32 v2, v4
.LBB152_243:
	s_or_b32 exec_lo, exec_lo, s0
	v_mov_b32_dpp v3, v1 row_ror:8 row_mask:0xf bank_mask:0xf
	v_mov_b32_dpp v4, v2 row_ror:8 row_mask:0xf bank_mask:0xf
	s_mov_b32 s0, exec_lo
	v_cmpx_o_f64_e32 v[3:4], v[3:4]
	s_cbranch_execz .LBB152_247
; %bb.244:
	s_mov_b32 s1, exec_lo
	v_cmpx_o_f64_e32 v[1:2], v[1:2]
; %bb.245:
	v_cmp_gt_f64_e32 vcc_lo, v[1:2], v[3:4]
	v_cndmask_b32_e32 v2, v4, v2, vcc_lo
	v_cndmask_b32_e32 v1, v3, v1, vcc_lo
; %bb.246:
	s_or_b32 exec_lo, exec_lo, s1
	v_mov_b32_e32 v4, v2
	v_mov_b32_e32 v3, v1
.LBB152_247:
	s_or_b32 exec_lo, exec_lo, s0
	ds_swizzle_b32 v1, v3 offset:swizzle(BROADCAST,32,15)
	ds_swizzle_b32 v2, v4 offset:swizzle(BROADCAST,32,15)
	s_mov_b32 s0, exec_lo
	s_waitcnt lgkmcnt(0)
	v_cmpx_o_f64_e32 v[1:2], v[1:2]
	s_cbranch_execz .LBB152_251
; %bb.248:
	s_mov_b32 s1, exec_lo
	v_cmpx_o_f64_e32 v[3:4], v[3:4]
; %bb.249:
	v_cmp_gt_f64_e32 vcc_lo, v[3:4], v[1:2]
	v_cndmask_b32_e32 v4, v2, v4, vcc_lo
	v_cndmask_b32_e32 v3, v1, v3, vcc_lo
; %bb.250:
	s_or_b32 exec_lo, exec_lo, s1
	v_mov_b32_e32 v1, v3
	v_mov_b32_e32 v2, v4
.LBB152_251:
	s_or_b32 exec_lo, exec_lo, s0
	v_mov_b32_e32 v3, 0
	v_mbcnt_lo_u32_b32 v5, -1, 0
	s_mov_b32 s0, exec_lo
	ds_bpermute_b32 v1, v3, v1 offset:124
	ds_bpermute_b32 v2, v3, v2 offset:124
	v_cmpx_eq_u32_e32 0, v5
	s_cbranch_execz .LBB152_253
; %bb.252:
	v_lshrrev_b32_e32 v3, 2, v0
	v_and_b32_e32 v3, 56, v3
	s_waitcnt lgkmcnt(0)
	ds_write_b64 v3, v[1:2]
.LBB152_253:
	s_or_b32 exec_lo, exec_lo, s0
	s_mov_b32 s0, exec_lo
	s_waitcnt lgkmcnt(0)
	s_barrier
	buffer_gl0_inv
	v_cmpx_gt_u32_e32 32, v0
	s_cbranch_execz .LBB152_267
; %bb.254:
	v_and_b32_e32 v6, 7, v5
	s_mov_b32 s1, exec_lo
	v_lshlrev_b32_e32 v1, 3, v6
	v_cmp_ne_u32_e32 vcc_lo, 7, v6
	ds_read_b64 v[1:2], v1
	v_add_co_ci_u32_e64 v3, null, 0, v5, vcc_lo
	v_lshlrev_b32_e32 v4, 2, v3
	s_waitcnt lgkmcnt(0)
	ds_bpermute_b32 v3, v4, v1
	ds_bpermute_b32 v4, v4, v2
	v_cmpx_o_f64_e32 v[1:2], v[1:2]
	s_cbranch_execz .LBB152_258
; %bb.255:
	s_mov_b32 s6, exec_lo
	s_waitcnt lgkmcnt(0)
	v_cmpx_o_f64_e32 v[3:4], v[3:4]
; %bb.256:
	v_cmp_lt_f64_e32 vcc_lo, v[1:2], v[3:4]
	v_cndmask_b32_e32 v4, v2, v4, vcc_lo
	v_cndmask_b32_e32 v3, v1, v3, vcc_lo
; %bb.257:
	s_or_b32 exec_lo, exec_lo, s6
	v_mov_b32_e32 v1, v3
	v_mov_b32_e32 v2, v4
.LBB152_258:
	s_or_b32 exec_lo, exec_lo, s1
	v_cmp_gt_u32_e32 vcc_lo, 6, v6
	s_mov_b32 s1, exec_lo
	s_waitcnt lgkmcnt(1)
	v_cndmask_b32_e64 v3, 0, 2, vcc_lo
	s_waitcnt lgkmcnt(0)
	v_add_lshl_u32 v4, v3, v5, 2
	v_lshlrev_b32_e32 v5, 2, v5
	ds_bpermute_b32 v3, v4, v1
	ds_bpermute_b32 v4, v4, v2
	v_cmpx_o_f64_e32 v[1:2], v[1:2]
	s_cbranch_execz .LBB152_262
; %bb.259:
	s_mov_b32 s6, exec_lo
	s_waitcnt lgkmcnt(0)
	v_cmpx_o_f64_e32 v[3:4], v[3:4]
; %bb.260:
	v_cmp_lt_f64_e32 vcc_lo, v[1:2], v[3:4]
	v_cndmask_b32_e32 v4, v2, v4, vcc_lo
	v_cndmask_b32_e32 v3, v1, v3, vcc_lo
; %bb.261:
	s_or_b32 exec_lo, exec_lo, s6
	v_mov_b32_e32 v1, v3
	v_mov_b32_e32 v2, v4
.LBB152_262:
	s_or_b32 exec_lo, exec_lo, s1
	s_waitcnt lgkmcnt(0)
	v_or_b32_e32 v4, 16, v5
	s_mov_b32 s1, exec_lo
	ds_bpermute_b32 v3, v4, v1
	ds_bpermute_b32 v4, v4, v2
	v_cmpx_o_f64_e32 v[1:2], v[1:2]
	s_cbranch_execz .LBB152_266
; %bb.263:
	s_mov_b32 s6, exec_lo
	s_waitcnt lgkmcnt(0)
	v_cmpx_o_f64_e32 v[3:4], v[3:4]
; %bb.264:
	v_cmp_lt_f64_e32 vcc_lo, v[1:2], v[3:4]
	v_cndmask_b32_e32 v4, v2, v4, vcc_lo
	v_cndmask_b32_e32 v3, v1, v3, vcc_lo
; %bb.265:
	s_or_b32 exec_lo, exec_lo, s6
	v_mov_b32_e32 v1, v3
	v_mov_b32_e32 v2, v4
.LBB152_266:
	s_or_b32 exec_lo, exec_lo, s1
.LBB152_267:
	s_or_b32 exec_lo, exec_lo, s0
	s_branch .LBB152_366
.LBB152_268:
	s_sub_i32 s1, s14, s16
	s_mov_b32 s6, exec_lo
                                        ; implicit-def: $vgpr3_vgpr4
	v_cmpx_gt_u32_e64 s1, v0
	s_cbranch_execz .LBB152_278
; %bb.269:
	v_add_co_u32 v1, s0, s16, v0
	v_add_co_ci_u32_e64 v2, null, s17, 0, s0
	s_waitcnt lgkmcnt(0)
	v_lshlrev_b64 v[3:4], 3, v[1:2]
	v_add_co_u32 v5, vcc_lo, s8, v3
	v_add_co_ci_u32_e64 v6, null, s9, v4, vcc_lo
	v_add_co_u32 v1, vcc_lo, 0x100, v1
	v_add_co_ci_u32_e64 v2, null, 0, v2, vcc_lo
	global_load_dwordx2 v[3:4], v[5:6], off
	s_mov_b32 s8, exec_lo
	v_cmpx_gt_i64_e64 s[14:15], v[1:2]
	s_cbranch_execz .LBB152_277
; %bb.270:
	v_add_co_u32 v5, vcc_lo, 0x800, v5
	v_add_co_ci_u32_e64 v6, null, 0, v6, vcc_lo
	s_mov_b32 s9, 0
	s_inst_prefetch 0x1
	s_branch .LBB152_273
	.p2align	6
.LBB152_271:                            ;   in Loop: Header=BB152_273 Depth=1
	s_or_b32 exec_lo, exec_lo, s16
	v_mov_b32_e32 v3, v7
	v_mov_b32_e32 v4, v8
.LBB152_272:                            ;   in Loop: Header=BB152_273 Depth=1
	s_or_b32 exec_lo, exec_lo, s0
	v_add_co_u32 v1, vcc_lo, 0x100, v1
	v_add_co_ci_u32_e64 v2, null, 0, v2, vcc_lo
	v_add_co_u32 v5, s0, 0x800, v5
	v_add_co_ci_u32_e64 v6, null, 0, v6, s0
	v_cmp_le_i64_e32 vcc_lo, s[14:15], v[1:2]
	s_or_b32 s9, vcc_lo, s9
	s_andn2_b32 exec_lo, exec_lo, s9
	s_cbranch_execz .LBB152_276
.LBB152_273:                            ; =>This Inner Loop Header: Depth=1
	s_mov_b32 s0, exec_lo
	s_waitcnt vmcnt(0)
	v_cmpx_o_f64_e32 v[3:4], v[3:4]
	s_cbranch_execz .LBB152_272
; %bb.274:                              ;   in Loop: Header=BB152_273 Depth=1
	global_load_dwordx2 v[7:8], v[5:6], off
	s_mov_b32 s16, exec_lo
	s_waitcnt vmcnt(0)
	v_cmpx_o_f64_e32 v[7:8], v[7:8]
	s_cbranch_execz .LBB152_271
; %bb.275:                              ;   in Loop: Header=BB152_273 Depth=1
	v_cmp_lt_f64_e32 vcc_lo, v[3:4], v[7:8]
	v_cndmask_b32_e32 v8, v4, v8, vcc_lo
	v_cndmask_b32_e32 v7, v3, v7, vcc_lo
	s_branch .LBB152_271
.LBB152_276:
	s_inst_prefetch 0x2
	s_or_b32 exec_lo, exec_lo, s9
.LBB152_277:
	s_or_b32 exec_lo, exec_lo, s8
.LBB152_278:
	s_or_b32 exec_lo, exec_lo, s6
	v_lshrrev_b32_e32 v10, 5, v0
	v_mbcnt_lo_u32_b32 v9, -1, 0
	s_cmpk_lt_u32 s1, 0x100
	s_mov_b32 s0, -1
                                        ; implicit-def: $vgpr1_vgpr2
	s_cbranch_scc0 .LBB152_328
; %bb.279:
	v_cmp_ne_u32_e32 vcc_lo, 31, v9
	s_waitcnt vmcnt(0) lgkmcnt(1)
	v_mov_b32_e32 v5, v3
	s_waitcnt lgkmcnt(0)
	v_mov_b32_e32 v6, v4
	v_add_co_ci_u32_e64 v1, null, 0, v9, vcc_lo
	v_lshlrev_b32_e32 v1, 2, v1
	ds_bpermute_b32 v7, v1, v3
	ds_bpermute_b32 v8, v1, v4
	v_and_b32_e32 v1, 0xe0, v0
	v_sub_nc_u32_e64 v11, s1, v1 clamp
	v_add_nc_u32_e32 v1, 1, v9
	v_cmp_lt_u32_e32 vcc_lo, v1, v11
	v_mov_b32_e32 v1, v3
	v_mov_b32_e32 v2, v4
	s_and_saveexec_b32 s0, vcc_lo
	s_cbranch_execz .LBB152_285
; %bb.280:
	v_mov_b32_e32 v6, v4
	v_mov_b32_e32 v5, v3
	s_mov_b32 s6, exec_lo
	v_cmpx_o_f64_e32 v[3:4], v[3:4]
	s_cbranch_execz .LBB152_284
; %bb.281:
	s_mov_b32 s8, exec_lo
	s_waitcnt lgkmcnt(0)
	v_cmpx_o_f64_e32 v[7:8], v[7:8]
; %bb.282:
	v_cmp_lt_f64_e32 vcc_lo, v[3:4], v[7:8]
	v_cndmask_b32_e32 v8, v4, v8, vcc_lo
	v_cndmask_b32_e32 v7, v3, v7, vcc_lo
; %bb.283:
	s_or_b32 exec_lo, exec_lo, s8
	v_mov_b32_e32 v5, v7
	v_mov_b32_e32 v6, v8
.LBB152_284:
	s_or_b32 exec_lo, exec_lo, s6
	v_mov_b32_e32 v1, v5
	v_mov_b32_e32 v2, v6
.LBB152_285:
	s_or_b32 exec_lo, exec_lo, s0
	v_cmp_gt_u32_e32 vcc_lo, 30, v9
	v_add_nc_u32_e32 v12, 2, v9
	s_mov_b32 s0, exec_lo
	s_waitcnt lgkmcnt(1)
	v_cndmask_b32_e64 v7, 0, 2, vcc_lo
	s_waitcnt lgkmcnt(0)
	v_add_lshl_u32 v8, v7, v9, 2
	ds_bpermute_b32 v7, v8, v5
	ds_bpermute_b32 v8, v8, v6
	v_cmpx_lt_u32_e64 v12, v11
	s_cbranch_execz .LBB152_291
; %bb.286:
	s_mov_b32 s6, exec_lo
	v_cmpx_o_f64_e32 v[1:2], v[1:2]
	s_cbranch_execz .LBB152_290
; %bb.287:
	s_mov_b32 s8, exec_lo
	s_waitcnt lgkmcnt(0)
	v_cmpx_o_f64_e32 v[7:8], v[7:8]
; %bb.288:
	v_cmp_lt_f64_e32 vcc_lo, v[1:2], v[7:8]
	v_cndmask_b32_e32 v8, v2, v8, vcc_lo
	v_cndmask_b32_e32 v7, v1, v7, vcc_lo
; %bb.289:
	s_or_b32 exec_lo, exec_lo, s8
	v_mov_b32_e32 v1, v7
	v_mov_b32_e32 v2, v8
.LBB152_290:
	s_or_b32 exec_lo, exec_lo, s6
	v_mov_b32_e32 v5, v1
	v_mov_b32_e32 v6, v2
.LBB152_291:
	s_or_b32 exec_lo, exec_lo, s0
	v_cmp_gt_u32_e32 vcc_lo, 28, v9
	v_add_nc_u32_e32 v12, 4, v9
	s_mov_b32 s0, exec_lo
	s_waitcnt lgkmcnt(1)
	v_cndmask_b32_e64 v7, 0, 4, vcc_lo
	s_waitcnt lgkmcnt(0)
	v_add_lshl_u32 v8, v7, v9, 2
	ds_bpermute_b32 v7, v8, v5
	ds_bpermute_b32 v8, v8, v6
	v_cmpx_lt_u32_e64 v12, v11
	s_cbranch_execz .LBB152_297
; %bb.292:
	s_mov_b32 s6, exec_lo
	v_cmpx_o_f64_e32 v[1:2], v[1:2]
	s_cbranch_execz .LBB152_296
; %bb.293:
	s_mov_b32 s8, exec_lo
	s_waitcnt lgkmcnt(0)
	v_cmpx_o_f64_e32 v[7:8], v[7:8]
; %bb.294:
	v_cmp_lt_f64_e32 vcc_lo, v[1:2], v[7:8]
	v_cndmask_b32_e32 v8, v2, v8, vcc_lo
	v_cndmask_b32_e32 v7, v1, v7, vcc_lo
; %bb.295:
	s_or_b32 exec_lo, exec_lo, s8
	v_mov_b32_e32 v1, v7
	v_mov_b32_e32 v2, v8
.LBB152_296:
	s_or_b32 exec_lo, exec_lo, s6
	v_mov_b32_e32 v5, v1
	v_mov_b32_e32 v6, v2
.LBB152_297:
	;; [unrolled: 33-line block ×3, first 2 shown]
	s_or_b32 exec_lo, exec_lo, s0
	s_waitcnt lgkmcnt(1)
	v_lshlrev_b32_e32 v7, 2, v9
	v_cmp_o_f64_e32 vcc_lo, v[1:2], v[1:2]
	s_waitcnt lgkmcnt(0)
	v_or_b32_e32 v8, 64, v7
	ds_bpermute_b32 v5, v8, v5
	ds_bpermute_b32 v6, v8, v6
	v_add_nc_u32_e32 v8, 16, v9
	v_cmp_lt_u32_e64 s0, v8, v11
	s_and_b32 s6, s0, vcc_lo
	s_and_saveexec_b32 s0, s6
	s_cbranch_execz .LBB152_307
; %bb.304:
	s_mov_b32 s6, exec_lo
	s_waitcnt lgkmcnt(0)
	v_cmpx_o_f64_e32 v[5:6], v[5:6]
; %bb.305:
	v_cmp_lt_f64_e32 vcc_lo, v[1:2], v[5:6]
	v_cndmask_b32_e32 v6, v2, v6, vcc_lo
	v_cndmask_b32_e32 v5, v1, v5, vcc_lo
; %bb.306:
	s_or_b32 exec_lo, exec_lo, s6
	v_mov_b32_e32 v1, v5
	v_mov_b32_e32 v2, v6
.LBB152_307:
	s_or_b32 exec_lo, exec_lo, s0
	s_mov_b32 s0, exec_lo
	v_cmpx_eq_u32_e32 0, v9
	s_cbranch_execz .LBB152_309
; %bb.308:
	s_waitcnt lgkmcnt(1)
	v_lshlrev_b32_e32 v5, 3, v10
	ds_write_b64 v5, v[1:2]
.LBB152_309:
	s_or_b32 exec_lo, exec_lo, s0
	s_mov_b32 s6, exec_lo
	s_waitcnt lgkmcnt(0)
	s_barrier
	buffer_gl0_inv
	v_cmpx_gt_u32_e32 8, v0
	s_cbranch_execz .LBB152_327
; %bb.310:
	v_lshlrev_b32_e32 v1, 3, v9
	v_and_b32_e32 v8, 7, v9
	s_add_i32 s1, s1, 31
	s_lshr_b32 s0, s1, 5
	ds_read_b64 v[1:2], v1
	v_cmp_ne_u32_e32 vcc_lo, 7, v8
	v_add_nc_u32_e32 v11, 1, v8
	s_mov_b32 s1, exec_lo
	v_add_co_ci_u32_e64 v5, null, 0, v9, vcc_lo
	v_lshlrev_b32_e32 v6, 2, v5
	s_waitcnt lgkmcnt(0)
	ds_bpermute_b32 v5, v6, v1
	ds_bpermute_b32 v6, v6, v2
	v_cmpx_gt_u32_e64 s0, v11
	s_cbranch_execz .LBB152_316
; %bb.311:
	s_mov_b32 s8, exec_lo
	v_cmpx_o_f64_e32 v[1:2], v[1:2]
	s_cbranch_execz .LBB152_315
; %bb.312:
	s_mov_b32 s9, exec_lo
	s_waitcnt lgkmcnt(0)
	v_cmpx_o_f64_e32 v[5:6], v[5:6]
; %bb.313:
	v_cmp_lt_f64_e32 vcc_lo, v[1:2], v[5:6]
	v_cndmask_b32_e32 v6, v2, v6, vcc_lo
	v_cndmask_b32_e32 v5, v1, v5, vcc_lo
; %bb.314:
	s_or_b32 exec_lo, exec_lo, s9
	v_mov_b32_e32 v1, v5
	v_mov_b32_e32 v2, v6
.LBB152_315:
	s_or_b32 exec_lo, exec_lo, s8
.LBB152_316:
	s_or_b32 exec_lo, exec_lo, s1
	v_cmp_gt_u32_e32 vcc_lo, 6, v8
	v_add_nc_u32_e32 v11, 2, v8
	s_mov_b32 s1, exec_lo
	s_waitcnt lgkmcnt(1)
	v_cndmask_b32_e64 v5, 0, 2, vcc_lo
	s_waitcnt lgkmcnt(0)
	v_add_lshl_u32 v6, v5, v9, 2
	ds_bpermute_b32 v5, v6, v1
	ds_bpermute_b32 v6, v6, v2
	v_cmpx_gt_u32_e64 s0, v11
	s_cbranch_execz .LBB152_322
; %bb.317:
	s_mov_b32 s8, exec_lo
	v_cmpx_o_f64_e32 v[1:2], v[1:2]
	s_cbranch_execz .LBB152_321
; %bb.318:
	s_mov_b32 s9, exec_lo
	s_waitcnt lgkmcnt(0)
	v_cmpx_o_f64_e32 v[5:6], v[5:6]
; %bb.319:
	v_cmp_lt_f64_e32 vcc_lo, v[1:2], v[5:6]
	v_cndmask_b32_e32 v6, v2, v6, vcc_lo
	v_cndmask_b32_e32 v5, v1, v5, vcc_lo
; %bb.320:
	s_or_b32 exec_lo, exec_lo, s9
	v_mov_b32_e32 v1, v5
	v_mov_b32_e32 v2, v6
.LBB152_321:
	s_or_b32 exec_lo, exec_lo, s8
.LBB152_322:
	s_or_b32 exec_lo, exec_lo, s1
	s_waitcnt lgkmcnt(0)
	v_or_b32_e32 v6, 16, v7
	v_cmp_o_f64_e32 vcc_lo, v[1:2], v[1:2]
	v_add_nc_u32_e32 v7, 4, v8
	ds_bpermute_b32 v5, v6, v1
	ds_bpermute_b32 v6, v6, v2
	v_cmp_gt_u32_e64 s0, s0, v7
	s_and_b32 s1, s0, vcc_lo
	s_and_saveexec_b32 s0, s1
	s_cbranch_execz .LBB152_326
; %bb.323:
	s_mov_b32 s1, exec_lo
	s_waitcnt lgkmcnt(0)
	v_cmpx_o_f64_e32 v[5:6], v[5:6]
; %bb.324:
	v_cmp_lt_f64_e32 vcc_lo, v[1:2], v[5:6]
	v_cndmask_b32_e32 v6, v2, v6, vcc_lo
	v_cndmask_b32_e32 v5, v1, v5, vcc_lo
; %bb.325:
	s_or_b32 exec_lo, exec_lo, s1
	v_mov_b32_e32 v1, v5
	v_mov_b32_e32 v2, v6
.LBB152_326:
	s_or_b32 exec_lo, exec_lo, s0
.LBB152_327:
	s_or_b32 exec_lo, exec_lo, s6
	s_mov_b32 s0, 0
.LBB152_328:
	s_and_b32 vcc_lo, exec_lo, s0
	s_cbranch_vccz .LBB152_366
; %bb.329:
	s_waitcnt vmcnt(0) lgkmcnt(1)
	v_mov_b32_dpp v1, v3 quad_perm:[1,0,3,2] row_mask:0xf bank_mask:0xf
	s_waitcnt lgkmcnt(0)
	v_mov_b32_dpp v2, v4 quad_perm:[1,0,3,2] row_mask:0xf bank_mask:0xf
	s_mov_b32 s0, exec_lo
	v_cmpx_o_f64_e32 v[1:2], v[1:2]
	s_cbranch_execz .LBB152_333
; %bb.330:
	s_mov_b32 s1, exec_lo
	v_cmpx_o_f64_e32 v[3:4], v[3:4]
; %bb.331:
	v_cmp_gt_f64_e32 vcc_lo, v[3:4], v[1:2]
	v_cndmask_b32_e32 v4, v2, v4, vcc_lo
	v_cndmask_b32_e32 v3, v1, v3, vcc_lo
; %bb.332:
	s_or_b32 exec_lo, exec_lo, s1
	v_mov_b32_e32 v1, v3
	v_mov_b32_e32 v2, v4
.LBB152_333:
	s_or_b32 exec_lo, exec_lo, s0
	v_mov_b32_dpp v3, v1 quad_perm:[2,3,0,1] row_mask:0xf bank_mask:0xf
	v_mov_b32_dpp v4, v2 quad_perm:[2,3,0,1] row_mask:0xf bank_mask:0xf
	s_mov_b32 s0, exec_lo
	v_cmpx_o_f64_e32 v[3:4], v[3:4]
	s_cbranch_execz .LBB152_337
; %bb.334:
	s_mov_b32 s1, exec_lo
	v_cmpx_o_f64_e32 v[1:2], v[1:2]
; %bb.335:
	v_cmp_gt_f64_e32 vcc_lo, v[1:2], v[3:4]
	v_cndmask_b32_e32 v2, v4, v2, vcc_lo
	v_cndmask_b32_e32 v1, v3, v1, vcc_lo
; %bb.336:
	s_or_b32 exec_lo, exec_lo, s1
	v_mov_b32_e32 v4, v2
	v_mov_b32_e32 v3, v1
.LBB152_337:
	s_or_b32 exec_lo, exec_lo, s0
	v_mov_b32_dpp v1, v3 row_ror:4 row_mask:0xf bank_mask:0xf
	v_mov_b32_dpp v2, v4 row_ror:4 row_mask:0xf bank_mask:0xf
	s_mov_b32 s0, exec_lo
	v_cmpx_o_f64_e32 v[1:2], v[1:2]
	s_cbranch_execz .LBB152_341
; %bb.338:
	s_mov_b32 s1, exec_lo
	v_cmpx_o_f64_e32 v[3:4], v[3:4]
; %bb.339:
	v_cmp_gt_f64_e32 vcc_lo, v[3:4], v[1:2]
	v_cndmask_b32_e32 v4, v2, v4, vcc_lo
	v_cndmask_b32_e32 v3, v1, v3, vcc_lo
; %bb.340:
	s_or_b32 exec_lo, exec_lo, s1
	v_mov_b32_e32 v1, v3
	v_mov_b32_e32 v2, v4
.LBB152_341:
	s_or_b32 exec_lo, exec_lo, s0
	v_mov_b32_dpp v3, v1 row_ror:8 row_mask:0xf bank_mask:0xf
	v_mov_b32_dpp v4, v2 row_ror:8 row_mask:0xf bank_mask:0xf
	s_mov_b32 s0, exec_lo
	v_cmpx_o_f64_e32 v[3:4], v[3:4]
	s_cbranch_execz .LBB152_345
; %bb.342:
	s_mov_b32 s1, exec_lo
	v_cmpx_o_f64_e32 v[1:2], v[1:2]
; %bb.343:
	v_cmp_gt_f64_e32 vcc_lo, v[1:2], v[3:4]
	v_cndmask_b32_e32 v2, v4, v2, vcc_lo
	v_cndmask_b32_e32 v1, v3, v1, vcc_lo
; %bb.344:
	s_or_b32 exec_lo, exec_lo, s1
	v_mov_b32_e32 v4, v2
	v_mov_b32_e32 v3, v1
.LBB152_345:
	s_or_b32 exec_lo, exec_lo, s0
	ds_swizzle_b32 v1, v3 offset:swizzle(BROADCAST,32,15)
	ds_swizzle_b32 v2, v4 offset:swizzle(BROADCAST,32,15)
	s_mov_b32 s0, exec_lo
	s_waitcnt lgkmcnt(0)
	v_cmpx_o_f64_e32 v[1:2], v[1:2]
	s_cbranch_execz .LBB152_349
; %bb.346:
	s_mov_b32 s1, exec_lo
	v_cmpx_o_f64_e32 v[3:4], v[3:4]
; %bb.347:
	v_cmp_gt_f64_e32 vcc_lo, v[3:4], v[1:2]
	v_cndmask_b32_e32 v4, v2, v4, vcc_lo
	v_cndmask_b32_e32 v3, v1, v3, vcc_lo
; %bb.348:
	s_or_b32 exec_lo, exec_lo, s1
	v_mov_b32_e32 v1, v3
	v_mov_b32_e32 v2, v4
.LBB152_349:
	s_or_b32 exec_lo, exec_lo, s0
	v_mov_b32_e32 v3, 0
	s_mov_b32 s0, exec_lo
	ds_bpermute_b32 v1, v3, v1 offset:124
	ds_bpermute_b32 v2, v3, v2 offset:124
	v_cmpx_eq_u32_e32 0, v9
	s_cbranch_execz .LBB152_351
; %bb.350:
	v_lshlrev_b32_e32 v3, 3, v10
	s_waitcnt lgkmcnt(0)
	ds_write_b64 v3, v[1:2]
.LBB152_351:
	s_or_b32 exec_lo, exec_lo, s0
	s_mov_b32 s0, exec_lo
	s_waitcnt lgkmcnt(0)
	s_barrier
	buffer_gl0_inv
	v_cmpx_gt_u32_e32 32, v0
	s_cbranch_execz .LBB152_365
; %bb.352:
	v_and_b32_e32 v5, 7, v9
	s_mov_b32 s1, exec_lo
	v_lshlrev_b32_e32 v1, 3, v5
	v_cmp_ne_u32_e32 vcc_lo, 7, v5
	ds_read_b64 v[1:2], v1
	v_add_co_ci_u32_e64 v3, null, 0, v9, vcc_lo
	v_lshlrev_b32_e32 v4, 2, v3
	s_waitcnt lgkmcnt(0)
	ds_bpermute_b32 v3, v4, v1
	ds_bpermute_b32 v4, v4, v2
	v_cmpx_o_f64_e32 v[1:2], v[1:2]
	s_cbranch_execz .LBB152_356
; %bb.353:
	s_mov_b32 s6, exec_lo
	s_waitcnt lgkmcnt(0)
	v_cmpx_o_f64_e32 v[3:4], v[3:4]
; %bb.354:
	v_cmp_lt_f64_e32 vcc_lo, v[1:2], v[3:4]
	v_cndmask_b32_e32 v4, v2, v4, vcc_lo
	v_cndmask_b32_e32 v3, v1, v3, vcc_lo
; %bb.355:
	s_or_b32 exec_lo, exec_lo, s6
	v_mov_b32_e32 v1, v3
	v_mov_b32_e32 v2, v4
.LBB152_356:
	s_or_b32 exec_lo, exec_lo, s1
	v_cmp_gt_u32_e32 vcc_lo, 6, v5
	v_lshlrev_b32_e32 v5, 2, v9
	s_mov_b32 s1, exec_lo
	s_waitcnt lgkmcnt(1)
	v_cndmask_b32_e64 v3, 0, 2, vcc_lo
	s_waitcnt lgkmcnt(0)
	v_add_lshl_u32 v4, v3, v9, 2
	ds_bpermute_b32 v3, v4, v1
	ds_bpermute_b32 v4, v4, v2
	v_cmpx_o_f64_e32 v[1:2], v[1:2]
	s_cbranch_execz .LBB152_360
; %bb.357:
	s_mov_b32 s6, exec_lo
	s_waitcnt lgkmcnt(0)
	v_cmpx_o_f64_e32 v[3:4], v[3:4]
; %bb.358:
	v_cmp_lt_f64_e32 vcc_lo, v[1:2], v[3:4]
	v_cndmask_b32_e32 v4, v2, v4, vcc_lo
	v_cndmask_b32_e32 v3, v1, v3, vcc_lo
; %bb.359:
	s_or_b32 exec_lo, exec_lo, s6
	v_mov_b32_e32 v1, v3
	v_mov_b32_e32 v2, v4
.LBB152_360:
	s_or_b32 exec_lo, exec_lo, s1
	s_waitcnt lgkmcnt(0)
	v_or_b32_e32 v4, 16, v5
	s_mov_b32 s1, exec_lo
	ds_bpermute_b32 v3, v4, v1
	ds_bpermute_b32 v4, v4, v2
	v_cmpx_o_f64_e32 v[1:2], v[1:2]
	s_cbranch_execz .LBB152_364
; %bb.361:
	s_mov_b32 s6, exec_lo
	s_waitcnt lgkmcnt(0)
	v_cmpx_o_f64_e32 v[3:4], v[3:4]
; %bb.362:
	v_cmp_lt_f64_e32 vcc_lo, v[1:2], v[3:4]
	v_cndmask_b32_e32 v4, v2, v4, vcc_lo
	v_cndmask_b32_e32 v3, v1, v3, vcc_lo
; %bb.363:
	s_or_b32 exec_lo, exec_lo, s6
	v_mov_b32_e32 v1, v3
	v_mov_b32_e32 v2, v4
.LBB152_364:
	s_or_b32 exec_lo, exec_lo, s1
.LBB152_365:
	s_or_b32 exec_lo, exec_lo, s0
.LBB152_366:
	s_mov_b32 s0, exec_lo
                                        ; implicit-def: $vgpr3_vgpr4
	v_cmpx_eq_u32_e32 0, v0
	s_cbranch_execz .LBB152_372
; %bb.367:
	v_cmp_u_f64_e64 s1, s[12:13], s[12:13]
	s_waitcnt vmcnt(0) lgkmcnt(0)
	v_mov_b32_e32 v3, s12
	v_mov_b32_e32 v4, s13
	s_and_b32 vcc_lo, exec_lo, s1
	s_cbranch_vccnz .LBB152_371
; %bb.368:
	s_mov_b32 s1, exec_lo
	v_cmpx_o_f64_e32 v[1:2], v[1:2]
; %bb.369:
	v_cmp_lt_f64_e32 vcc_lo, s[12:13], v[1:2]
	v_cndmask_b32_e32 v2, s13, v2, vcc_lo
	v_cndmask_b32_e32 v1, s12, v1, vcc_lo
; %bb.370:
	s_or_b32 exec_lo, exec_lo, s1
	v_mov_b32_e32 v4, v2
	v_mov_b32_e32 v3, v1
.LBB152_371:
	s_or_b32 s7, s7, exec_lo
.LBB152_372:
	s_or_b32 exec_lo, exec_lo, s0
	s_and_saveexec_b32 s0, s7
	s_cbranch_execz .LBB152_374
.LBB152_373:
	s_add_u32 s0, s10, s2
	v_mov_b32_e32 v0, 0
	s_addc_u32 s1, s11, s3
	s_add_u32 s0, s0, s4
	s_addc_u32 s1, s1, s5
	s_waitcnt vmcnt(0) lgkmcnt(0)
	global_store_dwordx2 v0, v[3:4], s[0:1]
.LBB152_374:
	s_endpgm
	.section	.rodata,"a",@progbits
	.p2align	6, 0x0
	.amdhsa_kernel _ZN7rocprim17ROCPRIM_400000_NS6detail17trampoline_kernelINS0_14default_configENS1_32segmented_reduce_config_selectorIdEEZNS1_21segmented_reduce_implIS3_PKdPdPKldN6hipcub16HIPCUB_304000_NS6detail27convert_result_type_wrapperIS8_S9_N2at6native12_GLOBAL__N_19CustomMaxEEEEE10hipError_tPvRmT0_T1_jT2_SQ_T4_T3_P12ihipStream_tbEUlT_E_NS1_11comp_targetILNS1_3genE8ELNS1_11target_archE1030ELNS1_3gpuE2ELNS1_3repE0EEENS1_30default_config_static_selectorELNS0_4arch9wavefront6targetE0EEEvSP_
		.amdhsa_group_segment_fixed_size 64
		.amdhsa_private_segment_fixed_size 0
		.amdhsa_kernarg_size 56
		.amdhsa_user_sgpr_count 6
		.amdhsa_user_sgpr_private_segment_buffer 1
		.amdhsa_user_sgpr_dispatch_ptr 0
		.amdhsa_user_sgpr_queue_ptr 0
		.amdhsa_user_sgpr_kernarg_segment_ptr 1
		.amdhsa_user_sgpr_dispatch_id 0
		.amdhsa_user_sgpr_flat_scratch_init 0
		.amdhsa_user_sgpr_private_segment_size 0
		.amdhsa_wavefront_size32 1
		.amdhsa_uses_dynamic_stack 0
		.amdhsa_system_sgpr_private_segment_wavefront_offset 0
		.amdhsa_system_sgpr_workgroup_id_x 1
		.amdhsa_system_sgpr_workgroup_id_y 0
		.amdhsa_system_sgpr_workgroup_id_z 0
		.amdhsa_system_sgpr_workgroup_info 0
		.amdhsa_system_vgpr_workitem_id 0
		.amdhsa_next_free_vgpr 50
		.amdhsa_next_free_sgpr 22
		.amdhsa_reserve_vcc 1
		.amdhsa_reserve_flat_scratch 0
		.amdhsa_float_round_mode_32 0
		.amdhsa_float_round_mode_16_64 0
		.amdhsa_float_denorm_mode_32 3
		.amdhsa_float_denorm_mode_16_64 3
		.amdhsa_dx10_clamp 1
		.amdhsa_ieee_mode 1
		.amdhsa_fp16_overflow 0
		.amdhsa_workgroup_processor_mode 1
		.amdhsa_memory_ordered 1
		.amdhsa_forward_progress 1
		.amdhsa_shared_vgpr_count 0
		.amdhsa_exception_fp_ieee_invalid_op 0
		.amdhsa_exception_fp_denorm_src 0
		.amdhsa_exception_fp_ieee_div_zero 0
		.amdhsa_exception_fp_ieee_overflow 0
		.amdhsa_exception_fp_ieee_underflow 0
		.amdhsa_exception_fp_ieee_inexact 0
		.amdhsa_exception_int_div_zero 0
	.end_amdhsa_kernel
	.section	.text._ZN7rocprim17ROCPRIM_400000_NS6detail17trampoline_kernelINS0_14default_configENS1_32segmented_reduce_config_selectorIdEEZNS1_21segmented_reduce_implIS3_PKdPdPKldN6hipcub16HIPCUB_304000_NS6detail27convert_result_type_wrapperIS8_S9_N2at6native12_GLOBAL__N_19CustomMaxEEEEE10hipError_tPvRmT0_T1_jT2_SQ_T4_T3_P12ihipStream_tbEUlT_E_NS1_11comp_targetILNS1_3genE8ELNS1_11target_archE1030ELNS1_3gpuE2ELNS1_3repE0EEENS1_30default_config_static_selectorELNS0_4arch9wavefront6targetE0EEEvSP_,"axG",@progbits,_ZN7rocprim17ROCPRIM_400000_NS6detail17trampoline_kernelINS0_14default_configENS1_32segmented_reduce_config_selectorIdEEZNS1_21segmented_reduce_implIS3_PKdPdPKldN6hipcub16HIPCUB_304000_NS6detail27convert_result_type_wrapperIS8_S9_N2at6native12_GLOBAL__N_19CustomMaxEEEEE10hipError_tPvRmT0_T1_jT2_SQ_T4_T3_P12ihipStream_tbEUlT_E_NS1_11comp_targetILNS1_3genE8ELNS1_11target_archE1030ELNS1_3gpuE2ELNS1_3repE0EEENS1_30default_config_static_selectorELNS0_4arch9wavefront6targetE0EEEvSP_,comdat
.Lfunc_end152:
	.size	_ZN7rocprim17ROCPRIM_400000_NS6detail17trampoline_kernelINS0_14default_configENS1_32segmented_reduce_config_selectorIdEEZNS1_21segmented_reduce_implIS3_PKdPdPKldN6hipcub16HIPCUB_304000_NS6detail27convert_result_type_wrapperIS8_S9_N2at6native12_GLOBAL__N_19CustomMaxEEEEE10hipError_tPvRmT0_T1_jT2_SQ_T4_T3_P12ihipStream_tbEUlT_E_NS1_11comp_targetILNS1_3genE8ELNS1_11target_archE1030ELNS1_3gpuE2ELNS1_3repE0EEENS1_30default_config_static_selectorELNS0_4arch9wavefront6targetE0EEEvSP_, .Lfunc_end152-_ZN7rocprim17ROCPRIM_400000_NS6detail17trampoline_kernelINS0_14default_configENS1_32segmented_reduce_config_selectorIdEEZNS1_21segmented_reduce_implIS3_PKdPdPKldN6hipcub16HIPCUB_304000_NS6detail27convert_result_type_wrapperIS8_S9_N2at6native12_GLOBAL__N_19CustomMaxEEEEE10hipError_tPvRmT0_T1_jT2_SQ_T4_T3_P12ihipStream_tbEUlT_E_NS1_11comp_targetILNS1_3genE8ELNS1_11target_archE1030ELNS1_3gpuE2ELNS1_3repE0EEENS1_30default_config_static_selectorELNS0_4arch9wavefront6targetE0EEEvSP_
                                        ; -- End function
	.set _ZN7rocprim17ROCPRIM_400000_NS6detail17trampoline_kernelINS0_14default_configENS1_32segmented_reduce_config_selectorIdEEZNS1_21segmented_reduce_implIS3_PKdPdPKldN6hipcub16HIPCUB_304000_NS6detail27convert_result_type_wrapperIS8_S9_N2at6native12_GLOBAL__N_19CustomMaxEEEEE10hipError_tPvRmT0_T1_jT2_SQ_T4_T3_P12ihipStream_tbEUlT_E_NS1_11comp_targetILNS1_3genE8ELNS1_11target_archE1030ELNS1_3gpuE2ELNS1_3repE0EEENS1_30default_config_static_selectorELNS0_4arch9wavefront6targetE0EEEvSP_.num_vgpr, 50
	.set _ZN7rocprim17ROCPRIM_400000_NS6detail17trampoline_kernelINS0_14default_configENS1_32segmented_reduce_config_selectorIdEEZNS1_21segmented_reduce_implIS3_PKdPdPKldN6hipcub16HIPCUB_304000_NS6detail27convert_result_type_wrapperIS8_S9_N2at6native12_GLOBAL__N_19CustomMaxEEEEE10hipError_tPvRmT0_T1_jT2_SQ_T4_T3_P12ihipStream_tbEUlT_E_NS1_11comp_targetILNS1_3genE8ELNS1_11target_archE1030ELNS1_3gpuE2ELNS1_3repE0EEENS1_30default_config_static_selectorELNS0_4arch9wavefront6targetE0EEEvSP_.num_agpr, 0
	.set _ZN7rocprim17ROCPRIM_400000_NS6detail17trampoline_kernelINS0_14default_configENS1_32segmented_reduce_config_selectorIdEEZNS1_21segmented_reduce_implIS3_PKdPdPKldN6hipcub16HIPCUB_304000_NS6detail27convert_result_type_wrapperIS8_S9_N2at6native12_GLOBAL__N_19CustomMaxEEEEE10hipError_tPvRmT0_T1_jT2_SQ_T4_T3_P12ihipStream_tbEUlT_E_NS1_11comp_targetILNS1_3genE8ELNS1_11target_archE1030ELNS1_3gpuE2ELNS1_3repE0EEENS1_30default_config_static_selectorELNS0_4arch9wavefront6targetE0EEEvSP_.numbered_sgpr, 22
	.set _ZN7rocprim17ROCPRIM_400000_NS6detail17trampoline_kernelINS0_14default_configENS1_32segmented_reduce_config_selectorIdEEZNS1_21segmented_reduce_implIS3_PKdPdPKldN6hipcub16HIPCUB_304000_NS6detail27convert_result_type_wrapperIS8_S9_N2at6native12_GLOBAL__N_19CustomMaxEEEEE10hipError_tPvRmT0_T1_jT2_SQ_T4_T3_P12ihipStream_tbEUlT_E_NS1_11comp_targetILNS1_3genE8ELNS1_11target_archE1030ELNS1_3gpuE2ELNS1_3repE0EEENS1_30default_config_static_selectorELNS0_4arch9wavefront6targetE0EEEvSP_.num_named_barrier, 0
	.set _ZN7rocprim17ROCPRIM_400000_NS6detail17trampoline_kernelINS0_14default_configENS1_32segmented_reduce_config_selectorIdEEZNS1_21segmented_reduce_implIS3_PKdPdPKldN6hipcub16HIPCUB_304000_NS6detail27convert_result_type_wrapperIS8_S9_N2at6native12_GLOBAL__N_19CustomMaxEEEEE10hipError_tPvRmT0_T1_jT2_SQ_T4_T3_P12ihipStream_tbEUlT_E_NS1_11comp_targetILNS1_3genE8ELNS1_11target_archE1030ELNS1_3gpuE2ELNS1_3repE0EEENS1_30default_config_static_selectorELNS0_4arch9wavefront6targetE0EEEvSP_.private_seg_size, 0
	.set _ZN7rocprim17ROCPRIM_400000_NS6detail17trampoline_kernelINS0_14default_configENS1_32segmented_reduce_config_selectorIdEEZNS1_21segmented_reduce_implIS3_PKdPdPKldN6hipcub16HIPCUB_304000_NS6detail27convert_result_type_wrapperIS8_S9_N2at6native12_GLOBAL__N_19CustomMaxEEEEE10hipError_tPvRmT0_T1_jT2_SQ_T4_T3_P12ihipStream_tbEUlT_E_NS1_11comp_targetILNS1_3genE8ELNS1_11target_archE1030ELNS1_3gpuE2ELNS1_3repE0EEENS1_30default_config_static_selectorELNS0_4arch9wavefront6targetE0EEEvSP_.uses_vcc, 1
	.set _ZN7rocprim17ROCPRIM_400000_NS6detail17trampoline_kernelINS0_14default_configENS1_32segmented_reduce_config_selectorIdEEZNS1_21segmented_reduce_implIS3_PKdPdPKldN6hipcub16HIPCUB_304000_NS6detail27convert_result_type_wrapperIS8_S9_N2at6native12_GLOBAL__N_19CustomMaxEEEEE10hipError_tPvRmT0_T1_jT2_SQ_T4_T3_P12ihipStream_tbEUlT_E_NS1_11comp_targetILNS1_3genE8ELNS1_11target_archE1030ELNS1_3gpuE2ELNS1_3repE0EEENS1_30default_config_static_selectorELNS0_4arch9wavefront6targetE0EEEvSP_.uses_flat_scratch, 0
	.set _ZN7rocprim17ROCPRIM_400000_NS6detail17trampoline_kernelINS0_14default_configENS1_32segmented_reduce_config_selectorIdEEZNS1_21segmented_reduce_implIS3_PKdPdPKldN6hipcub16HIPCUB_304000_NS6detail27convert_result_type_wrapperIS8_S9_N2at6native12_GLOBAL__N_19CustomMaxEEEEE10hipError_tPvRmT0_T1_jT2_SQ_T4_T3_P12ihipStream_tbEUlT_E_NS1_11comp_targetILNS1_3genE8ELNS1_11target_archE1030ELNS1_3gpuE2ELNS1_3repE0EEENS1_30default_config_static_selectorELNS0_4arch9wavefront6targetE0EEEvSP_.has_dyn_sized_stack, 0
	.set _ZN7rocprim17ROCPRIM_400000_NS6detail17trampoline_kernelINS0_14default_configENS1_32segmented_reduce_config_selectorIdEEZNS1_21segmented_reduce_implIS3_PKdPdPKldN6hipcub16HIPCUB_304000_NS6detail27convert_result_type_wrapperIS8_S9_N2at6native12_GLOBAL__N_19CustomMaxEEEEE10hipError_tPvRmT0_T1_jT2_SQ_T4_T3_P12ihipStream_tbEUlT_E_NS1_11comp_targetILNS1_3genE8ELNS1_11target_archE1030ELNS1_3gpuE2ELNS1_3repE0EEENS1_30default_config_static_selectorELNS0_4arch9wavefront6targetE0EEEvSP_.has_recursion, 0
	.set _ZN7rocprim17ROCPRIM_400000_NS6detail17trampoline_kernelINS0_14default_configENS1_32segmented_reduce_config_selectorIdEEZNS1_21segmented_reduce_implIS3_PKdPdPKldN6hipcub16HIPCUB_304000_NS6detail27convert_result_type_wrapperIS8_S9_N2at6native12_GLOBAL__N_19CustomMaxEEEEE10hipError_tPvRmT0_T1_jT2_SQ_T4_T3_P12ihipStream_tbEUlT_E_NS1_11comp_targetILNS1_3genE8ELNS1_11target_archE1030ELNS1_3gpuE2ELNS1_3repE0EEENS1_30default_config_static_selectorELNS0_4arch9wavefront6targetE0EEEvSP_.has_indirect_call, 0
	.section	.AMDGPU.csdata,"",@progbits
; Kernel info:
; codeLenInByte = 7496
; TotalNumSgprs: 24
; NumVgprs: 50
; ScratchSize: 0
; MemoryBound: 1
; FloatMode: 240
; IeeeMode: 1
; LDSByteSize: 64 bytes/workgroup (compile time only)
; SGPRBlocks: 0
; VGPRBlocks: 6
; NumSGPRsForWavesPerEU: 24
; NumVGPRsForWavesPerEU: 50
; Occupancy: 16
; WaveLimiterHint : 1
; COMPUTE_PGM_RSRC2:SCRATCH_EN: 0
; COMPUTE_PGM_RSRC2:USER_SGPR: 6
; COMPUTE_PGM_RSRC2:TRAP_HANDLER: 0
; COMPUTE_PGM_RSRC2:TGID_X_EN: 1
; COMPUTE_PGM_RSRC2:TGID_Y_EN: 0
; COMPUTE_PGM_RSRC2:TGID_Z_EN: 0
; COMPUTE_PGM_RSRC2:TIDIG_COMP_CNT: 0
	.section	.text._ZN7rocprim17ROCPRIM_400000_NS6detail17trampoline_kernelINS0_14default_configENS1_32segmented_reduce_config_selectorIdEEZNS1_21segmented_reduce_implIS3_PKdPdPKldN6hipcub16HIPCUB_304000_NS6detail27convert_result_type_wrapperIS8_S9_N2at6native12_GLOBAL__N_19CustomSumEEEEE10hipError_tPvRmT0_T1_jT2_SQ_T4_T3_P12ihipStream_tbEUlT_E_NS1_11comp_targetILNS1_3genE0ELNS1_11target_archE4294967295ELNS1_3gpuE0ELNS1_3repE0EEENS1_30default_config_static_selectorELNS0_4arch9wavefront6targetE0EEEvSP_,"axG",@progbits,_ZN7rocprim17ROCPRIM_400000_NS6detail17trampoline_kernelINS0_14default_configENS1_32segmented_reduce_config_selectorIdEEZNS1_21segmented_reduce_implIS3_PKdPdPKldN6hipcub16HIPCUB_304000_NS6detail27convert_result_type_wrapperIS8_S9_N2at6native12_GLOBAL__N_19CustomSumEEEEE10hipError_tPvRmT0_T1_jT2_SQ_T4_T3_P12ihipStream_tbEUlT_E_NS1_11comp_targetILNS1_3genE0ELNS1_11target_archE4294967295ELNS1_3gpuE0ELNS1_3repE0EEENS1_30default_config_static_selectorELNS0_4arch9wavefront6targetE0EEEvSP_,comdat
	.globl	_ZN7rocprim17ROCPRIM_400000_NS6detail17trampoline_kernelINS0_14default_configENS1_32segmented_reduce_config_selectorIdEEZNS1_21segmented_reduce_implIS3_PKdPdPKldN6hipcub16HIPCUB_304000_NS6detail27convert_result_type_wrapperIS8_S9_N2at6native12_GLOBAL__N_19CustomSumEEEEE10hipError_tPvRmT0_T1_jT2_SQ_T4_T3_P12ihipStream_tbEUlT_E_NS1_11comp_targetILNS1_3genE0ELNS1_11target_archE4294967295ELNS1_3gpuE0ELNS1_3repE0EEENS1_30default_config_static_selectorELNS0_4arch9wavefront6targetE0EEEvSP_ ; -- Begin function _ZN7rocprim17ROCPRIM_400000_NS6detail17trampoline_kernelINS0_14default_configENS1_32segmented_reduce_config_selectorIdEEZNS1_21segmented_reduce_implIS3_PKdPdPKldN6hipcub16HIPCUB_304000_NS6detail27convert_result_type_wrapperIS8_S9_N2at6native12_GLOBAL__N_19CustomSumEEEEE10hipError_tPvRmT0_T1_jT2_SQ_T4_T3_P12ihipStream_tbEUlT_E_NS1_11comp_targetILNS1_3genE0ELNS1_11target_archE4294967295ELNS1_3gpuE0ELNS1_3repE0EEENS1_30default_config_static_selectorELNS0_4arch9wavefront6targetE0EEEvSP_
	.p2align	8
	.type	_ZN7rocprim17ROCPRIM_400000_NS6detail17trampoline_kernelINS0_14default_configENS1_32segmented_reduce_config_selectorIdEEZNS1_21segmented_reduce_implIS3_PKdPdPKldN6hipcub16HIPCUB_304000_NS6detail27convert_result_type_wrapperIS8_S9_N2at6native12_GLOBAL__N_19CustomSumEEEEE10hipError_tPvRmT0_T1_jT2_SQ_T4_T3_P12ihipStream_tbEUlT_E_NS1_11comp_targetILNS1_3genE0ELNS1_11target_archE4294967295ELNS1_3gpuE0ELNS1_3repE0EEENS1_30default_config_static_selectorELNS0_4arch9wavefront6targetE0EEEvSP_,@function
_ZN7rocprim17ROCPRIM_400000_NS6detail17trampoline_kernelINS0_14default_configENS1_32segmented_reduce_config_selectorIdEEZNS1_21segmented_reduce_implIS3_PKdPdPKldN6hipcub16HIPCUB_304000_NS6detail27convert_result_type_wrapperIS8_S9_N2at6native12_GLOBAL__N_19CustomSumEEEEE10hipError_tPvRmT0_T1_jT2_SQ_T4_T3_P12ihipStream_tbEUlT_E_NS1_11comp_targetILNS1_3genE0ELNS1_11target_archE4294967295ELNS1_3gpuE0ELNS1_3repE0EEENS1_30default_config_static_selectorELNS0_4arch9wavefront6targetE0EEEvSP_: ; @_ZN7rocprim17ROCPRIM_400000_NS6detail17trampoline_kernelINS0_14default_configENS1_32segmented_reduce_config_selectorIdEEZNS1_21segmented_reduce_implIS3_PKdPdPKldN6hipcub16HIPCUB_304000_NS6detail27convert_result_type_wrapperIS8_S9_N2at6native12_GLOBAL__N_19CustomSumEEEEE10hipError_tPvRmT0_T1_jT2_SQ_T4_T3_P12ihipStream_tbEUlT_E_NS1_11comp_targetILNS1_3genE0ELNS1_11target_archE4294967295ELNS1_3gpuE0ELNS1_3repE0EEENS1_30default_config_static_selectorELNS0_4arch9wavefront6targetE0EEEvSP_
; %bb.0:
	.section	.rodata,"a",@progbits
	.p2align	6, 0x0
	.amdhsa_kernel _ZN7rocprim17ROCPRIM_400000_NS6detail17trampoline_kernelINS0_14default_configENS1_32segmented_reduce_config_selectorIdEEZNS1_21segmented_reduce_implIS3_PKdPdPKldN6hipcub16HIPCUB_304000_NS6detail27convert_result_type_wrapperIS8_S9_N2at6native12_GLOBAL__N_19CustomSumEEEEE10hipError_tPvRmT0_T1_jT2_SQ_T4_T3_P12ihipStream_tbEUlT_E_NS1_11comp_targetILNS1_3genE0ELNS1_11target_archE4294967295ELNS1_3gpuE0ELNS1_3repE0EEENS1_30default_config_static_selectorELNS0_4arch9wavefront6targetE0EEEvSP_
		.amdhsa_group_segment_fixed_size 0
		.amdhsa_private_segment_fixed_size 0
		.amdhsa_kernarg_size 56
		.amdhsa_user_sgpr_count 6
		.amdhsa_user_sgpr_private_segment_buffer 1
		.amdhsa_user_sgpr_dispatch_ptr 0
		.amdhsa_user_sgpr_queue_ptr 0
		.amdhsa_user_sgpr_kernarg_segment_ptr 1
		.amdhsa_user_sgpr_dispatch_id 0
		.amdhsa_user_sgpr_flat_scratch_init 0
		.amdhsa_user_sgpr_private_segment_size 0
		.amdhsa_wavefront_size32 1
		.amdhsa_uses_dynamic_stack 0
		.amdhsa_system_sgpr_private_segment_wavefront_offset 0
		.amdhsa_system_sgpr_workgroup_id_x 1
		.amdhsa_system_sgpr_workgroup_id_y 0
		.amdhsa_system_sgpr_workgroup_id_z 0
		.amdhsa_system_sgpr_workgroup_info 0
		.amdhsa_system_vgpr_workitem_id 0
		.amdhsa_next_free_vgpr 1
		.amdhsa_next_free_sgpr 1
		.amdhsa_reserve_vcc 0
		.amdhsa_reserve_flat_scratch 0
		.amdhsa_float_round_mode_32 0
		.amdhsa_float_round_mode_16_64 0
		.amdhsa_float_denorm_mode_32 3
		.amdhsa_float_denorm_mode_16_64 3
		.amdhsa_dx10_clamp 1
		.amdhsa_ieee_mode 1
		.amdhsa_fp16_overflow 0
		.amdhsa_workgroup_processor_mode 1
		.amdhsa_memory_ordered 1
		.amdhsa_forward_progress 1
		.amdhsa_shared_vgpr_count 0
		.amdhsa_exception_fp_ieee_invalid_op 0
		.amdhsa_exception_fp_denorm_src 0
		.amdhsa_exception_fp_ieee_div_zero 0
		.amdhsa_exception_fp_ieee_overflow 0
		.amdhsa_exception_fp_ieee_underflow 0
		.amdhsa_exception_fp_ieee_inexact 0
		.amdhsa_exception_int_div_zero 0
	.end_amdhsa_kernel
	.section	.text._ZN7rocprim17ROCPRIM_400000_NS6detail17trampoline_kernelINS0_14default_configENS1_32segmented_reduce_config_selectorIdEEZNS1_21segmented_reduce_implIS3_PKdPdPKldN6hipcub16HIPCUB_304000_NS6detail27convert_result_type_wrapperIS8_S9_N2at6native12_GLOBAL__N_19CustomSumEEEEE10hipError_tPvRmT0_T1_jT2_SQ_T4_T3_P12ihipStream_tbEUlT_E_NS1_11comp_targetILNS1_3genE0ELNS1_11target_archE4294967295ELNS1_3gpuE0ELNS1_3repE0EEENS1_30default_config_static_selectorELNS0_4arch9wavefront6targetE0EEEvSP_,"axG",@progbits,_ZN7rocprim17ROCPRIM_400000_NS6detail17trampoline_kernelINS0_14default_configENS1_32segmented_reduce_config_selectorIdEEZNS1_21segmented_reduce_implIS3_PKdPdPKldN6hipcub16HIPCUB_304000_NS6detail27convert_result_type_wrapperIS8_S9_N2at6native12_GLOBAL__N_19CustomSumEEEEE10hipError_tPvRmT0_T1_jT2_SQ_T4_T3_P12ihipStream_tbEUlT_E_NS1_11comp_targetILNS1_3genE0ELNS1_11target_archE4294967295ELNS1_3gpuE0ELNS1_3repE0EEENS1_30default_config_static_selectorELNS0_4arch9wavefront6targetE0EEEvSP_,comdat
.Lfunc_end153:
	.size	_ZN7rocprim17ROCPRIM_400000_NS6detail17trampoline_kernelINS0_14default_configENS1_32segmented_reduce_config_selectorIdEEZNS1_21segmented_reduce_implIS3_PKdPdPKldN6hipcub16HIPCUB_304000_NS6detail27convert_result_type_wrapperIS8_S9_N2at6native12_GLOBAL__N_19CustomSumEEEEE10hipError_tPvRmT0_T1_jT2_SQ_T4_T3_P12ihipStream_tbEUlT_E_NS1_11comp_targetILNS1_3genE0ELNS1_11target_archE4294967295ELNS1_3gpuE0ELNS1_3repE0EEENS1_30default_config_static_selectorELNS0_4arch9wavefront6targetE0EEEvSP_, .Lfunc_end153-_ZN7rocprim17ROCPRIM_400000_NS6detail17trampoline_kernelINS0_14default_configENS1_32segmented_reduce_config_selectorIdEEZNS1_21segmented_reduce_implIS3_PKdPdPKldN6hipcub16HIPCUB_304000_NS6detail27convert_result_type_wrapperIS8_S9_N2at6native12_GLOBAL__N_19CustomSumEEEEE10hipError_tPvRmT0_T1_jT2_SQ_T4_T3_P12ihipStream_tbEUlT_E_NS1_11comp_targetILNS1_3genE0ELNS1_11target_archE4294967295ELNS1_3gpuE0ELNS1_3repE0EEENS1_30default_config_static_selectorELNS0_4arch9wavefront6targetE0EEEvSP_
                                        ; -- End function
	.set _ZN7rocprim17ROCPRIM_400000_NS6detail17trampoline_kernelINS0_14default_configENS1_32segmented_reduce_config_selectorIdEEZNS1_21segmented_reduce_implIS3_PKdPdPKldN6hipcub16HIPCUB_304000_NS6detail27convert_result_type_wrapperIS8_S9_N2at6native12_GLOBAL__N_19CustomSumEEEEE10hipError_tPvRmT0_T1_jT2_SQ_T4_T3_P12ihipStream_tbEUlT_E_NS1_11comp_targetILNS1_3genE0ELNS1_11target_archE4294967295ELNS1_3gpuE0ELNS1_3repE0EEENS1_30default_config_static_selectorELNS0_4arch9wavefront6targetE0EEEvSP_.num_vgpr, 0
	.set _ZN7rocprim17ROCPRIM_400000_NS6detail17trampoline_kernelINS0_14default_configENS1_32segmented_reduce_config_selectorIdEEZNS1_21segmented_reduce_implIS3_PKdPdPKldN6hipcub16HIPCUB_304000_NS6detail27convert_result_type_wrapperIS8_S9_N2at6native12_GLOBAL__N_19CustomSumEEEEE10hipError_tPvRmT0_T1_jT2_SQ_T4_T3_P12ihipStream_tbEUlT_E_NS1_11comp_targetILNS1_3genE0ELNS1_11target_archE4294967295ELNS1_3gpuE0ELNS1_3repE0EEENS1_30default_config_static_selectorELNS0_4arch9wavefront6targetE0EEEvSP_.num_agpr, 0
	.set _ZN7rocprim17ROCPRIM_400000_NS6detail17trampoline_kernelINS0_14default_configENS1_32segmented_reduce_config_selectorIdEEZNS1_21segmented_reduce_implIS3_PKdPdPKldN6hipcub16HIPCUB_304000_NS6detail27convert_result_type_wrapperIS8_S9_N2at6native12_GLOBAL__N_19CustomSumEEEEE10hipError_tPvRmT0_T1_jT2_SQ_T4_T3_P12ihipStream_tbEUlT_E_NS1_11comp_targetILNS1_3genE0ELNS1_11target_archE4294967295ELNS1_3gpuE0ELNS1_3repE0EEENS1_30default_config_static_selectorELNS0_4arch9wavefront6targetE0EEEvSP_.numbered_sgpr, 0
	.set _ZN7rocprim17ROCPRIM_400000_NS6detail17trampoline_kernelINS0_14default_configENS1_32segmented_reduce_config_selectorIdEEZNS1_21segmented_reduce_implIS3_PKdPdPKldN6hipcub16HIPCUB_304000_NS6detail27convert_result_type_wrapperIS8_S9_N2at6native12_GLOBAL__N_19CustomSumEEEEE10hipError_tPvRmT0_T1_jT2_SQ_T4_T3_P12ihipStream_tbEUlT_E_NS1_11comp_targetILNS1_3genE0ELNS1_11target_archE4294967295ELNS1_3gpuE0ELNS1_3repE0EEENS1_30default_config_static_selectorELNS0_4arch9wavefront6targetE0EEEvSP_.num_named_barrier, 0
	.set _ZN7rocprim17ROCPRIM_400000_NS6detail17trampoline_kernelINS0_14default_configENS1_32segmented_reduce_config_selectorIdEEZNS1_21segmented_reduce_implIS3_PKdPdPKldN6hipcub16HIPCUB_304000_NS6detail27convert_result_type_wrapperIS8_S9_N2at6native12_GLOBAL__N_19CustomSumEEEEE10hipError_tPvRmT0_T1_jT2_SQ_T4_T3_P12ihipStream_tbEUlT_E_NS1_11comp_targetILNS1_3genE0ELNS1_11target_archE4294967295ELNS1_3gpuE0ELNS1_3repE0EEENS1_30default_config_static_selectorELNS0_4arch9wavefront6targetE0EEEvSP_.private_seg_size, 0
	.set _ZN7rocprim17ROCPRIM_400000_NS6detail17trampoline_kernelINS0_14default_configENS1_32segmented_reduce_config_selectorIdEEZNS1_21segmented_reduce_implIS3_PKdPdPKldN6hipcub16HIPCUB_304000_NS6detail27convert_result_type_wrapperIS8_S9_N2at6native12_GLOBAL__N_19CustomSumEEEEE10hipError_tPvRmT0_T1_jT2_SQ_T4_T3_P12ihipStream_tbEUlT_E_NS1_11comp_targetILNS1_3genE0ELNS1_11target_archE4294967295ELNS1_3gpuE0ELNS1_3repE0EEENS1_30default_config_static_selectorELNS0_4arch9wavefront6targetE0EEEvSP_.uses_vcc, 0
	.set _ZN7rocprim17ROCPRIM_400000_NS6detail17trampoline_kernelINS0_14default_configENS1_32segmented_reduce_config_selectorIdEEZNS1_21segmented_reduce_implIS3_PKdPdPKldN6hipcub16HIPCUB_304000_NS6detail27convert_result_type_wrapperIS8_S9_N2at6native12_GLOBAL__N_19CustomSumEEEEE10hipError_tPvRmT0_T1_jT2_SQ_T4_T3_P12ihipStream_tbEUlT_E_NS1_11comp_targetILNS1_3genE0ELNS1_11target_archE4294967295ELNS1_3gpuE0ELNS1_3repE0EEENS1_30default_config_static_selectorELNS0_4arch9wavefront6targetE0EEEvSP_.uses_flat_scratch, 0
	.set _ZN7rocprim17ROCPRIM_400000_NS6detail17trampoline_kernelINS0_14default_configENS1_32segmented_reduce_config_selectorIdEEZNS1_21segmented_reduce_implIS3_PKdPdPKldN6hipcub16HIPCUB_304000_NS6detail27convert_result_type_wrapperIS8_S9_N2at6native12_GLOBAL__N_19CustomSumEEEEE10hipError_tPvRmT0_T1_jT2_SQ_T4_T3_P12ihipStream_tbEUlT_E_NS1_11comp_targetILNS1_3genE0ELNS1_11target_archE4294967295ELNS1_3gpuE0ELNS1_3repE0EEENS1_30default_config_static_selectorELNS0_4arch9wavefront6targetE0EEEvSP_.has_dyn_sized_stack, 0
	.set _ZN7rocprim17ROCPRIM_400000_NS6detail17trampoline_kernelINS0_14default_configENS1_32segmented_reduce_config_selectorIdEEZNS1_21segmented_reduce_implIS3_PKdPdPKldN6hipcub16HIPCUB_304000_NS6detail27convert_result_type_wrapperIS8_S9_N2at6native12_GLOBAL__N_19CustomSumEEEEE10hipError_tPvRmT0_T1_jT2_SQ_T4_T3_P12ihipStream_tbEUlT_E_NS1_11comp_targetILNS1_3genE0ELNS1_11target_archE4294967295ELNS1_3gpuE0ELNS1_3repE0EEENS1_30default_config_static_selectorELNS0_4arch9wavefront6targetE0EEEvSP_.has_recursion, 0
	.set _ZN7rocprim17ROCPRIM_400000_NS6detail17trampoline_kernelINS0_14default_configENS1_32segmented_reduce_config_selectorIdEEZNS1_21segmented_reduce_implIS3_PKdPdPKldN6hipcub16HIPCUB_304000_NS6detail27convert_result_type_wrapperIS8_S9_N2at6native12_GLOBAL__N_19CustomSumEEEEE10hipError_tPvRmT0_T1_jT2_SQ_T4_T3_P12ihipStream_tbEUlT_E_NS1_11comp_targetILNS1_3genE0ELNS1_11target_archE4294967295ELNS1_3gpuE0ELNS1_3repE0EEENS1_30default_config_static_selectorELNS0_4arch9wavefront6targetE0EEEvSP_.has_indirect_call, 0
	.section	.AMDGPU.csdata,"",@progbits
; Kernel info:
; codeLenInByte = 0
; TotalNumSgprs: 0
; NumVgprs: 0
; ScratchSize: 0
; MemoryBound: 0
; FloatMode: 240
; IeeeMode: 1
; LDSByteSize: 0 bytes/workgroup (compile time only)
; SGPRBlocks: 0
; VGPRBlocks: 0
; NumSGPRsForWavesPerEU: 1
; NumVGPRsForWavesPerEU: 1
; Occupancy: 16
; WaveLimiterHint : 0
; COMPUTE_PGM_RSRC2:SCRATCH_EN: 0
; COMPUTE_PGM_RSRC2:USER_SGPR: 6
; COMPUTE_PGM_RSRC2:TRAP_HANDLER: 0
; COMPUTE_PGM_RSRC2:TGID_X_EN: 1
; COMPUTE_PGM_RSRC2:TGID_Y_EN: 0
; COMPUTE_PGM_RSRC2:TGID_Z_EN: 0
; COMPUTE_PGM_RSRC2:TIDIG_COMP_CNT: 0
	.section	.text._ZN7rocprim17ROCPRIM_400000_NS6detail17trampoline_kernelINS0_14default_configENS1_32segmented_reduce_config_selectorIdEEZNS1_21segmented_reduce_implIS3_PKdPdPKldN6hipcub16HIPCUB_304000_NS6detail27convert_result_type_wrapperIS8_S9_N2at6native12_GLOBAL__N_19CustomSumEEEEE10hipError_tPvRmT0_T1_jT2_SQ_T4_T3_P12ihipStream_tbEUlT_E_NS1_11comp_targetILNS1_3genE5ELNS1_11target_archE942ELNS1_3gpuE9ELNS1_3repE0EEENS1_30default_config_static_selectorELNS0_4arch9wavefront6targetE0EEEvSP_,"axG",@progbits,_ZN7rocprim17ROCPRIM_400000_NS6detail17trampoline_kernelINS0_14default_configENS1_32segmented_reduce_config_selectorIdEEZNS1_21segmented_reduce_implIS3_PKdPdPKldN6hipcub16HIPCUB_304000_NS6detail27convert_result_type_wrapperIS8_S9_N2at6native12_GLOBAL__N_19CustomSumEEEEE10hipError_tPvRmT0_T1_jT2_SQ_T4_T3_P12ihipStream_tbEUlT_E_NS1_11comp_targetILNS1_3genE5ELNS1_11target_archE942ELNS1_3gpuE9ELNS1_3repE0EEENS1_30default_config_static_selectorELNS0_4arch9wavefront6targetE0EEEvSP_,comdat
	.globl	_ZN7rocprim17ROCPRIM_400000_NS6detail17trampoline_kernelINS0_14default_configENS1_32segmented_reduce_config_selectorIdEEZNS1_21segmented_reduce_implIS3_PKdPdPKldN6hipcub16HIPCUB_304000_NS6detail27convert_result_type_wrapperIS8_S9_N2at6native12_GLOBAL__N_19CustomSumEEEEE10hipError_tPvRmT0_T1_jT2_SQ_T4_T3_P12ihipStream_tbEUlT_E_NS1_11comp_targetILNS1_3genE5ELNS1_11target_archE942ELNS1_3gpuE9ELNS1_3repE0EEENS1_30default_config_static_selectorELNS0_4arch9wavefront6targetE0EEEvSP_ ; -- Begin function _ZN7rocprim17ROCPRIM_400000_NS6detail17trampoline_kernelINS0_14default_configENS1_32segmented_reduce_config_selectorIdEEZNS1_21segmented_reduce_implIS3_PKdPdPKldN6hipcub16HIPCUB_304000_NS6detail27convert_result_type_wrapperIS8_S9_N2at6native12_GLOBAL__N_19CustomSumEEEEE10hipError_tPvRmT0_T1_jT2_SQ_T4_T3_P12ihipStream_tbEUlT_E_NS1_11comp_targetILNS1_3genE5ELNS1_11target_archE942ELNS1_3gpuE9ELNS1_3repE0EEENS1_30default_config_static_selectorELNS0_4arch9wavefront6targetE0EEEvSP_
	.p2align	8
	.type	_ZN7rocprim17ROCPRIM_400000_NS6detail17trampoline_kernelINS0_14default_configENS1_32segmented_reduce_config_selectorIdEEZNS1_21segmented_reduce_implIS3_PKdPdPKldN6hipcub16HIPCUB_304000_NS6detail27convert_result_type_wrapperIS8_S9_N2at6native12_GLOBAL__N_19CustomSumEEEEE10hipError_tPvRmT0_T1_jT2_SQ_T4_T3_P12ihipStream_tbEUlT_E_NS1_11comp_targetILNS1_3genE5ELNS1_11target_archE942ELNS1_3gpuE9ELNS1_3repE0EEENS1_30default_config_static_selectorELNS0_4arch9wavefront6targetE0EEEvSP_,@function
_ZN7rocprim17ROCPRIM_400000_NS6detail17trampoline_kernelINS0_14default_configENS1_32segmented_reduce_config_selectorIdEEZNS1_21segmented_reduce_implIS3_PKdPdPKldN6hipcub16HIPCUB_304000_NS6detail27convert_result_type_wrapperIS8_S9_N2at6native12_GLOBAL__N_19CustomSumEEEEE10hipError_tPvRmT0_T1_jT2_SQ_T4_T3_P12ihipStream_tbEUlT_E_NS1_11comp_targetILNS1_3genE5ELNS1_11target_archE942ELNS1_3gpuE9ELNS1_3repE0EEENS1_30default_config_static_selectorELNS0_4arch9wavefront6targetE0EEEvSP_: ; @_ZN7rocprim17ROCPRIM_400000_NS6detail17trampoline_kernelINS0_14default_configENS1_32segmented_reduce_config_selectorIdEEZNS1_21segmented_reduce_implIS3_PKdPdPKldN6hipcub16HIPCUB_304000_NS6detail27convert_result_type_wrapperIS8_S9_N2at6native12_GLOBAL__N_19CustomSumEEEEE10hipError_tPvRmT0_T1_jT2_SQ_T4_T3_P12ihipStream_tbEUlT_E_NS1_11comp_targetILNS1_3genE5ELNS1_11target_archE942ELNS1_3gpuE9ELNS1_3repE0EEENS1_30default_config_static_selectorELNS0_4arch9wavefront6targetE0EEEvSP_
; %bb.0:
	.section	.rodata,"a",@progbits
	.p2align	6, 0x0
	.amdhsa_kernel _ZN7rocprim17ROCPRIM_400000_NS6detail17trampoline_kernelINS0_14default_configENS1_32segmented_reduce_config_selectorIdEEZNS1_21segmented_reduce_implIS3_PKdPdPKldN6hipcub16HIPCUB_304000_NS6detail27convert_result_type_wrapperIS8_S9_N2at6native12_GLOBAL__N_19CustomSumEEEEE10hipError_tPvRmT0_T1_jT2_SQ_T4_T3_P12ihipStream_tbEUlT_E_NS1_11comp_targetILNS1_3genE5ELNS1_11target_archE942ELNS1_3gpuE9ELNS1_3repE0EEENS1_30default_config_static_selectorELNS0_4arch9wavefront6targetE0EEEvSP_
		.amdhsa_group_segment_fixed_size 0
		.amdhsa_private_segment_fixed_size 0
		.amdhsa_kernarg_size 56
		.amdhsa_user_sgpr_count 6
		.amdhsa_user_sgpr_private_segment_buffer 1
		.amdhsa_user_sgpr_dispatch_ptr 0
		.amdhsa_user_sgpr_queue_ptr 0
		.amdhsa_user_sgpr_kernarg_segment_ptr 1
		.amdhsa_user_sgpr_dispatch_id 0
		.amdhsa_user_sgpr_flat_scratch_init 0
		.amdhsa_user_sgpr_private_segment_size 0
		.amdhsa_wavefront_size32 1
		.amdhsa_uses_dynamic_stack 0
		.amdhsa_system_sgpr_private_segment_wavefront_offset 0
		.amdhsa_system_sgpr_workgroup_id_x 1
		.amdhsa_system_sgpr_workgroup_id_y 0
		.amdhsa_system_sgpr_workgroup_id_z 0
		.amdhsa_system_sgpr_workgroup_info 0
		.amdhsa_system_vgpr_workitem_id 0
		.amdhsa_next_free_vgpr 1
		.amdhsa_next_free_sgpr 1
		.amdhsa_reserve_vcc 0
		.amdhsa_reserve_flat_scratch 0
		.amdhsa_float_round_mode_32 0
		.amdhsa_float_round_mode_16_64 0
		.amdhsa_float_denorm_mode_32 3
		.amdhsa_float_denorm_mode_16_64 3
		.amdhsa_dx10_clamp 1
		.amdhsa_ieee_mode 1
		.amdhsa_fp16_overflow 0
		.amdhsa_workgroup_processor_mode 1
		.amdhsa_memory_ordered 1
		.amdhsa_forward_progress 1
		.amdhsa_shared_vgpr_count 0
		.amdhsa_exception_fp_ieee_invalid_op 0
		.amdhsa_exception_fp_denorm_src 0
		.amdhsa_exception_fp_ieee_div_zero 0
		.amdhsa_exception_fp_ieee_overflow 0
		.amdhsa_exception_fp_ieee_underflow 0
		.amdhsa_exception_fp_ieee_inexact 0
		.amdhsa_exception_int_div_zero 0
	.end_amdhsa_kernel
	.section	.text._ZN7rocprim17ROCPRIM_400000_NS6detail17trampoline_kernelINS0_14default_configENS1_32segmented_reduce_config_selectorIdEEZNS1_21segmented_reduce_implIS3_PKdPdPKldN6hipcub16HIPCUB_304000_NS6detail27convert_result_type_wrapperIS8_S9_N2at6native12_GLOBAL__N_19CustomSumEEEEE10hipError_tPvRmT0_T1_jT2_SQ_T4_T3_P12ihipStream_tbEUlT_E_NS1_11comp_targetILNS1_3genE5ELNS1_11target_archE942ELNS1_3gpuE9ELNS1_3repE0EEENS1_30default_config_static_selectorELNS0_4arch9wavefront6targetE0EEEvSP_,"axG",@progbits,_ZN7rocprim17ROCPRIM_400000_NS6detail17trampoline_kernelINS0_14default_configENS1_32segmented_reduce_config_selectorIdEEZNS1_21segmented_reduce_implIS3_PKdPdPKldN6hipcub16HIPCUB_304000_NS6detail27convert_result_type_wrapperIS8_S9_N2at6native12_GLOBAL__N_19CustomSumEEEEE10hipError_tPvRmT0_T1_jT2_SQ_T4_T3_P12ihipStream_tbEUlT_E_NS1_11comp_targetILNS1_3genE5ELNS1_11target_archE942ELNS1_3gpuE9ELNS1_3repE0EEENS1_30default_config_static_selectorELNS0_4arch9wavefront6targetE0EEEvSP_,comdat
.Lfunc_end154:
	.size	_ZN7rocprim17ROCPRIM_400000_NS6detail17trampoline_kernelINS0_14default_configENS1_32segmented_reduce_config_selectorIdEEZNS1_21segmented_reduce_implIS3_PKdPdPKldN6hipcub16HIPCUB_304000_NS6detail27convert_result_type_wrapperIS8_S9_N2at6native12_GLOBAL__N_19CustomSumEEEEE10hipError_tPvRmT0_T1_jT2_SQ_T4_T3_P12ihipStream_tbEUlT_E_NS1_11comp_targetILNS1_3genE5ELNS1_11target_archE942ELNS1_3gpuE9ELNS1_3repE0EEENS1_30default_config_static_selectorELNS0_4arch9wavefront6targetE0EEEvSP_, .Lfunc_end154-_ZN7rocprim17ROCPRIM_400000_NS6detail17trampoline_kernelINS0_14default_configENS1_32segmented_reduce_config_selectorIdEEZNS1_21segmented_reduce_implIS3_PKdPdPKldN6hipcub16HIPCUB_304000_NS6detail27convert_result_type_wrapperIS8_S9_N2at6native12_GLOBAL__N_19CustomSumEEEEE10hipError_tPvRmT0_T1_jT2_SQ_T4_T3_P12ihipStream_tbEUlT_E_NS1_11comp_targetILNS1_3genE5ELNS1_11target_archE942ELNS1_3gpuE9ELNS1_3repE0EEENS1_30default_config_static_selectorELNS0_4arch9wavefront6targetE0EEEvSP_
                                        ; -- End function
	.set _ZN7rocprim17ROCPRIM_400000_NS6detail17trampoline_kernelINS0_14default_configENS1_32segmented_reduce_config_selectorIdEEZNS1_21segmented_reduce_implIS3_PKdPdPKldN6hipcub16HIPCUB_304000_NS6detail27convert_result_type_wrapperIS8_S9_N2at6native12_GLOBAL__N_19CustomSumEEEEE10hipError_tPvRmT0_T1_jT2_SQ_T4_T3_P12ihipStream_tbEUlT_E_NS1_11comp_targetILNS1_3genE5ELNS1_11target_archE942ELNS1_3gpuE9ELNS1_3repE0EEENS1_30default_config_static_selectorELNS0_4arch9wavefront6targetE0EEEvSP_.num_vgpr, 0
	.set _ZN7rocprim17ROCPRIM_400000_NS6detail17trampoline_kernelINS0_14default_configENS1_32segmented_reduce_config_selectorIdEEZNS1_21segmented_reduce_implIS3_PKdPdPKldN6hipcub16HIPCUB_304000_NS6detail27convert_result_type_wrapperIS8_S9_N2at6native12_GLOBAL__N_19CustomSumEEEEE10hipError_tPvRmT0_T1_jT2_SQ_T4_T3_P12ihipStream_tbEUlT_E_NS1_11comp_targetILNS1_3genE5ELNS1_11target_archE942ELNS1_3gpuE9ELNS1_3repE0EEENS1_30default_config_static_selectorELNS0_4arch9wavefront6targetE0EEEvSP_.num_agpr, 0
	.set _ZN7rocprim17ROCPRIM_400000_NS6detail17trampoline_kernelINS0_14default_configENS1_32segmented_reduce_config_selectorIdEEZNS1_21segmented_reduce_implIS3_PKdPdPKldN6hipcub16HIPCUB_304000_NS6detail27convert_result_type_wrapperIS8_S9_N2at6native12_GLOBAL__N_19CustomSumEEEEE10hipError_tPvRmT0_T1_jT2_SQ_T4_T3_P12ihipStream_tbEUlT_E_NS1_11comp_targetILNS1_3genE5ELNS1_11target_archE942ELNS1_3gpuE9ELNS1_3repE0EEENS1_30default_config_static_selectorELNS0_4arch9wavefront6targetE0EEEvSP_.numbered_sgpr, 0
	.set _ZN7rocprim17ROCPRIM_400000_NS6detail17trampoline_kernelINS0_14default_configENS1_32segmented_reduce_config_selectorIdEEZNS1_21segmented_reduce_implIS3_PKdPdPKldN6hipcub16HIPCUB_304000_NS6detail27convert_result_type_wrapperIS8_S9_N2at6native12_GLOBAL__N_19CustomSumEEEEE10hipError_tPvRmT0_T1_jT2_SQ_T4_T3_P12ihipStream_tbEUlT_E_NS1_11comp_targetILNS1_3genE5ELNS1_11target_archE942ELNS1_3gpuE9ELNS1_3repE0EEENS1_30default_config_static_selectorELNS0_4arch9wavefront6targetE0EEEvSP_.num_named_barrier, 0
	.set _ZN7rocprim17ROCPRIM_400000_NS6detail17trampoline_kernelINS0_14default_configENS1_32segmented_reduce_config_selectorIdEEZNS1_21segmented_reduce_implIS3_PKdPdPKldN6hipcub16HIPCUB_304000_NS6detail27convert_result_type_wrapperIS8_S9_N2at6native12_GLOBAL__N_19CustomSumEEEEE10hipError_tPvRmT0_T1_jT2_SQ_T4_T3_P12ihipStream_tbEUlT_E_NS1_11comp_targetILNS1_3genE5ELNS1_11target_archE942ELNS1_3gpuE9ELNS1_3repE0EEENS1_30default_config_static_selectorELNS0_4arch9wavefront6targetE0EEEvSP_.private_seg_size, 0
	.set _ZN7rocprim17ROCPRIM_400000_NS6detail17trampoline_kernelINS0_14default_configENS1_32segmented_reduce_config_selectorIdEEZNS1_21segmented_reduce_implIS3_PKdPdPKldN6hipcub16HIPCUB_304000_NS6detail27convert_result_type_wrapperIS8_S9_N2at6native12_GLOBAL__N_19CustomSumEEEEE10hipError_tPvRmT0_T1_jT2_SQ_T4_T3_P12ihipStream_tbEUlT_E_NS1_11comp_targetILNS1_3genE5ELNS1_11target_archE942ELNS1_3gpuE9ELNS1_3repE0EEENS1_30default_config_static_selectorELNS0_4arch9wavefront6targetE0EEEvSP_.uses_vcc, 0
	.set _ZN7rocprim17ROCPRIM_400000_NS6detail17trampoline_kernelINS0_14default_configENS1_32segmented_reduce_config_selectorIdEEZNS1_21segmented_reduce_implIS3_PKdPdPKldN6hipcub16HIPCUB_304000_NS6detail27convert_result_type_wrapperIS8_S9_N2at6native12_GLOBAL__N_19CustomSumEEEEE10hipError_tPvRmT0_T1_jT2_SQ_T4_T3_P12ihipStream_tbEUlT_E_NS1_11comp_targetILNS1_3genE5ELNS1_11target_archE942ELNS1_3gpuE9ELNS1_3repE0EEENS1_30default_config_static_selectorELNS0_4arch9wavefront6targetE0EEEvSP_.uses_flat_scratch, 0
	.set _ZN7rocprim17ROCPRIM_400000_NS6detail17trampoline_kernelINS0_14default_configENS1_32segmented_reduce_config_selectorIdEEZNS1_21segmented_reduce_implIS3_PKdPdPKldN6hipcub16HIPCUB_304000_NS6detail27convert_result_type_wrapperIS8_S9_N2at6native12_GLOBAL__N_19CustomSumEEEEE10hipError_tPvRmT0_T1_jT2_SQ_T4_T3_P12ihipStream_tbEUlT_E_NS1_11comp_targetILNS1_3genE5ELNS1_11target_archE942ELNS1_3gpuE9ELNS1_3repE0EEENS1_30default_config_static_selectorELNS0_4arch9wavefront6targetE0EEEvSP_.has_dyn_sized_stack, 0
	.set _ZN7rocprim17ROCPRIM_400000_NS6detail17trampoline_kernelINS0_14default_configENS1_32segmented_reduce_config_selectorIdEEZNS1_21segmented_reduce_implIS3_PKdPdPKldN6hipcub16HIPCUB_304000_NS6detail27convert_result_type_wrapperIS8_S9_N2at6native12_GLOBAL__N_19CustomSumEEEEE10hipError_tPvRmT0_T1_jT2_SQ_T4_T3_P12ihipStream_tbEUlT_E_NS1_11comp_targetILNS1_3genE5ELNS1_11target_archE942ELNS1_3gpuE9ELNS1_3repE0EEENS1_30default_config_static_selectorELNS0_4arch9wavefront6targetE0EEEvSP_.has_recursion, 0
	.set _ZN7rocprim17ROCPRIM_400000_NS6detail17trampoline_kernelINS0_14default_configENS1_32segmented_reduce_config_selectorIdEEZNS1_21segmented_reduce_implIS3_PKdPdPKldN6hipcub16HIPCUB_304000_NS6detail27convert_result_type_wrapperIS8_S9_N2at6native12_GLOBAL__N_19CustomSumEEEEE10hipError_tPvRmT0_T1_jT2_SQ_T4_T3_P12ihipStream_tbEUlT_E_NS1_11comp_targetILNS1_3genE5ELNS1_11target_archE942ELNS1_3gpuE9ELNS1_3repE0EEENS1_30default_config_static_selectorELNS0_4arch9wavefront6targetE0EEEvSP_.has_indirect_call, 0
	.section	.AMDGPU.csdata,"",@progbits
; Kernel info:
; codeLenInByte = 0
; TotalNumSgprs: 0
; NumVgprs: 0
; ScratchSize: 0
; MemoryBound: 0
; FloatMode: 240
; IeeeMode: 1
; LDSByteSize: 0 bytes/workgroup (compile time only)
; SGPRBlocks: 0
; VGPRBlocks: 0
; NumSGPRsForWavesPerEU: 1
; NumVGPRsForWavesPerEU: 1
; Occupancy: 16
; WaveLimiterHint : 0
; COMPUTE_PGM_RSRC2:SCRATCH_EN: 0
; COMPUTE_PGM_RSRC2:USER_SGPR: 6
; COMPUTE_PGM_RSRC2:TRAP_HANDLER: 0
; COMPUTE_PGM_RSRC2:TGID_X_EN: 1
; COMPUTE_PGM_RSRC2:TGID_Y_EN: 0
; COMPUTE_PGM_RSRC2:TGID_Z_EN: 0
; COMPUTE_PGM_RSRC2:TIDIG_COMP_CNT: 0
	.section	.text._ZN7rocprim17ROCPRIM_400000_NS6detail17trampoline_kernelINS0_14default_configENS1_32segmented_reduce_config_selectorIdEEZNS1_21segmented_reduce_implIS3_PKdPdPKldN6hipcub16HIPCUB_304000_NS6detail27convert_result_type_wrapperIS8_S9_N2at6native12_GLOBAL__N_19CustomSumEEEEE10hipError_tPvRmT0_T1_jT2_SQ_T4_T3_P12ihipStream_tbEUlT_E_NS1_11comp_targetILNS1_3genE10ELNS1_11target_archE1201ELNS1_3gpuE5ELNS1_3repE0EEENS1_30default_config_static_selectorELNS0_4arch9wavefront6targetE0EEEvSP_,"axG",@progbits,_ZN7rocprim17ROCPRIM_400000_NS6detail17trampoline_kernelINS0_14default_configENS1_32segmented_reduce_config_selectorIdEEZNS1_21segmented_reduce_implIS3_PKdPdPKldN6hipcub16HIPCUB_304000_NS6detail27convert_result_type_wrapperIS8_S9_N2at6native12_GLOBAL__N_19CustomSumEEEEE10hipError_tPvRmT0_T1_jT2_SQ_T4_T3_P12ihipStream_tbEUlT_E_NS1_11comp_targetILNS1_3genE10ELNS1_11target_archE1201ELNS1_3gpuE5ELNS1_3repE0EEENS1_30default_config_static_selectorELNS0_4arch9wavefront6targetE0EEEvSP_,comdat
	.globl	_ZN7rocprim17ROCPRIM_400000_NS6detail17trampoline_kernelINS0_14default_configENS1_32segmented_reduce_config_selectorIdEEZNS1_21segmented_reduce_implIS3_PKdPdPKldN6hipcub16HIPCUB_304000_NS6detail27convert_result_type_wrapperIS8_S9_N2at6native12_GLOBAL__N_19CustomSumEEEEE10hipError_tPvRmT0_T1_jT2_SQ_T4_T3_P12ihipStream_tbEUlT_E_NS1_11comp_targetILNS1_3genE10ELNS1_11target_archE1201ELNS1_3gpuE5ELNS1_3repE0EEENS1_30default_config_static_selectorELNS0_4arch9wavefront6targetE0EEEvSP_ ; -- Begin function _ZN7rocprim17ROCPRIM_400000_NS6detail17trampoline_kernelINS0_14default_configENS1_32segmented_reduce_config_selectorIdEEZNS1_21segmented_reduce_implIS3_PKdPdPKldN6hipcub16HIPCUB_304000_NS6detail27convert_result_type_wrapperIS8_S9_N2at6native12_GLOBAL__N_19CustomSumEEEEE10hipError_tPvRmT0_T1_jT2_SQ_T4_T3_P12ihipStream_tbEUlT_E_NS1_11comp_targetILNS1_3genE10ELNS1_11target_archE1201ELNS1_3gpuE5ELNS1_3repE0EEENS1_30default_config_static_selectorELNS0_4arch9wavefront6targetE0EEEvSP_
	.p2align	8
	.type	_ZN7rocprim17ROCPRIM_400000_NS6detail17trampoline_kernelINS0_14default_configENS1_32segmented_reduce_config_selectorIdEEZNS1_21segmented_reduce_implIS3_PKdPdPKldN6hipcub16HIPCUB_304000_NS6detail27convert_result_type_wrapperIS8_S9_N2at6native12_GLOBAL__N_19CustomSumEEEEE10hipError_tPvRmT0_T1_jT2_SQ_T4_T3_P12ihipStream_tbEUlT_E_NS1_11comp_targetILNS1_3genE10ELNS1_11target_archE1201ELNS1_3gpuE5ELNS1_3repE0EEENS1_30default_config_static_selectorELNS0_4arch9wavefront6targetE0EEEvSP_,@function
_ZN7rocprim17ROCPRIM_400000_NS6detail17trampoline_kernelINS0_14default_configENS1_32segmented_reduce_config_selectorIdEEZNS1_21segmented_reduce_implIS3_PKdPdPKldN6hipcub16HIPCUB_304000_NS6detail27convert_result_type_wrapperIS8_S9_N2at6native12_GLOBAL__N_19CustomSumEEEEE10hipError_tPvRmT0_T1_jT2_SQ_T4_T3_P12ihipStream_tbEUlT_E_NS1_11comp_targetILNS1_3genE10ELNS1_11target_archE1201ELNS1_3gpuE5ELNS1_3repE0EEENS1_30default_config_static_selectorELNS0_4arch9wavefront6targetE0EEEvSP_: ; @_ZN7rocprim17ROCPRIM_400000_NS6detail17trampoline_kernelINS0_14default_configENS1_32segmented_reduce_config_selectorIdEEZNS1_21segmented_reduce_implIS3_PKdPdPKldN6hipcub16HIPCUB_304000_NS6detail27convert_result_type_wrapperIS8_S9_N2at6native12_GLOBAL__N_19CustomSumEEEEE10hipError_tPvRmT0_T1_jT2_SQ_T4_T3_P12ihipStream_tbEUlT_E_NS1_11comp_targetILNS1_3genE10ELNS1_11target_archE1201ELNS1_3gpuE5ELNS1_3repE0EEENS1_30default_config_static_selectorELNS0_4arch9wavefront6targetE0EEEvSP_
; %bb.0:
	.section	.rodata,"a",@progbits
	.p2align	6, 0x0
	.amdhsa_kernel _ZN7rocprim17ROCPRIM_400000_NS6detail17trampoline_kernelINS0_14default_configENS1_32segmented_reduce_config_selectorIdEEZNS1_21segmented_reduce_implIS3_PKdPdPKldN6hipcub16HIPCUB_304000_NS6detail27convert_result_type_wrapperIS8_S9_N2at6native12_GLOBAL__N_19CustomSumEEEEE10hipError_tPvRmT0_T1_jT2_SQ_T4_T3_P12ihipStream_tbEUlT_E_NS1_11comp_targetILNS1_3genE10ELNS1_11target_archE1201ELNS1_3gpuE5ELNS1_3repE0EEENS1_30default_config_static_selectorELNS0_4arch9wavefront6targetE0EEEvSP_
		.amdhsa_group_segment_fixed_size 0
		.amdhsa_private_segment_fixed_size 0
		.amdhsa_kernarg_size 56
		.amdhsa_user_sgpr_count 6
		.amdhsa_user_sgpr_private_segment_buffer 1
		.amdhsa_user_sgpr_dispatch_ptr 0
		.amdhsa_user_sgpr_queue_ptr 0
		.amdhsa_user_sgpr_kernarg_segment_ptr 1
		.amdhsa_user_sgpr_dispatch_id 0
		.amdhsa_user_sgpr_flat_scratch_init 0
		.amdhsa_user_sgpr_private_segment_size 0
		.amdhsa_wavefront_size32 1
		.amdhsa_uses_dynamic_stack 0
		.amdhsa_system_sgpr_private_segment_wavefront_offset 0
		.amdhsa_system_sgpr_workgroup_id_x 1
		.amdhsa_system_sgpr_workgroup_id_y 0
		.amdhsa_system_sgpr_workgroup_id_z 0
		.amdhsa_system_sgpr_workgroup_info 0
		.amdhsa_system_vgpr_workitem_id 0
		.amdhsa_next_free_vgpr 1
		.amdhsa_next_free_sgpr 1
		.amdhsa_reserve_vcc 0
		.amdhsa_reserve_flat_scratch 0
		.amdhsa_float_round_mode_32 0
		.amdhsa_float_round_mode_16_64 0
		.amdhsa_float_denorm_mode_32 3
		.amdhsa_float_denorm_mode_16_64 3
		.amdhsa_dx10_clamp 1
		.amdhsa_ieee_mode 1
		.amdhsa_fp16_overflow 0
		.amdhsa_workgroup_processor_mode 1
		.amdhsa_memory_ordered 1
		.amdhsa_forward_progress 1
		.amdhsa_shared_vgpr_count 0
		.amdhsa_exception_fp_ieee_invalid_op 0
		.amdhsa_exception_fp_denorm_src 0
		.amdhsa_exception_fp_ieee_div_zero 0
		.amdhsa_exception_fp_ieee_overflow 0
		.amdhsa_exception_fp_ieee_underflow 0
		.amdhsa_exception_fp_ieee_inexact 0
		.amdhsa_exception_int_div_zero 0
	.end_amdhsa_kernel
	.section	.text._ZN7rocprim17ROCPRIM_400000_NS6detail17trampoline_kernelINS0_14default_configENS1_32segmented_reduce_config_selectorIdEEZNS1_21segmented_reduce_implIS3_PKdPdPKldN6hipcub16HIPCUB_304000_NS6detail27convert_result_type_wrapperIS8_S9_N2at6native12_GLOBAL__N_19CustomSumEEEEE10hipError_tPvRmT0_T1_jT2_SQ_T4_T3_P12ihipStream_tbEUlT_E_NS1_11comp_targetILNS1_3genE10ELNS1_11target_archE1201ELNS1_3gpuE5ELNS1_3repE0EEENS1_30default_config_static_selectorELNS0_4arch9wavefront6targetE0EEEvSP_,"axG",@progbits,_ZN7rocprim17ROCPRIM_400000_NS6detail17trampoline_kernelINS0_14default_configENS1_32segmented_reduce_config_selectorIdEEZNS1_21segmented_reduce_implIS3_PKdPdPKldN6hipcub16HIPCUB_304000_NS6detail27convert_result_type_wrapperIS8_S9_N2at6native12_GLOBAL__N_19CustomSumEEEEE10hipError_tPvRmT0_T1_jT2_SQ_T4_T3_P12ihipStream_tbEUlT_E_NS1_11comp_targetILNS1_3genE10ELNS1_11target_archE1201ELNS1_3gpuE5ELNS1_3repE0EEENS1_30default_config_static_selectorELNS0_4arch9wavefront6targetE0EEEvSP_,comdat
.Lfunc_end155:
	.size	_ZN7rocprim17ROCPRIM_400000_NS6detail17trampoline_kernelINS0_14default_configENS1_32segmented_reduce_config_selectorIdEEZNS1_21segmented_reduce_implIS3_PKdPdPKldN6hipcub16HIPCUB_304000_NS6detail27convert_result_type_wrapperIS8_S9_N2at6native12_GLOBAL__N_19CustomSumEEEEE10hipError_tPvRmT0_T1_jT2_SQ_T4_T3_P12ihipStream_tbEUlT_E_NS1_11comp_targetILNS1_3genE10ELNS1_11target_archE1201ELNS1_3gpuE5ELNS1_3repE0EEENS1_30default_config_static_selectorELNS0_4arch9wavefront6targetE0EEEvSP_, .Lfunc_end155-_ZN7rocprim17ROCPRIM_400000_NS6detail17trampoline_kernelINS0_14default_configENS1_32segmented_reduce_config_selectorIdEEZNS1_21segmented_reduce_implIS3_PKdPdPKldN6hipcub16HIPCUB_304000_NS6detail27convert_result_type_wrapperIS8_S9_N2at6native12_GLOBAL__N_19CustomSumEEEEE10hipError_tPvRmT0_T1_jT2_SQ_T4_T3_P12ihipStream_tbEUlT_E_NS1_11comp_targetILNS1_3genE10ELNS1_11target_archE1201ELNS1_3gpuE5ELNS1_3repE0EEENS1_30default_config_static_selectorELNS0_4arch9wavefront6targetE0EEEvSP_
                                        ; -- End function
	.set _ZN7rocprim17ROCPRIM_400000_NS6detail17trampoline_kernelINS0_14default_configENS1_32segmented_reduce_config_selectorIdEEZNS1_21segmented_reduce_implIS3_PKdPdPKldN6hipcub16HIPCUB_304000_NS6detail27convert_result_type_wrapperIS8_S9_N2at6native12_GLOBAL__N_19CustomSumEEEEE10hipError_tPvRmT0_T1_jT2_SQ_T4_T3_P12ihipStream_tbEUlT_E_NS1_11comp_targetILNS1_3genE10ELNS1_11target_archE1201ELNS1_3gpuE5ELNS1_3repE0EEENS1_30default_config_static_selectorELNS0_4arch9wavefront6targetE0EEEvSP_.num_vgpr, 0
	.set _ZN7rocprim17ROCPRIM_400000_NS6detail17trampoline_kernelINS0_14default_configENS1_32segmented_reduce_config_selectorIdEEZNS1_21segmented_reduce_implIS3_PKdPdPKldN6hipcub16HIPCUB_304000_NS6detail27convert_result_type_wrapperIS8_S9_N2at6native12_GLOBAL__N_19CustomSumEEEEE10hipError_tPvRmT0_T1_jT2_SQ_T4_T3_P12ihipStream_tbEUlT_E_NS1_11comp_targetILNS1_3genE10ELNS1_11target_archE1201ELNS1_3gpuE5ELNS1_3repE0EEENS1_30default_config_static_selectorELNS0_4arch9wavefront6targetE0EEEvSP_.num_agpr, 0
	.set _ZN7rocprim17ROCPRIM_400000_NS6detail17trampoline_kernelINS0_14default_configENS1_32segmented_reduce_config_selectorIdEEZNS1_21segmented_reduce_implIS3_PKdPdPKldN6hipcub16HIPCUB_304000_NS6detail27convert_result_type_wrapperIS8_S9_N2at6native12_GLOBAL__N_19CustomSumEEEEE10hipError_tPvRmT0_T1_jT2_SQ_T4_T3_P12ihipStream_tbEUlT_E_NS1_11comp_targetILNS1_3genE10ELNS1_11target_archE1201ELNS1_3gpuE5ELNS1_3repE0EEENS1_30default_config_static_selectorELNS0_4arch9wavefront6targetE0EEEvSP_.numbered_sgpr, 0
	.set _ZN7rocprim17ROCPRIM_400000_NS6detail17trampoline_kernelINS0_14default_configENS1_32segmented_reduce_config_selectorIdEEZNS1_21segmented_reduce_implIS3_PKdPdPKldN6hipcub16HIPCUB_304000_NS6detail27convert_result_type_wrapperIS8_S9_N2at6native12_GLOBAL__N_19CustomSumEEEEE10hipError_tPvRmT0_T1_jT2_SQ_T4_T3_P12ihipStream_tbEUlT_E_NS1_11comp_targetILNS1_3genE10ELNS1_11target_archE1201ELNS1_3gpuE5ELNS1_3repE0EEENS1_30default_config_static_selectorELNS0_4arch9wavefront6targetE0EEEvSP_.num_named_barrier, 0
	.set _ZN7rocprim17ROCPRIM_400000_NS6detail17trampoline_kernelINS0_14default_configENS1_32segmented_reduce_config_selectorIdEEZNS1_21segmented_reduce_implIS3_PKdPdPKldN6hipcub16HIPCUB_304000_NS6detail27convert_result_type_wrapperIS8_S9_N2at6native12_GLOBAL__N_19CustomSumEEEEE10hipError_tPvRmT0_T1_jT2_SQ_T4_T3_P12ihipStream_tbEUlT_E_NS1_11comp_targetILNS1_3genE10ELNS1_11target_archE1201ELNS1_3gpuE5ELNS1_3repE0EEENS1_30default_config_static_selectorELNS0_4arch9wavefront6targetE0EEEvSP_.private_seg_size, 0
	.set _ZN7rocprim17ROCPRIM_400000_NS6detail17trampoline_kernelINS0_14default_configENS1_32segmented_reduce_config_selectorIdEEZNS1_21segmented_reduce_implIS3_PKdPdPKldN6hipcub16HIPCUB_304000_NS6detail27convert_result_type_wrapperIS8_S9_N2at6native12_GLOBAL__N_19CustomSumEEEEE10hipError_tPvRmT0_T1_jT2_SQ_T4_T3_P12ihipStream_tbEUlT_E_NS1_11comp_targetILNS1_3genE10ELNS1_11target_archE1201ELNS1_3gpuE5ELNS1_3repE0EEENS1_30default_config_static_selectorELNS0_4arch9wavefront6targetE0EEEvSP_.uses_vcc, 0
	.set _ZN7rocprim17ROCPRIM_400000_NS6detail17trampoline_kernelINS0_14default_configENS1_32segmented_reduce_config_selectorIdEEZNS1_21segmented_reduce_implIS3_PKdPdPKldN6hipcub16HIPCUB_304000_NS6detail27convert_result_type_wrapperIS8_S9_N2at6native12_GLOBAL__N_19CustomSumEEEEE10hipError_tPvRmT0_T1_jT2_SQ_T4_T3_P12ihipStream_tbEUlT_E_NS1_11comp_targetILNS1_3genE10ELNS1_11target_archE1201ELNS1_3gpuE5ELNS1_3repE0EEENS1_30default_config_static_selectorELNS0_4arch9wavefront6targetE0EEEvSP_.uses_flat_scratch, 0
	.set _ZN7rocprim17ROCPRIM_400000_NS6detail17trampoline_kernelINS0_14default_configENS1_32segmented_reduce_config_selectorIdEEZNS1_21segmented_reduce_implIS3_PKdPdPKldN6hipcub16HIPCUB_304000_NS6detail27convert_result_type_wrapperIS8_S9_N2at6native12_GLOBAL__N_19CustomSumEEEEE10hipError_tPvRmT0_T1_jT2_SQ_T4_T3_P12ihipStream_tbEUlT_E_NS1_11comp_targetILNS1_3genE10ELNS1_11target_archE1201ELNS1_3gpuE5ELNS1_3repE0EEENS1_30default_config_static_selectorELNS0_4arch9wavefront6targetE0EEEvSP_.has_dyn_sized_stack, 0
	.set _ZN7rocprim17ROCPRIM_400000_NS6detail17trampoline_kernelINS0_14default_configENS1_32segmented_reduce_config_selectorIdEEZNS1_21segmented_reduce_implIS3_PKdPdPKldN6hipcub16HIPCUB_304000_NS6detail27convert_result_type_wrapperIS8_S9_N2at6native12_GLOBAL__N_19CustomSumEEEEE10hipError_tPvRmT0_T1_jT2_SQ_T4_T3_P12ihipStream_tbEUlT_E_NS1_11comp_targetILNS1_3genE10ELNS1_11target_archE1201ELNS1_3gpuE5ELNS1_3repE0EEENS1_30default_config_static_selectorELNS0_4arch9wavefront6targetE0EEEvSP_.has_recursion, 0
	.set _ZN7rocprim17ROCPRIM_400000_NS6detail17trampoline_kernelINS0_14default_configENS1_32segmented_reduce_config_selectorIdEEZNS1_21segmented_reduce_implIS3_PKdPdPKldN6hipcub16HIPCUB_304000_NS6detail27convert_result_type_wrapperIS8_S9_N2at6native12_GLOBAL__N_19CustomSumEEEEE10hipError_tPvRmT0_T1_jT2_SQ_T4_T3_P12ihipStream_tbEUlT_E_NS1_11comp_targetILNS1_3genE10ELNS1_11target_archE1201ELNS1_3gpuE5ELNS1_3repE0EEENS1_30default_config_static_selectorELNS0_4arch9wavefront6targetE0EEEvSP_.has_indirect_call, 0
	.section	.AMDGPU.csdata,"",@progbits
; Kernel info:
; codeLenInByte = 0
; TotalNumSgprs: 0
; NumVgprs: 0
; ScratchSize: 0
; MemoryBound: 0
; FloatMode: 240
; IeeeMode: 1
; LDSByteSize: 0 bytes/workgroup (compile time only)
; SGPRBlocks: 0
; VGPRBlocks: 0
; NumSGPRsForWavesPerEU: 1
; NumVGPRsForWavesPerEU: 1
; Occupancy: 16
; WaveLimiterHint : 0
; COMPUTE_PGM_RSRC2:SCRATCH_EN: 0
; COMPUTE_PGM_RSRC2:USER_SGPR: 6
; COMPUTE_PGM_RSRC2:TRAP_HANDLER: 0
; COMPUTE_PGM_RSRC2:TGID_X_EN: 1
; COMPUTE_PGM_RSRC2:TGID_Y_EN: 0
; COMPUTE_PGM_RSRC2:TGID_Z_EN: 0
; COMPUTE_PGM_RSRC2:TIDIG_COMP_CNT: 0
	.section	.text._ZN7rocprim17ROCPRIM_400000_NS6detail17trampoline_kernelINS0_14default_configENS1_32segmented_reduce_config_selectorIdEEZNS1_21segmented_reduce_implIS3_PKdPdPKldN6hipcub16HIPCUB_304000_NS6detail27convert_result_type_wrapperIS8_S9_N2at6native12_GLOBAL__N_19CustomSumEEEEE10hipError_tPvRmT0_T1_jT2_SQ_T4_T3_P12ihipStream_tbEUlT_E_NS1_11comp_targetILNS1_3genE4ELNS1_11target_archE910ELNS1_3gpuE8ELNS1_3repE0EEENS1_30default_config_static_selectorELNS0_4arch9wavefront6targetE0EEEvSP_,"axG",@progbits,_ZN7rocprim17ROCPRIM_400000_NS6detail17trampoline_kernelINS0_14default_configENS1_32segmented_reduce_config_selectorIdEEZNS1_21segmented_reduce_implIS3_PKdPdPKldN6hipcub16HIPCUB_304000_NS6detail27convert_result_type_wrapperIS8_S9_N2at6native12_GLOBAL__N_19CustomSumEEEEE10hipError_tPvRmT0_T1_jT2_SQ_T4_T3_P12ihipStream_tbEUlT_E_NS1_11comp_targetILNS1_3genE4ELNS1_11target_archE910ELNS1_3gpuE8ELNS1_3repE0EEENS1_30default_config_static_selectorELNS0_4arch9wavefront6targetE0EEEvSP_,comdat
	.globl	_ZN7rocprim17ROCPRIM_400000_NS6detail17trampoline_kernelINS0_14default_configENS1_32segmented_reduce_config_selectorIdEEZNS1_21segmented_reduce_implIS3_PKdPdPKldN6hipcub16HIPCUB_304000_NS6detail27convert_result_type_wrapperIS8_S9_N2at6native12_GLOBAL__N_19CustomSumEEEEE10hipError_tPvRmT0_T1_jT2_SQ_T4_T3_P12ihipStream_tbEUlT_E_NS1_11comp_targetILNS1_3genE4ELNS1_11target_archE910ELNS1_3gpuE8ELNS1_3repE0EEENS1_30default_config_static_selectorELNS0_4arch9wavefront6targetE0EEEvSP_ ; -- Begin function _ZN7rocprim17ROCPRIM_400000_NS6detail17trampoline_kernelINS0_14default_configENS1_32segmented_reduce_config_selectorIdEEZNS1_21segmented_reduce_implIS3_PKdPdPKldN6hipcub16HIPCUB_304000_NS6detail27convert_result_type_wrapperIS8_S9_N2at6native12_GLOBAL__N_19CustomSumEEEEE10hipError_tPvRmT0_T1_jT2_SQ_T4_T3_P12ihipStream_tbEUlT_E_NS1_11comp_targetILNS1_3genE4ELNS1_11target_archE910ELNS1_3gpuE8ELNS1_3repE0EEENS1_30default_config_static_selectorELNS0_4arch9wavefront6targetE0EEEvSP_
	.p2align	8
	.type	_ZN7rocprim17ROCPRIM_400000_NS6detail17trampoline_kernelINS0_14default_configENS1_32segmented_reduce_config_selectorIdEEZNS1_21segmented_reduce_implIS3_PKdPdPKldN6hipcub16HIPCUB_304000_NS6detail27convert_result_type_wrapperIS8_S9_N2at6native12_GLOBAL__N_19CustomSumEEEEE10hipError_tPvRmT0_T1_jT2_SQ_T4_T3_P12ihipStream_tbEUlT_E_NS1_11comp_targetILNS1_3genE4ELNS1_11target_archE910ELNS1_3gpuE8ELNS1_3repE0EEENS1_30default_config_static_selectorELNS0_4arch9wavefront6targetE0EEEvSP_,@function
_ZN7rocprim17ROCPRIM_400000_NS6detail17trampoline_kernelINS0_14default_configENS1_32segmented_reduce_config_selectorIdEEZNS1_21segmented_reduce_implIS3_PKdPdPKldN6hipcub16HIPCUB_304000_NS6detail27convert_result_type_wrapperIS8_S9_N2at6native12_GLOBAL__N_19CustomSumEEEEE10hipError_tPvRmT0_T1_jT2_SQ_T4_T3_P12ihipStream_tbEUlT_E_NS1_11comp_targetILNS1_3genE4ELNS1_11target_archE910ELNS1_3gpuE8ELNS1_3repE0EEENS1_30default_config_static_selectorELNS0_4arch9wavefront6targetE0EEEvSP_: ; @_ZN7rocprim17ROCPRIM_400000_NS6detail17trampoline_kernelINS0_14default_configENS1_32segmented_reduce_config_selectorIdEEZNS1_21segmented_reduce_implIS3_PKdPdPKldN6hipcub16HIPCUB_304000_NS6detail27convert_result_type_wrapperIS8_S9_N2at6native12_GLOBAL__N_19CustomSumEEEEE10hipError_tPvRmT0_T1_jT2_SQ_T4_T3_P12ihipStream_tbEUlT_E_NS1_11comp_targetILNS1_3genE4ELNS1_11target_archE910ELNS1_3gpuE8ELNS1_3repE0EEENS1_30default_config_static_selectorELNS0_4arch9wavefront6targetE0EEEvSP_
; %bb.0:
	.section	.rodata,"a",@progbits
	.p2align	6, 0x0
	.amdhsa_kernel _ZN7rocprim17ROCPRIM_400000_NS6detail17trampoline_kernelINS0_14default_configENS1_32segmented_reduce_config_selectorIdEEZNS1_21segmented_reduce_implIS3_PKdPdPKldN6hipcub16HIPCUB_304000_NS6detail27convert_result_type_wrapperIS8_S9_N2at6native12_GLOBAL__N_19CustomSumEEEEE10hipError_tPvRmT0_T1_jT2_SQ_T4_T3_P12ihipStream_tbEUlT_E_NS1_11comp_targetILNS1_3genE4ELNS1_11target_archE910ELNS1_3gpuE8ELNS1_3repE0EEENS1_30default_config_static_selectorELNS0_4arch9wavefront6targetE0EEEvSP_
		.amdhsa_group_segment_fixed_size 0
		.amdhsa_private_segment_fixed_size 0
		.amdhsa_kernarg_size 56
		.amdhsa_user_sgpr_count 6
		.amdhsa_user_sgpr_private_segment_buffer 1
		.amdhsa_user_sgpr_dispatch_ptr 0
		.amdhsa_user_sgpr_queue_ptr 0
		.amdhsa_user_sgpr_kernarg_segment_ptr 1
		.amdhsa_user_sgpr_dispatch_id 0
		.amdhsa_user_sgpr_flat_scratch_init 0
		.amdhsa_user_sgpr_private_segment_size 0
		.amdhsa_wavefront_size32 1
		.amdhsa_uses_dynamic_stack 0
		.amdhsa_system_sgpr_private_segment_wavefront_offset 0
		.amdhsa_system_sgpr_workgroup_id_x 1
		.amdhsa_system_sgpr_workgroup_id_y 0
		.amdhsa_system_sgpr_workgroup_id_z 0
		.amdhsa_system_sgpr_workgroup_info 0
		.amdhsa_system_vgpr_workitem_id 0
		.amdhsa_next_free_vgpr 1
		.amdhsa_next_free_sgpr 1
		.amdhsa_reserve_vcc 0
		.amdhsa_reserve_flat_scratch 0
		.amdhsa_float_round_mode_32 0
		.amdhsa_float_round_mode_16_64 0
		.amdhsa_float_denorm_mode_32 3
		.amdhsa_float_denorm_mode_16_64 3
		.amdhsa_dx10_clamp 1
		.amdhsa_ieee_mode 1
		.amdhsa_fp16_overflow 0
		.amdhsa_workgroup_processor_mode 1
		.amdhsa_memory_ordered 1
		.amdhsa_forward_progress 1
		.amdhsa_shared_vgpr_count 0
		.amdhsa_exception_fp_ieee_invalid_op 0
		.amdhsa_exception_fp_denorm_src 0
		.amdhsa_exception_fp_ieee_div_zero 0
		.amdhsa_exception_fp_ieee_overflow 0
		.amdhsa_exception_fp_ieee_underflow 0
		.amdhsa_exception_fp_ieee_inexact 0
		.amdhsa_exception_int_div_zero 0
	.end_amdhsa_kernel
	.section	.text._ZN7rocprim17ROCPRIM_400000_NS6detail17trampoline_kernelINS0_14default_configENS1_32segmented_reduce_config_selectorIdEEZNS1_21segmented_reduce_implIS3_PKdPdPKldN6hipcub16HIPCUB_304000_NS6detail27convert_result_type_wrapperIS8_S9_N2at6native12_GLOBAL__N_19CustomSumEEEEE10hipError_tPvRmT0_T1_jT2_SQ_T4_T3_P12ihipStream_tbEUlT_E_NS1_11comp_targetILNS1_3genE4ELNS1_11target_archE910ELNS1_3gpuE8ELNS1_3repE0EEENS1_30default_config_static_selectorELNS0_4arch9wavefront6targetE0EEEvSP_,"axG",@progbits,_ZN7rocprim17ROCPRIM_400000_NS6detail17trampoline_kernelINS0_14default_configENS1_32segmented_reduce_config_selectorIdEEZNS1_21segmented_reduce_implIS3_PKdPdPKldN6hipcub16HIPCUB_304000_NS6detail27convert_result_type_wrapperIS8_S9_N2at6native12_GLOBAL__N_19CustomSumEEEEE10hipError_tPvRmT0_T1_jT2_SQ_T4_T3_P12ihipStream_tbEUlT_E_NS1_11comp_targetILNS1_3genE4ELNS1_11target_archE910ELNS1_3gpuE8ELNS1_3repE0EEENS1_30default_config_static_selectorELNS0_4arch9wavefront6targetE0EEEvSP_,comdat
.Lfunc_end156:
	.size	_ZN7rocprim17ROCPRIM_400000_NS6detail17trampoline_kernelINS0_14default_configENS1_32segmented_reduce_config_selectorIdEEZNS1_21segmented_reduce_implIS3_PKdPdPKldN6hipcub16HIPCUB_304000_NS6detail27convert_result_type_wrapperIS8_S9_N2at6native12_GLOBAL__N_19CustomSumEEEEE10hipError_tPvRmT0_T1_jT2_SQ_T4_T3_P12ihipStream_tbEUlT_E_NS1_11comp_targetILNS1_3genE4ELNS1_11target_archE910ELNS1_3gpuE8ELNS1_3repE0EEENS1_30default_config_static_selectorELNS0_4arch9wavefront6targetE0EEEvSP_, .Lfunc_end156-_ZN7rocprim17ROCPRIM_400000_NS6detail17trampoline_kernelINS0_14default_configENS1_32segmented_reduce_config_selectorIdEEZNS1_21segmented_reduce_implIS3_PKdPdPKldN6hipcub16HIPCUB_304000_NS6detail27convert_result_type_wrapperIS8_S9_N2at6native12_GLOBAL__N_19CustomSumEEEEE10hipError_tPvRmT0_T1_jT2_SQ_T4_T3_P12ihipStream_tbEUlT_E_NS1_11comp_targetILNS1_3genE4ELNS1_11target_archE910ELNS1_3gpuE8ELNS1_3repE0EEENS1_30default_config_static_selectorELNS0_4arch9wavefront6targetE0EEEvSP_
                                        ; -- End function
	.set _ZN7rocprim17ROCPRIM_400000_NS6detail17trampoline_kernelINS0_14default_configENS1_32segmented_reduce_config_selectorIdEEZNS1_21segmented_reduce_implIS3_PKdPdPKldN6hipcub16HIPCUB_304000_NS6detail27convert_result_type_wrapperIS8_S9_N2at6native12_GLOBAL__N_19CustomSumEEEEE10hipError_tPvRmT0_T1_jT2_SQ_T4_T3_P12ihipStream_tbEUlT_E_NS1_11comp_targetILNS1_3genE4ELNS1_11target_archE910ELNS1_3gpuE8ELNS1_3repE0EEENS1_30default_config_static_selectorELNS0_4arch9wavefront6targetE0EEEvSP_.num_vgpr, 0
	.set _ZN7rocprim17ROCPRIM_400000_NS6detail17trampoline_kernelINS0_14default_configENS1_32segmented_reduce_config_selectorIdEEZNS1_21segmented_reduce_implIS3_PKdPdPKldN6hipcub16HIPCUB_304000_NS6detail27convert_result_type_wrapperIS8_S9_N2at6native12_GLOBAL__N_19CustomSumEEEEE10hipError_tPvRmT0_T1_jT2_SQ_T4_T3_P12ihipStream_tbEUlT_E_NS1_11comp_targetILNS1_3genE4ELNS1_11target_archE910ELNS1_3gpuE8ELNS1_3repE0EEENS1_30default_config_static_selectorELNS0_4arch9wavefront6targetE0EEEvSP_.num_agpr, 0
	.set _ZN7rocprim17ROCPRIM_400000_NS6detail17trampoline_kernelINS0_14default_configENS1_32segmented_reduce_config_selectorIdEEZNS1_21segmented_reduce_implIS3_PKdPdPKldN6hipcub16HIPCUB_304000_NS6detail27convert_result_type_wrapperIS8_S9_N2at6native12_GLOBAL__N_19CustomSumEEEEE10hipError_tPvRmT0_T1_jT2_SQ_T4_T3_P12ihipStream_tbEUlT_E_NS1_11comp_targetILNS1_3genE4ELNS1_11target_archE910ELNS1_3gpuE8ELNS1_3repE0EEENS1_30default_config_static_selectorELNS0_4arch9wavefront6targetE0EEEvSP_.numbered_sgpr, 0
	.set _ZN7rocprim17ROCPRIM_400000_NS6detail17trampoline_kernelINS0_14default_configENS1_32segmented_reduce_config_selectorIdEEZNS1_21segmented_reduce_implIS3_PKdPdPKldN6hipcub16HIPCUB_304000_NS6detail27convert_result_type_wrapperIS8_S9_N2at6native12_GLOBAL__N_19CustomSumEEEEE10hipError_tPvRmT0_T1_jT2_SQ_T4_T3_P12ihipStream_tbEUlT_E_NS1_11comp_targetILNS1_3genE4ELNS1_11target_archE910ELNS1_3gpuE8ELNS1_3repE0EEENS1_30default_config_static_selectorELNS0_4arch9wavefront6targetE0EEEvSP_.num_named_barrier, 0
	.set _ZN7rocprim17ROCPRIM_400000_NS6detail17trampoline_kernelINS0_14default_configENS1_32segmented_reduce_config_selectorIdEEZNS1_21segmented_reduce_implIS3_PKdPdPKldN6hipcub16HIPCUB_304000_NS6detail27convert_result_type_wrapperIS8_S9_N2at6native12_GLOBAL__N_19CustomSumEEEEE10hipError_tPvRmT0_T1_jT2_SQ_T4_T3_P12ihipStream_tbEUlT_E_NS1_11comp_targetILNS1_3genE4ELNS1_11target_archE910ELNS1_3gpuE8ELNS1_3repE0EEENS1_30default_config_static_selectorELNS0_4arch9wavefront6targetE0EEEvSP_.private_seg_size, 0
	.set _ZN7rocprim17ROCPRIM_400000_NS6detail17trampoline_kernelINS0_14default_configENS1_32segmented_reduce_config_selectorIdEEZNS1_21segmented_reduce_implIS3_PKdPdPKldN6hipcub16HIPCUB_304000_NS6detail27convert_result_type_wrapperIS8_S9_N2at6native12_GLOBAL__N_19CustomSumEEEEE10hipError_tPvRmT0_T1_jT2_SQ_T4_T3_P12ihipStream_tbEUlT_E_NS1_11comp_targetILNS1_3genE4ELNS1_11target_archE910ELNS1_3gpuE8ELNS1_3repE0EEENS1_30default_config_static_selectorELNS0_4arch9wavefront6targetE0EEEvSP_.uses_vcc, 0
	.set _ZN7rocprim17ROCPRIM_400000_NS6detail17trampoline_kernelINS0_14default_configENS1_32segmented_reduce_config_selectorIdEEZNS1_21segmented_reduce_implIS3_PKdPdPKldN6hipcub16HIPCUB_304000_NS6detail27convert_result_type_wrapperIS8_S9_N2at6native12_GLOBAL__N_19CustomSumEEEEE10hipError_tPvRmT0_T1_jT2_SQ_T4_T3_P12ihipStream_tbEUlT_E_NS1_11comp_targetILNS1_3genE4ELNS1_11target_archE910ELNS1_3gpuE8ELNS1_3repE0EEENS1_30default_config_static_selectorELNS0_4arch9wavefront6targetE0EEEvSP_.uses_flat_scratch, 0
	.set _ZN7rocprim17ROCPRIM_400000_NS6detail17trampoline_kernelINS0_14default_configENS1_32segmented_reduce_config_selectorIdEEZNS1_21segmented_reduce_implIS3_PKdPdPKldN6hipcub16HIPCUB_304000_NS6detail27convert_result_type_wrapperIS8_S9_N2at6native12_GLOBAL__N_19CustomSumEEEEE10hipError_tPvRmT0_T1_jT2_SQ_T4_T3_P12ihipStream_tbEUlT_E_NS1_11comp_targetILNS1_3genE4ELNS1_11target_archE910ELNS1_3gpuE8ELNS1_3repE0EEENS1_30default_config_static_selectorELNS0_4arch9wavefront6targetE0EEEvSP_.has_dyn_sized_stack, 0
	.set _ZN7rocprim17ROCPRIM_400000_NS6detail17trampoline_kernelINS0_14default_configENS1_32segmented_reduce_config_selectorIdEEZNS1_21segmented_reduce_implIS3_PKdPdPKldN6hipcub16HIPCUB_304000_NS6detail27convert_result_type_wrapperIS8_S9_N2at6native12_GLOBAL__N_19CustomSumEEEEE10hipError_tPvRmT0_T1_jT2_SQ_T4_T3_P12ihipStream_tbEUlT_E_NS1_11comp_targetILNS1_3genE4ELNS1_11target_archE910ELNS1_3gpuE8ELNS1_3repE0EEENS1_30default_config_static_selectorELNS0_4arch9wavefront6targetE0EEEvSP_.has_recursion, 0
	.set _ZN7rocprim17ROCPRIM_400000_NS6detail17trampoline_kernelINS0_14default_configENS1_32segmented_reduce_config_selectorIdEEZNS1_21segmented_reduce_implIS3_PKdPdPKldN6hipcub16HIPCUB_304000_NS6detail27convert_result_type_wrapperIS8_S9_N2at6native12_GLOBAL__N_19CustomSumEEEEE10hipError_tPvRmT0_T1_jT2_SQ_T4_T3_P12ihipStream_tbEUlT_E_NS1_11comp_targetILNS1_3genE4ELNS1_11target_archE910ELNS1_3gpuE8ELNS1_3repE0EEENS1_30default_config_static_selectorELNS0_4arch9wavefront6targetE0EEEvSP_.has_indirect_call, 0
	.section	.AMDGPU.csdata,"",@progbits
; Kernel info:
; codeLenInByte = 0
; TotalNumSgprs: 0
; NumVgprs: 0
; ScratchSize: 0
; MemoryBound: 0
; FloatMode: 240
; IeeeMode: 1
; LDSByteSize: 0 bytes/workgroup (compile time only)
; SGPRBlocks: 0
; VGPRBlocks: 0
; NumSGPRsForWavesPerEU: 1
; NumVGPRsForWavesPerEU: 1
; Occupancy: 16
; WaveLimiterHint : 0
; COMPUTE_PGM_RSRC2:SCRATCH_EN: 0
; COMPUTE_PGM_RSRC2:USER_SGPR: 6
; COMPUTE_PGM_RSRC2:TRAP_HANDLER: 0
; COMPUTE_PGM_RSRC2:TGID_X_EN: 1
; COMPUTE_PGM_RSRC2:TGID_Y_EN: 0
; COMPUTE_PGM_RSRC2:TGID_Z_EN: 0
; COMPUTE_PGM_RSRC2:TIDIG_COMP_CNT: 0
	.section	.text._ZN7rocprim17ROCPRIM_400000_NS6detail17trampoline_kernelINS0_14default_configENS1_32segmented_reduce_config_selectorIdEEZNS1_21segmented_reduce_implIS3_PKdPdPKldN6hipcub16HIPCUB_304000_NS6detail27convert_result_type_wrapperIS8_S9_N2at6native12_GLOBAL__N_19CustomSumEEEEE10hipError_tPvRmT0_T1_jT2_SQ_T4_T3_P12ihipStream_tbEUlT_E_NS1_11comp_targetILNS1_3genE3ELNS1_11target_archE908ELNS1_3gpuE7ELNS1_3repE0EEENS1_30default_config_static_selectorELNS0_4arch9wavefront6targetE0EEEvSP_,"axG",@progbits,_ZN7rocprim17ROCPRIM_400000_NS6detail17trampoline_kernelINS0_14default_configENS1_32segmented_reduce_config_selectorIdEEZNS1_21segmented_reduce_implIS3_PKdPdPKldN6hipcub16HIPCUB_304000_NS6detail27convert_result_type_wrapperIS8_S9_N2at6native12_GLOBAL__N_19CustomSumEEEEE10hipError_tPvRmT0_T1_jT2_SQ_T4_T3_P12ihipStream_tbEUlT_E_NS1_11comp_targetILNS1_3genE3ELNS1_11target_archE908ELNS1_3gpuE7ELNS1_3repE0EEENS1_30default_config_static_selectorELNS0_4arch9wavefront6targetE0EEEvSP_,comdat
	.globl	_ZN7rocprim17ROCPRIM_400000_NS6detail17trampoline_kernelINS0_14default_configENS1_32segmented_reduce_config_selectorIdEEZNS1_21segmented_reduce_implIS3_PKdPdPKldN6hipcub16HIPCUB_304000_NS6detail27convert_result_type_wrapperIS8_S9_N2at6native12_GLOBAL__N_19CustomSumEEEEE10hipError_tPvRmT0_T1_jT2_SQ_T4_T3_P12ihipStream_tbEUlT_E_NS1_11comp_targetILNS1_3genE3ELNS1_11target_archE908ELNS1_3gpuE7ELNS1_3repE0EEENS1_30default_config_static_selectorELNS0_4arch9wavefront6targetE0EEEvSP_ ; -- Begin function _ZN7rocprim17ROCPRIM_400000_NS6detail17trampoline_kernelINS0_14default_configENS1_32segmented_reduce_config_selectorIdEEZNS1_21segmented_reduce_implIS3_PKdPdPKldN6hipcub16HIPCUB_304000_NS6detail27convert_result_type_wrapperIS8_S9_N2at6native12_GLOBAL__N_19CustomSumEEEEE10hipError_tPvRmT0_T1_jT2_SQ_T4_T3_P12ihipStream_tbEUlT_E_NS1_11comp_targetILNS1_3genE3ELNS1_11target_archE908ELNS1_3gpuE7ELNS1_3repE0EEENS1_30default_config_static_selectorELNS0_4arch9wavefront6targetE0EEEvSP_
	.p2align	8
	.type	_ZN7rocprim17ROCPRIM_400000_NS6detail17trampoline_kernelINS0_14default_configENS1_32segmented_reduce_config_selectorIdEEZNS1_21segmented_reduce_implIS3_PKdPdPKldN6hipcub16HIPCUB_304000_NS6detail27convert_result_type_wrapperIS8_S9_N2at6native12_GLOBAL__N_19CustomSumEEEEE10hipError_tPvRmT0_T1_jT2_SQ_T4_T3_P12ihipStream_tbEUlT_E_NS1_11comp_targetILNS1_3genE3ELNS1_11target_archE908ELNS1_3gpuE7ELNS1_3repE0EEENS1_30default_config_static_selectorELNS0_4arch9wavefront6targetE0EEEvSP_,@function
_ZN7rocprim17ROCPRIM_400000_NS6detail17trampoline_kernelINS0_14default_configENS1_32segmented_reduce_config_selectorIdEEZNS1_21segmented_reduce_implIS3_PKdPdPKldN6hipcub16HIPCUB_304000_NS6detail27convert_result_type_wrapperIS8_S9_N2at6native12_GLOBAL__N_19CustomSumEEEEE10hipError_tPvRmT0_T1_jT2_SQ_T4_T3_P12ihipStream_tbEUlT_E_NS1_11comp_targetILNS1_3genE3ELNS1_11target_archE908ELNS1_3gpuE7ELNS1_3repE0EEENS1_30default_config_static_selectorELNS0_4arch9wavefront6targetE0EEEvSP_: ; @_ZN7rocprim17ROCPRIM_400000_NS6detail17trampoline_kernelINS0_14default_configENS1_32segmented_reduce_config_selectorIdEEZNS1_21segmented_reduce_implIS3_PKdPdPKldN6hipcub16HIPCUB_304000_NS6detail27convert_result_type_wrapperIS8_S9_N2at6native12_GLOBAL__N_19CustomSumEEEEE10hipError_tPvRmT0_T1_jT2_SQ_T4_T3_P12ihipStream_tbEUlT_E_NS1_11comp_targetILNS1_3genE3ELNS1_11target_archE908ELNS1_3gpuE7ELNS1_3repE0EEENS1_30default_config_static_selectorELNS0_4arch9wavefront6targetE0EEEvSP_
; %bb.0:
	.section	.rodata,"a",@progbits
	.p2align	6, 0x0
	.amdhsa_kernel _ZN7rocprim17ROCPRIM_400000_NS6detail17trampoline_kernelINS0_14default_configENS1_32segmented_reduce_config_selectorIdEEZNS1_21segmented_reduce_implIS3_PKdPdPKldN6hipcub16HIPCUB_304000_NS6detail27convert_result_type_wrapperIS8_S9_N2at6native12_GLOBAL__N_19CustomSumEEEEE10hipError_tPvRmT0_T1_jT2_SQ_T4_T3_P12ihipStream_tbEUlT_E_NS1_11comp_targetILNS1_3genE3ELNS1_11target_archE908ELNS1_3gpuE7ELNS1_3repE0EEENS1_30default_config_static_selectorELNS0_4arch9wavefront6targetE0EEEvSP_
		.amdhsa_group_segment_fixed_size 0
		.amdhsa_private_segment_fixed_size 0
		.amdhsa_kernarg_size 56
		.amdhsa_user_sgpr_count 6
		.amdhsa_user_sgpr_private_segment_buffer 1
		.amdhsa_user_sgpr_dispatch_ptr 0
		.amdhsa_user_sgpr_queue_ptr 0
		.amdhsa_user_sgpr_kernarg_segment_ptr 1
		.amdhsa_user_sgpr_dispatch_id 0
		.amdhsa_user_sgpr_flat_scratch_init 0
		.amdhsa_user_sgpr_private_segment_size 0
		.amdhsa_wavefront_size32 1
		.amdhsa_uses_dynamic_stack 0
		.amdhsa_system_sgpr_private_segment_wavefront_offset 0
		.amdhsa_system_sgpr_workgroup_id_x 1
		.amdhsa_system_sgpr_workgroup_id_y 0
		.amdhsa_system_sgpr_workgroup_id_z 0
		.amdhsa_system_sgpr_workgroup_info 0
		.amdhsa_system_vgpr_workitem_id 0
		.amdhsa_next_free_vgpr 1
		.amdhsa_next_free_sgpr 1
		.amdhsa_reserve_vcc 0
		.amdhsa_reserve_flat_scratch 0
		.amdhsa_float_round_mode_32 0
		.amdhsa_float_round_mode_16_64 0
		.amdhsa_float_denorm_mode_32 3
		.amdhsa_float_denorm_mode_16_64 3
		.amdhsa_dx10_clamp 1
		.amdhsa_ieee_mode 1
		.amdhsa_fp16_overflow 0
		.amdhsa_workgroup_processor_mode 1
		.amdhsa_memory_ordered 1
		.amdhsa_forward_progress 1
		.amdhsa_shared_vgpr_count 0
		.amdhsa_exception_fp_ieee_invalid_op 0
		.amdhsa_exception_fp_denorm_src 0
		.amdhsa_exception_fp_ieee_div_zero 0
		.amdhsa_exception_fp_ieee_overflow 0
		.amdhsa_exception_fp_ieee_underflow 0
		.amdhsa_exception_fp_ieee_inexact 0
		.amdhsa_exception_int_div_zero 0
	.end_amdhsa_kernel
	.section	.text._ZN7rocprim17ROCPRIM_400000_NS6detail17trampoline_kernelINS0_14default_configENS1_32segmented_reduce_config_selectorIdEEZNS1_21segmented_reduce_implIS3_PKdPdPKldN6hipcub16HIPCUB_304000_NS6detail27convert_result_type_wrapperIS8_S9_N2at6native12_GLOBAL__N_19CustomSumEEEEE10hipError_tPvRmT0_T1_jT2_SQ_T4_T3_P12ihipStream_tbEUlT_E_NS1_11comp_targetILNS1_3genE3ELNS1_11target_archE908ELNS1_3gpuE7ELNS1_3repE0EEENS1_30default_config_static_selectorELNS0_4arch9wavefront6targetE0EEEvSP_,"axG",@progbits,_ZN7rocprim17ROCPRIM_400000_NS6detail17trampoline_kernelINS0_14default_configENS1_32segmented_reduce_config_selectorIdEEZNS1_21segmented_reduce_implIS3_PKdPdPKldN6hipcub16HIPCUB_304000_NS6detail27convert_result_type_wrapperIS8_S9_N2at6native12_GLOBAL__N_19CustomSumEEEEE10hipError_tPvRmT0_T1_jT2_SQ_T4_T3_P12ihipStream_tbEUlT_E_NS1_11comp_targetILNS1_3genE3ELNS1_11target_archE908ELNS1_3gpuE7ELNS1_3repE0EEENS1_30default_config_static_selectorELNS0_4arch9wavefront6targetE0EEEvSP_,comdat
.Lfunc_end157:
	.size	_ZN7rocprim17ROCPRIM_400000_NS6detail17trampoline_kernelINS0_14default_configENS1_32segmented_reduce_config_selectorIdEEZNS1_21segmented_reduce_implIS3_PKdPdPKldN6hipcub16HIPCUB_304000_NS6detail27convert_result_type_wrapperIS8_S9_N2at6native12_GLOBAL__N_19CustomSumEEEEE10hipError_tPvRmT0_T1_jT2_SQ_T4_T3_P12ihipStream_tbEUlT_E_NS1_11comp_targetILNS1_3genE3ELNS1_11target_archE908ELNS1_3gpuE7ELNS1_3repE0EEENS1_30default_config_static_selectorELNS0_4arch9wavefront6targetE0EEEvSP_, .Lfunc_end157-_ZN7rocprim17ROCPRIM_400000_NS6detail17trampoline_kernelINS0_14default_configENS1_32segmented_reduce_config_selectorIdEEZNS1_21segmented_reduce_implIS3_PKdPdPKldN6hipcub16HIPCUB_304000_NS6detail27convert_result_type_wrapperIS8_S9_N2at6native12_GLOBAL__N_19CustomSumEEEEE10hipError_tPvRmT0_T1_jT2_SQ_T4_T3_P12ihipStream_tbEUlT_E_NS1_11comp_targetILNS1_3genE3ELNS1_11target_archE908ELNS1_3gpuE7ELNS1_3repE0EEENS1_30default_config_static_selectorELNS0_4arch9wavefront6targetE0EEEvSP_
                                        ; -- End function
	.set _ZN7rocprim17ROCPRIM_400000_NS6detail17trampoline_kernelINS0_14default_configENS1_32segmented_reduce_config_selectorIdEEZNS1_21segmented_reduce_implIS3_PKdPdPKldN6hipcub16HIPCUB_304000_NS6detail27convert_result_type_wrapperIS8_S9_N2at6native12_GLOBAL__N_19CustomSumEEEEE10hipError_tPvRmT0_T1_jT2_SQ_T4_T3_P12ihipStream_tbEUlT_E_NS1_11comp_targetILNS1_3genE3ELNS1_11target_archE908ELNS1_3gpuE7ELNS1_3repE0EEENS1_30default_config_static_selectorELNS0_4arch9wavefront6targetE0EEEvSP_.num_vgpr, 0
	.set _ZN7rocprim17ROCPRIM_400000_NS6detail17trampoline_kernelINS0_14default_configENS1_32segmented_reduce_config_selectorIdEEZNS1_21segmented_reduce_implIS3_PKdPdPKldN6hipcub16HIPCUB_304000_NS6detail27convert_result_type_wrapperIS8_S9_N2at6native12_GLOBAL__N_19CustomSumEEEEE10hipError_tPvRmT0_T1_jT2_SQ_T4_T3_P12ihipStream_tbEUlT_E_NS1_11comp_targetILNS1_3genE3ELNS1_11target_archE908ELNS1_3gpuE7ELNS1_3repE0EEENS1_30default_config_static_selectorELNS0_4arch9wavefront6targetE0EEEvSP_.num_agpr, 0
	.set _ZN7rocprim17ROCPRIM_400000_NS6detail17trampoline_kernelINS0_14default_configENS1_32segmented_reduce_config_selectorIdEEZNS1_21segmented_reduce_implIS3_PKdPdPKldN6hipcub16HIPCUB_304000_NS6detail27convert_result_type_wrapperIS8_S9_N2at6native12_GLOBAL__N_19CustomSumEEEEE10hipError_tPvRmT0_T1_jT2_SQ_T4_T3_P12ihipStream_tbEUlT_E_NS1_11comp_targetILNS1_3genE3ELNS1_11target_archE908ELNS1_3gpuE7ELNS1_3repE0EEENS1_30default_config_static_selectorELNS0_4arch9wavefront6targetE0EEEvSP_.numbered_sgpr, 0
	.set _ZN7rocprim17ROCPRIM_400000_NS6detail17trampoline_kernelINS0_14default_configENS1_32segmented_reduce_config_selectorIdEEZNS1_21segmented_reduce_implIS3_PKdPdPKldN6hipcub16HIPCUB_304000_NS6detail27convert_result_type_wrapperIS8_S9_N2at6native12_GLOBAL__N_19CustomSumEEEEE10hipError_tPvRmT0_T1_jT2_SQ_T4_T3_P12ihipStream_tbEUlT_E_NS1_11comp_targetILNS1_3genE3ELNS1_11target_archE908ELNS1_3gpuE7ELNS1_3repE0EEENS1_30default_config_static_selectorELNS0_4arch9wavefront6targetE0EEEvSP_.num_named_barrier, 0
	.set _ZN7rocprim17ROCPRIM_400000_NS6detail17trampoline_kernelINS0_14default_configENS1_32segmented_reduce_config_selectorIdEEZNS1_21segmented_reduce_implIS3_PKdPdPKldN6hipcub16HIPCUB_304000_NS6detail27convert_result_type_wrapperIS8_S9_N2at6native12_GLOBAL__N_19CustomSumEEEEE10hipError_tPvRmT0_T1_jT2_SQ_T4_T3_P12ihipStream_tbEUlT_E_NS1_11comp_targetILNS1_3genE3ELNS1_11target_archE908ELNS1_3gpuE7ELNS1_3repE0EEENS1_30default_config_static_selectorELNS0_4arch9wavefront6targetE0EEEvSP_.private_seg_size, 0
	.set _ZN7rocprim17ROCPRIM_400000_NS6detail17trampoline_kernelINS0_14default_configENS1_32segmented_reduce_config_selectorIdEEZNS1_21segmented_reduce_implIS3_PKdPdPKldN6hipcub16HIPCUB_304000_NS6detail27convert_result_type_wrapperIS8_S9_N2at6native12_GLOBAL__N_19CustomSumEEEEE10hipError_tPvRmT0_T1_jT2_SQ_T4_T3_P12ihipStream_tbEUlT_E_NS1_11comp_targetILNS1_3genE3ELNS1_11target_archE908ELNS1_3gpuE7ELNS1_3repE0EEENS1_30default_config_static_selectorELNS0_4arch9wavefront6targetE0EEEvSP_.uses_vcc, 0
	.set _ZN7rocprim17ROCPRIM_400000_NS6detail17trampoline_kernelINS0_14default_configENS1_32segmented_reduce_config_selectorIdEEZNS1_21segmented_reduce_implIS3_PKdPdPKldN6hipcub16HIPCUB_304000_NS6detail27convert_result_type_wrapperIS8_S9_N2at6native12_GLOBAL__N_19CustomSumEEEEE10hipError_tPvRmT0_T1_jT2_SQ_T4_T3_P12ihipStream_tbEUlT_E_NS1_11comp_targetILNS1_3genE3ELNS1_11target_archE908ELNS1_3gpuE7ELNS1_3repE0EEENS1_30default_config_static_selectorELNS0_4arch9wavefront6targetE0EEEvSP_.uses_flat_scratch, 0
	.set _ZN7rocprim17ROCPRIM_400000_NS6detail17trampoline_kernelINS0_14default_configENS1_32segmented_reduce_config_selectorIdEEZNS1_21segmented_reduce_implIS3_PKdPdPKldN6hipcub16HIPCUB_304000_NS6detail27convert_result_type_wrapperIS8_S9_N2at6native12_GLOBAL__N_19CustomSumEEEEE10hipError_tPvRmT0_T1_jT2_SQ_T4_T3_P12ihipStream_tbEUlT_E_NS1_11comp_targetILNS1_3genE3ELNS1_11target_archE908ELNS1_3gpuE7ELNS1_3repE0EEENS1_30default_config_static_selectorELNS0_4arch9wavefront6targetE0EEEvSP_.has_dyn_sized_stack, 0
	.set _ZN7rocprim17ROCPRIM_400000_NS6detail17trampoline_kernelINS0_14default_configENS1_32segmented_reduce_config_selectorIdEEZNS1_21segmented_reduce_implIS3_PKdPdPKldN6hipcub16HIPCUB_304000_NS6detail27convert_result_type_wrapperIS8_S9_N2at6native12_GLOBAL__N_19CustomSumEEEEE10hipError_tPvRmT0_T1_jT2_SQ_T4_T3_P12ihipStream_tbEUlT_E_NS1_11comp_targetILNS1_3genE3ELNS1_11target_archE908ELNS1_3gpuE7ELNS1_3repE0EEENS1_30default_config_static_selectorELNS0_4arch9wavefront6targetE0EEEvSP_.has_recursion, 0
	.set _ZN7rocprim17ROCPRIM_400000_NS6detail17trampoline_kernelINS0_14default_configENS1_32segmented_reduce_config_selectorIdEEZNS1_21segmented_reduce_implIS3_PKdPdPKldN6hipcub16HIPCUB_304000_NS6detail27convert_result_type_wrapperIS8_S9_N2at6native12_GLOBAL__N_19CustomSumEEEEE10hipError_tPvRmT0_T1_jT2_SQ_T4_T3_P12ihipStream_tbEUlT_E_NS1_11comp_targetILNS1_3genE3ELNS1_11target_archE908ELNS1_3gpuE7ELNS1_3repE0EEENS1_30default_config_static_selectorELNS0_4arch9wavefront6targetE0EEEvSP_.has_indirect_call, 0
	.section	.AMDGPU.csdata,"",@progbits
; Kernel info:
; codeLenInByte = 0
; TotalNumSgprs: 0
; NumVgprs: 0
; ScratchSize: 0
; MemoryBound: 0
; FloatMode: 240
; IeeeMode: 1
; LDSByteSize: 0 bytes/workgroup (compile time only)
; SGPRBlocks: 0
; VGPRBlocks: 0
; NumSGPRsForWavesPerEU: 1
; NumVGPRsForWavesPerEU: 1
; Occupancy: 16
; WaveLimiterHint : 0
; COMPUTE_PGM_RSRC2:SCRATCH_EN: 0
; COMPUTE_PGM_RSRC2:USER_SGPR: 6
; COMPUTE_PGM_RSRC2:TRAP_HANDLER: 0
; COMPUTE_PGM_RSRC2:TGID_X_EN: 1
; COMPUTE_PGM_RSRC2:TGID_Y_EN: 0
; COMPUTE_PGM_RSRC2:TGID_Z_EN: 0
; COMPUTE_PGM_RSRC2:TIDIG_COMP_CNT: 0
	.section	.text._ZN7rocprim17ROCPRIM_400000_NS6detail17trampoline_kernelINS0_14default_configENS1_32segmented_reduce_config_selectorIdEEZNS1_21segmented_reduce_implIS3_PKdPdPKldN6hipcub16HIPCUB_304000_NS6detail27convert_result_type_wrapperIS8_S9_N2at6native12_GLOBAL__N_19CustomSumEEEEE10hipError_tPvRmT0_T1_jT2_SQ_T4_T3_P12ihipStream_tbEUlT_E_NS1_11comp_targetILNS1_3genE2ELNS1_11target_archE906ELNS1_3gpuE6ELNS1_3repE0EEENS1_30default_config_static_selectorELNS0_4arch9wavefront6targetE0EEEvSP_,"axG",@progbits,_ZN7rocprim17ROCPRIM_400000_NS6detail17trampoline_kernelINS0_14default_configENS1_32segmented_reduce_config_selectorIdEEZNS1_21segmented_reduce_implIS3_PKdPdPKldN6hipcub16HIPCUB_304000_NS6detail27convert_result_type_wrapperIS8_S9_N2at6native12_GLOBAL__N_19CustomSumEEEEE10hipError_tPvRmT0_T1_jT2_SQ_T4_T3_P12ihipStream_tbEUlT_E_NS1_11comp_targetILNS1_3genE2ELNS1_11target_archE906ELNS1_3gpuE6ELNS1_3repE0EEENS1_30default_config_static_selectorELNS0_4arch9wavefront6targetE0EEEvSP_,comdat
	.globl	_ZN7rocprim17ROCPRIM_400000_NS6detail17trampoline_kernelINS0_14default_configENS1_32segmented_reduce_config_selectorIdEEZNS1_21segmented_reduce_implIS3_PKdPdPKldN6hipcub16HIPCUB_304000_NS6detail27convert_result_type_wrapperIS8_S9_N2at6native12_GLOBAL__N_19CustomSumEEEEE10hipError_tPvRmT0_T1_jT2_SQ_T4_T3_P12ihipStream_tbEUlT_E_NS1_11comp_targetILNS1_3genE2ELNS1_11target_archE906ELNS1_3gpuE6ELNS1_3repE0EEENS1_30default_config_static_selectorELNS0_4arch9wavefront6targetE0EEEvSP_ ; -- Begin function _ZN7rocprim17ROCPRIM_400000_NS6detail17trampoline_kernelINS0_14default_configENS1_32segmented_reduce_config_selectorIdEEZNS1_21segmented_reduce_implIS3_PKdPdPKldN6hipcub16HIPCUB_304000_NS6detail27convert_result_type_wrapperIS8_S9_N2at6native12_GLOBAL__N_19CustomSumEEEEE10hipError_tPvRmT0_T1_jT2_SQ_T4_T3_P12ihipStream_tbEUlT_E_NS1_11comp_targetILNS1_3genE2ELNS1_11target_archE906ELNS1_3gpuE6ELNS1_3repE0EEENS1_30default_config_static_selectorELNS0_4arch9wavefront6targetE0EEEvSP_
	.p2align	8
	.type	_ZN7rocprim17ROCPRIM_400000_NS6detail17trampoline_kernelINS0_14default_configENS1_32segmented_reduce_config_selectorIdEEZNS1_21segmented_reduce_implIS3_PKdPdPKldN6hipcub16HIPCUB_304000_NS6detail27convert_result_type_wrapperIS8_S9_N2at6native12_GLOBAL__N_19CustomSumEEEEE10hipError_tPvRmT0_T1_jT2_SQ_T4_T3_P12ihipStream_tbEUlT_E_NS1_11comp_targetILNS1_3genE2ELNS1_11target_archE906ELNS1_3gpuE6ELNS1_3repE0EEENS1_30default_config_static_selectorELNS0_4arch9wavefront6targetE0EEEvSP_,@function
_ZN7rocprim17ROCPRIM_400000_NS6detail17trampoline_kernelINS0_14default_configENS1_32segmented_reduce_config_selectorIdEEZNS1_21segmented_reduce_implIS3_PKdPdPKldN6hipcub16HIPCUB_304000_NS6detail27convert_result_type_wrapperIS8_S9_N2at6native12_GLOBAL__N_19CustomSumEEEEE10hipError_tPvRmT0_T1_jT2_SQ_T4_T3_P12ihipStream_tbEUlT_E_NS1_11comp_targetILNS1_3genE2ELNS1_11target_archE906ELNS1_3gpuE6ELNS1_3repE0EEENS1_30default_config_static_selectorELNS0_4arch9wavefront6targetE0EEEvSP_: ; @_ZN7rocprim17ROCPRIM_400000_NS6detail17trampoline_kernelINS0_14default_configENS1_32segmented_reduce_config_selectorIdEEZNS1_21segmented_reduce_implIS3_PKdPdPKldN6hipcub16HIPCUB_304000_NS6detail27convert_result_type_wrapperIS8_S9_N2at6native12_GLOBAL__N_19CustomSumEEEEE10hipError_tPvRmT0_T1_jT2_SQ_T4_T3_P12ihipStream_tbEUlT_E_NS1_11comp_targetILNS1_3genE2ELNS1_11target_archE906ELNS1_3gpuE6ELNS1_3repE0EEENS1_30default_config_static_selectorELNS0_4arch9wavefront6targetE0EEEvSP_
; %bb.0:
	.section	.rodata,"a",@progbits
	.p2align	6, 0x0
	.amdhsa_kernel _ZN7rocprim17ROCPRIM_400000_NS6detail17trampoline_kernelINS0_14default_configENS1_32segmented_reduce_config_selectorIdEEZNS1_21segmented_reduce_implIS3_PKdPdPKldN6hipcub16HIPCUB_304000_NS6detail27convert_result_type_wrapperIS8_S9_N2at6native12_GLOBAL__N_19CustomSumEEEEE10hipError_tPvRmT0_T1_jT2_SQ_T4_T3_P12ihipStream_tbEUlT_E_NS1_11comp_targetILNS1_3genE2ELNS1_11target_archE906ELNS1_3gpuE6ELNS1_3repE0EEENS1_30default_config_static_selectorELNS0_4arch9wavefront6targetE0EEEvSP_
		.amdhsa_group_segment_fixed_size 0
		.amdhsa_private_segment_fixed_size 0
		.amdhsa_kernarg_size 56
		.amdhsa_user_sgpr_count 6
		.amdhsa_user_sgpr_private_segment_buffer 1
		.amdhsa_user_sgpr_dispatch_ptr 0
		.amdhsa_user_sgpr_queue_ptr 0
		.amdhsa_user_sgpr_kernarg_segment_ptr 1
		.amdhsa_user_sgpr_dispatch_id 0
		.amdhsa_user_sgpr_flat_scratch_init 0
		.amdhsa_user_sgpr_private_segment_size 0
		.amdhsa_wavefront_size32 1
		.amdhsa_uses_dynamic_stack 0
		.amdhsa_system_sgpr_private_segment_wavefront_offset 0
		.amdhsa_system_sgpr_workgroup_id_x 1
		.amdhsa_system_sgpr_workgroup_id_y 0
		.amdhsa_system_sgpr_workgroup_id_z 0
		.amdhsa_system_sgpr_workgroup_info 0
		.amdhsa_system_vgpr_workitem_id 0
		.amdhsa_next_free_vgpr 1
		.amdhsa_next_free_sgpr 1
		.amdhsa_reserve_vcc 0
		.amdhsa_reserve_flat_scratch 0
		.amdhsa_float_round_mode_32 0
		.amdhsa_float_round_mode_16_64 0
		.amdhsa_float_denorm_mode_32 3
		.amdhsa_float_denorm_mode_16_64 3
		.amdhsa_dx10_clamp 1
		.amdhsa_ieee_mode 1
		.amdhsa_fp16_overflow 0
		.amdhsa_workgroup_processor_mode 1
		.amdhsa_memory_ordered 1
		.amdhsa_forward_progress 1
		.amdhsa_shared_vgpr_count 0
		.amdhsa_exception_fp_ieee_invalid_op 0
		.amdhsa_exception_fp_denorm_src 0
		.amdhsa_exception_fp_ieee_div_zero 0
		.amdhsa_exception_fp_ieee_overflow 0
		.amdhsa_exception_fp_ieee_underflow 0
		.amdhsa_exception_fp_ieee_inexact 0
		.amdhsa_exception_int_div_zero 0
	.end_amdhsa_kernel
	.section	.text._ZN7rocprim17ROCPRIM_400000_NS6detail17trampoline_kernelINS0_14default_configENS1_32segmented_reduce_config_selectorIdEEZNS1_21segmented_reduce_implIS3_PKdPdPKldN6hipcub16HIPCUB_304000_NS6detail27convert_result_type_wrapperIS8_S9_N2at6native12_GLOBAL__N_19CustomSumEEEEE10hipError_tPvRmT0_T1_jT2_SQ_T4_T3_P12ihipStream_tbEUlT_E_NS1_11comp_targetILNS1_3genE2ELNS1_11target_archE906ELNS1_3gpuE6ELNS1_3repE0EEENS1_30default_config_static_selectorELNS0_4arch9wavefront6targetE0EEEvSP_,"axG",@progbits,_ZN7rocprim17ROCPRIM_400000_NS6detail17trampoline_kernelINS0_14default_configENS1_32segmented_reduce_config_selectorIdEEZNS1_21segmented_reduce_implIS3_PKdPdPKldN6hipcub16HIPCUB_304000_NS6detail27convert_result_type_wrapperIS8_S9_N2at6native12_GLOBAL__N_19CustomSumEEEEE10hipError_tPvRmT0_T1_jT2_SQ_T4_T3_P12ihipStream_tbEUlT_E_NS1_11comp_targetILNS1_3genE2ELNS1_11target_archE906ELNS1_3gpuE6ELNS1_3repE0EEENS1_30default_config_static_selectorELNS0_4arch9wavefront6targetE0EEEvSP_,comdat
.Lfunc_end158:
	.size	_ZN7rocprim17ROCPRIM_400000_NS6detail17trampoline_kernelINS0_14default_configENS1_32segmented_reduce_config_selectorIdEEZNS1_21segmented_reduce_implIS3_PKdPdPKldN6hipcub16HIPCUB_304000_NS6detail27convert_result_type_wrapperIS8_S9_N2at6native12_GLOBAL__N_19CustomSumEEEEE10hipError_tPvRmT0_T1_jT2_SQ_T4_T3_P12ihipStream_tbEUlT_E_NS1_11comp_targetILNS1_3genE2ELNS1_11target_archE906ELNS1_3gpuE6ELNS1_3repE0EEENS1_30default_config_static_selectorELNS0_4arch9wavefront6targetE0EEEvSP_, .Lfunc_end158-_ZN7rocprim17ROCPRIM_400000_NS6detail17trampoline_kernelINS0_14default_configENS1_32segmented_reduce_config_selectorIdEEZNS1_21segmented_reduce_implIS3_PKdPdPKldN6hipcub16HIPCUB_304000_NS6detail27convert_result_type_wrapperIS8_S9_N2at6native12_GLOBAL__N_19CustomSumEEEEE10hipError_tPvRmT0_T1_jT2_SQ_T4_T3_P12ihipStream_tbEUlT_E_NS1_11comp_targetILNS1_3genE2ELNS1_11target_archE906ELNS1_3gpuE6ELNS1_3repE0EEENS1_30default_config_static_selectorELNS0_4arch9wavefront6targetE0EEEvSP_
                                        ; -- End function
	.set _ZN7rocprim17ROCPRIM_400000_NS6detail17trampoline_kernelINS0_14default_configENS1_32segmented_reduce_config_selectorIdEEZNS1_21segmented_reduce_implIS3_PKdPdPKldN6hipcub16HIPCUB_304000_NS6detail27convert_result_type_wrapperIS8_S9_N2at6native12_GLOBAL__N_19CustomSumEEEEE10hipError_tPvRmT0_T1_jT2_SQ_T4_T3_P12ihipStream_tbEUlT_E_NS1_11comp_targetILNS1_3genE2ELNS1_11target_archE906ELNS1_3gpuE6ELNS1_3repE0EEENS1_30default_config_static_selectorELNS0_4arch9wavefront6targetE0EEEvSP_.num_vgpr, 0
	.set _ZN7rocprim17ROCPRIM_400000_NS6detail17trampoline_kernelINS0_14default_configENS1_32segmented_reduce_config_selectorIdEEZNS1_21segmented_reduce_implIS3_PKdPdPKldN6hipcub16HIPCUB_304000_NS6detail27convert_result_type_wrapperIS8_S9_N2at6native12_GLOBAL__N_19CustomSumEEEEE10hipError_tPvRmT0_T1_jT2_SQ_T4_T3_P12ihipStream_tbEUlT_E_NS1_11comp_targetILNS1_3genE2ELNS1_11target_archE906ELNS1_3gpuE6ELNS1_3repE0EEENS1_30default_config_static_selectorELNS0_4arch9wavefront6targetE0EEEvSP_.num_agpr, 0
	.set _ZN7rocprim17ROCPRIM_400000_NS6detail17trampoline_kernelINS0_14default_configENS1_32segmented_reduce_config_selectorIdEEZNS1_21segmented_reduce_implIS3_PKdPdPKldN6hipcub16HIPCUB_304000_NS6detail27convert_result_type_wrapperIS8_S9_N2at6native12_GLOBAL__N_19CustomSumEEEEE10hipError_tPvRmT0_T1_jT2_SQ_T4_T3_P12ihipStream_tbEUlT_E_NS1_11comp_targetILNS1_3genE2ELNS1_11target_archE906ELNS1_3gpuE6ELNS1_3repE0EEENS1_30default_config_static_selectorELNS0_4arch9wavefront6targetE0EEEvSP_.numbered_sgpr, 0
	.set _ZN7rocprim17ROCPRIM_400000_NS6detail17trampoline_kernelINS0_14default_configENS1_32segmented_reduce_config_selectorIdEEZNS1_21segmented_reduce_implIS3_PKdPdPKldN6hipcub16HIPCUB_304000_NS6detail27convert_result_type_wrapperIS8_S9_N2at6native12_GLOBAL__N_19CustomSumEEEEE10hipError_tPvRmT0_T1_jT2_SQ_T4_T3_P12ihipStream_tbEUlT_E_NS1_11comp_targetILNS1_3genE2ELNS1_11target_archE906ELNS1_3gpuE6ELNS1_3repE0EEENS1_30default_config_static_selectorELNS0_4arch9wavefront6targetE0EEEvSP_.num_named_barrier, 0
	.set _ZN7rocprim17ROCPRIM_400000_NS6detail17trampoline_kernelINS0_14default_configENS1_32segmented_reduce_config_selectorIdEEZNS1_21segmented_reduce_implIS3_PKdPdPKldN6hipcub16HIPCUB_304000_NS6detail27convert_result_type_wrapperIS8_S9_N2at6native12_GLOBAL__N_19CustomSumEEEEE10hipError_tPvRmT0_T1_jT2_SQ_T4_T3_P12ihipStream_tbEUlT_E_NS1_11comp_targetILNS1_3genE2ELNS1_11target_archE906ELNS1_3gpuE6ELNS1_3repE0EEENS1_30default_config_static_selectorELNS0_4arch9wavefront6targetE0EEEvSP_.private_seg_size, 0
	.set _ZN7rocprim17ROCPRIM_400000_NS6detail17trampoline_kernelINS0_14default_configENS1_32segmented_reduce_config_selectorIdEEZNS1_21segmented_reduce_implIS3_PKdPdPKldN6hipcub16HIPCUB_304000_NS6detail27convert_result_type_wrapperIS8_S9_N2at6native12_GLOBAL__N_19CustomSumEEEEE10hipError_tPvRmT0_T1_jT2_SQ_T4_T3_P12ihipStream_tbEUlT_E_NS1_11comp_targetILNS1_3genE2ELNS1_11target_archE906ELNS1_3gpuE6ELNS1_3repE0EEENS1_30default_config_static_selectorELNS0_4arch9wavefront6targetE0EEEvSP_.uses_vcc, 0
	.set _ZN7rocprim17ROCPRIM_400000_NS6detail17trampoline_kernelINS0_14default_configENS1_32segmented_reduce_config_selectorIdEEZNS1_21segmented_reduce_implIS3_PKdPdPKldN6hipcub16HIPCUB_304000_NS6detail27convert_result_type_wrapperIS8_S9_N2at6native12_GLOBAL__N_19CustomSumEEEEE10hipError_tPvRmT0_T1_jT2_SQ_T4_T3_P12ihipStream_tbEUlT_E_NS1_11comp_targetILNS1_3genE2ELNS1_11target_archE906ELNS1_3gpuE6ELNS1_3repE0EEENS1_30default_config_static_selectorELNS0_4arch9wavefront6targetE0EEEvSP_.uses_flat_scratch, 0
	.set _ZN7rocprim17ROCPRIM_400000_NS6detail17trampoline_kernelINS0_14default_configENS1_32segmented_reduce_config_selectorIdEEZNS1_21segmented_reduce_implIS3_PKdPdPKldN6hipcub16HIPCUB_304000_NS6detail27convert_result_type_wrapperIS8_S9_N2at6native12_GLOBAL__N_19CustomSumEEEEE10hipError_tPvRmT0_T1_jT2_SQ_T4_T3_P12ihipStream_tbEUlT_E_NS1_11comp_targetILNS1_3genE2ELNS1_11target_archE906ELNS1_3gpuE6ELNS1_3repE0EEENS1_30default_config_static_selectorELNS0_4arch9wavefront6targetE0EEEvSP_.has_dyn_sized_stack, 0
	.set _ZN7rocprim17ROCPRIM_400000_NS6detail17trampoline_kernelINS0_14default_configENS1_32segmented_reduce_config_selectorIdEEZNS1_21segmented_reduce_implIS3_PKdPdPKldN6hipcub16HIPCUB_304000_NS6detail27convert_result_type_wrapperIS8_S9_N2at6native12_GLOBAL__N_19CustomSumEEEEE10hipError_tPvRmT0_T1_jT2_SQ_T4_T3_P12ihipStream_tbEUlT_E_NS1_11comp_targetILNS1_3genE2ELNS1_11target_archE906ELNS1_3gpuE6ELNS1_3repE0EEENS1_30default_config_static_selectorELNS0_4arch9wavefront6targetE0EEEvSP_.has_recursion, 0
	.set _ZN7rocprim17ROCPRIM_400000_NS6detail17trampoline_kernelINS0_14default_configENS1_32segmented_reduce_config_selectorIdEEZNS1_21segmented_reduce_implIS3_PKdPdPKldN6hipcub16HIPCUB_304000_NS6detail27convert_result_type_wrapperIS8_S9_N2at6native12_GLOBAL__N_19CustomSumEEEEE10hipError_tPvRmT0_T1_jT2_SQ_T4_T3_P12ihipStream_tbEUlT_E_NS1_11comp_targetILNS1_3genE2ELNS1_11target_archE906ELNS1_3gpuE6ELNS1_3repE0EEENS1_30default_config_static_selectorELNS0_4arch9wavefront6targetE0EEEvSP_.has_indirect_call, 0
	.section	.AMDGPU.csdata,"",@progbits
; Kernel info:
; codeLenInByte = 0
; TotalNumSgprs: 0
; NumVgprs: 0
; ScratchSize: 0
; MemoryBound: 0
; FloatMode: 240
; IeeeMode: 1
; LDSByteSize: 0 bytes/workgroup (compile time only)
; SGPRBlocks: 0
; VGPRBlocks: 0
; NumSGPRsForWavesPerEU: 1
; NumVGPRsForWavesPerEU: 1
; Occupancy: 16
; WaveLimiterHint : 0
; COMPUTE_PGM_RSRC2:SCRATCH_EN: 0
; COMPUTE_PGM_RSRC2:USER_SGPR: 6
; COMPUTE_PGM_RSRC2:TRAP_HANDLER: 0
; COMPUTE_PGM_RSRC2:TGID_X_EN: 1
; COMPUTE_PGM_RSRC2:TGID_Y_EN: 0
; COMPUTE_PGM_RSRC2:TGID_Z_EN: 0
; COMPUTE_PGM_RSRC2:TIDIG_COMP_CNT: 0
	.section	.text._ZN7rocprim17ROCPRIM_400000_NS6detail17trampoline_kernelINS0_14default_configENS1_32segmented_reduce_config_selectorIdEEZNS1_21segmented_reduce_implIS3_PKdPdPKldN6hipcub16HIPCUB_304000_NS6detail27convert_result_type_wrapperIS8_S9_N2at6native12_GLOBAL__N_19CustomSumEEEEE10hipError_tPvRmT0_T1_jT2_SQ_T4_T3_P12ihipStream_tbEUlT_E_NS1_11comp_targetILNS1_3genE9ELNS1_11target_archE1100ELNS1_3gpuE3ELNS1_3repE0EEENS1_30default_config_static_selectorELNS0_4arch9wavefront6targetE0EEEvSP_,"axG",@progbits,_ZN7rocprim17ROCPRIM_400000_NS6detail17trampoline_kernelINS0_14default_configENS1_32segmented_reduce_config_selectorIdEEZNS1_21segmented_reduce_implIS3_PKdPdPKldN6hipcub16HIPCUB_304000_NS6detail27convert_result_type_wrapperIS8_S9_N2at6native12_GLOBAL__N_19CustomSumEEEEE10hipError_tPvRmT0_T1_jT2_SQ_T4_T3_P12ihipStream_tbEUlT_E_NS1_11comp_targetILNS1_3genE9ELNS1_11target_archE1100ELNS1_3gpuE3ELNS1_3repE0EEENS1_30default_config_static_selectorELNS0_4arch9wavefront6targetE0EEEvSP_,comdat
	.globl	_ZN7rocprim17ROCPRIM_400000_NS6detail17trampoline_kernelINS0_14default_configENS1_32segmented_reduce_config_selectorIdEEZNS1_21segmented_reduce_implIS3_PKdPdPKldN6hipcub16HIPCUB_304000_NS6detail27convert_result_type_wrapperIS8_S9_N2at6native12_GLOBAL__N_19CustomSumEEEEE10hipError_tPvRmT0_T1_jT2_SQ_T4_T3_P12ihipStream_tbEUlT_E_NS1_11comp_targetILNS1_3genE9ELNS1_11target_archE1100ELNS1_3gpuE3ELNS1_3repE0EEENS1_30default_config_static_selectorELNS0_4arch9wavefront6targetE0EEEvSP_ ; -- Begin function _ZN7rocprim17ROCPRIM_400000_NS6detail17trampoline_kernelINS0_14default_configENS1_32segmented_reduce_config_selectorIdEEZNS1_21segmented_reduce_implIS3_PKdPdPKldN6hipcub16HIPCUB_304000_NS6detail27convert_result_type_wrapperIS8_S9_N2at6native12_GLOBAL__N_19CustomSumEEEEE10hipError_tPvRmT0_T1_jT2_SQ_T4_T3_P12ihipStream_tbEUlT_E_NS1_11comp_targetILNS1_3genE9ELNS1_11target_archE1100ELNS1_3gpuE3ELNS1_3repE0EEENS1_30default_config_static_selectorELNS0_4arch9wavefront6targetE0EEEvSP_
	.p2align	8
	.type	_ZN7rocprim17ROCPRIM_400000_NS6detail17trampoline_kernelINS0_14default_configENS1_32segmented_reduce_config_selectorIdEEZNS1_21segmented_reduce_implIS3_PKdPdPKldN6hipcub16HIPCUB_304000_NS6detail27convert_result_type_wrapperIS8_S9_N2at6native12_GLOBAL__N_19CustomSumEEEEE10hipError_tPvRmT0_T1_jT2_SQ_T4_T3_P12ihipStream_tbEUlT_E_NS1_11comp_targetILNS1_3genE9ELNS1_11target_archE1100ELNS1_3gpuE3ELNS1_3repE0EEENS1_30default_config_static_selectorELNS0_4arch9wavefront6targetE0EEEvSP_,@function
_ZN7rocprim17ROCPRIM_400000_NS6detail17trampoline_kernelINS0_14default_configENS1_32segmented_reduce_config_selectorIdEEZNS1_21segmented_reduce_implIS3_PKdPdPKldN6hipcub16HIPCUB_304000_NS6detail27convert_result_type_wrapperIS8_S9_N2at6native12_GLOBAL__N_19CustomSumEEEEE10hipError_tPvRmT0_T1_jT2_SQ_T4_T3_P12ihipStream_tbEUlT_E_NS1_11comp_targetILNS1_3genE9ELNS1_11target_archE1100ELNS1_3gpuE3ELNS1_3repE0EEENS1_30default_config_static_selectorELNS0_4arch9wavefront6targetE0EEEvSP_: ; @_ZN7rocprim17ROCPRIM_400000_NS6detail17trampoline_kernelINS0_14default_configENS1_32segmented_reduce_config_selectorIdEEZNS1_21segmented_reduce_implIS3_PKdPdPKldN6hipcub16HIPCUB_304000_NS6detail27convert_result_type_wrapperIS8_S9_N2at6native12_GLOBAL__N_19CustomSumEEEEE10hipError_tPvRmT0_T1_jT2_SQ_T4_T3_P12ihipStream_tbEUlT_E_NS1_11comp_targetILNS1_3genE9ELNS1_11target_archE1100ELNS1_3gpuE3ELNS1_3repE0EEENS1_30default_config_static_selectorELNS0_4arch9wavefront6targetE0EEEvSP_
; %bb.0:
	.section	.rodata,"a",@progbits
	.p2align	6, 0x0
	.amdhsa_kernel _ZN7rocprim17ROCPRIM_400000_NS6detail17trampoline_kernelINS0_14default_configENS1_32segmented_reduce_config_selectorIdEEZNS1_21segmented_reduce_implIS3_PKdPdPKldN6hipcub16HIPCUB_304000_NS6detail27convert_result_type_wrapperIS8_S9_N2at6native12_GLOBAL__N_19CustomSumEEEEE10hipError_tPvRmT0_T1_jT2_SQ_T4_T3_P12ihipStream_tbEUlT_E_NS1_11comp_targetILNS1_3genE9ELNS1_11target_archE1100ELNS1_3gpuE3ELNS1_3repE0EEENS1_30default_config_static_selectorELNS0_4arch9wavefront6targetE0EEEvSP_
		.amdhsa_group_segment_fixed_size 0
		.amdhsa_private_segment_fixed_size 0
		.amdhsa_kernarg_size 56
		.amdhsa_user_sgpr_count 6
		.amdhsa_user_sgpr_private_segment_buffer 1
		.amdhsa_user_sgpr_dispatch_ptr 0
		.amdhsa_user_sgpr_queue_ptr 0
		.amdhsa_user_sgpr_kernarg_segment_ptr 1
		.amdhsa_user_sgpr_dispatch_id 0
		.amdhsa_user_sgpr_flat_scratch_init 0
		.amdhsa_user_sgpr_private_segment_size 0
		.amdhsa_wavefront_size32 1
		.amdhsa_uses_dynamic_stack 0
		.amdhsa_system_sgpr_private_segment_wavefront_offset 0
		.amdhsa_system_sgpr_workgroup_id_x 1
		.amdhsa_system_sgpr_workgroup_id_y 0
		.amdhsa_system_sgpr_workgroup_id_z 0
		.amdhsa_system_sgpr_workgroup_info 0
		.amdhsa_system_vgpr_workitem_id 0
		.amdhsa_next_free_vgpr 1
		.amdhsa_next_free_sgpr 1
		.amdhsa_reserve_vcc 0
		.amdhsa_reserve_flat_scratch 0
		.amdhsa_float_round_mode_32 0
		.amdhsa_float_round_mode_16_64 0
		.amdhsa_float_denorm_mode_32 3
		.amdhsa_float_denorm_mode_16_64 3
		.amdhsa_dx10_clamp 1
		.amdhsa_ieee_mode 1
		.amdhsa_fp16_overflow 0
		.amdhsa_workgroup_processor_mode 1
		.amdhsa_memory_ordered 1
		.amdhsa_forward_progress 1
		.amdhsa_shared_vgpr_count 0
		.amdhsa_exception_fp_ieee_invalid_op 0
		.amdhsa_exception_fp_denorm_src 0
		.amdhsa_exception_fp_ieee_div_zero 0
		.amdhsa_exception_fp_ieee_overflow 0
		.amdhsa_exception_fp_ieee_underflow 0
		.amdhsa_exception_fp_ieee_inexact 0
		.amdhsa_exception_int_div_zero 0
	.end_amdhsa_kernel
	.section	.text._ZN7rocprim17ROCPRIM_400000_NS6detail17trampoline_kernelINS0_14default_configENS1_32segmented_reduce_config_selectorIdEEZNS1_21segmented_reduce_implIS3_PKdPdPKldN6hipcub16HIPCUB_304000_NS6detail27convert_result_type_wrapperIS8_S9_N2at6native12_GLOBAL__N_19CustomSumEEEEE10hipError_tPvRmT0_T1_jT2_SQ_T4_T3_P12ihipStream_tbEUlT_E_NS1_11comp_targetILNS1_3genE9ELNS1_11target_archE1100ELNS1_3gpuE3ELNS1_3repE0EEENS1_30default_config_static_selectorELNS0_4arch9wavefront6targetE0EEEvSP_,"axG",@progbits,_ZN7rocprim17ROCPRIM_400000_NS6detail17trampoline_kernelINS0_14default_configENS1_32segmented_reduce_config_selectorIdEEZNS1_21segmented_reduce_implIS3_PKdPdPKldN6hipcub16HIPCUB_304000_NS6detail27convert_result_type_wrapperIS8_S9_N2at6native12_GLOBAL__N_19CustomSumEEEEE10hipError_tPvRmT0_T1_jT2_SQ_T4_T3_P12ihipStream_tbEUlT_E_NS1_11comp_targetILNS1_3genE9ELNS1_11target_archE1100ELNS1_3gpuE3ELNS1_3repE0EEENS1_30default_config_static_selectorELNS0_4arch9wavefront6targetE0EEEvSP_,comdat
.Lfunc_end159:
	.size	_ZN7rocprim17ROCPRIM_400000_NS6detail17trampoline_kernelINS0_14default_configENS1_32segmented_reduce_config_selectorIdEEZNS1_21segmented_reduce_implIS3_PKdPdPKldN6hipcub16HIPCUB_304000_NS6detail27convert_result_type_wrapperIS8_S9_N2at6native12_GLOBAL__N_19CustomSumEEEEE10hipError_tPvRmT0_T1_jT2_SQ_T4_T3_P12ihipStream_tbEUlT_E_NS1_11comp_targetILNS1_3genE9ELNS1_11target_archE1100ELNS1_3gpuE3ELNS1_3repE0EEENS1_30default_config_static_selectorELNS0_4arch9wavefront6targetE0EEEvSP_, .Lfunc_end159-_ZN7rocprim17ROCPRIM_400000_NS6detail17trampoline_kernelINS0_14default_configENS1_32segmented_reduce_config_selectorIdEEZNS1_21segmented_reduce_implIS3_PKdPdPKldN6hipcub16HIPCUB_304000_NS6detail27convert_result_type_wrapperIS8_S9_N2at6native12_GLOBAL__N_19CustomSumEEEEE10hipError_tPvRmT0_T1_jT2_SQ_T4_T3_P12ihipStream_tbEUlT_E_NS1_11comp_targetILNS1_3genE9ELNS1_11target_archE1100ELNS1_3gpuE3ELNS1_3repE0EEENS1_30default_config_static_selectorELNS0_4arch9wavefront6targetE0EEEvSP_
                                        ; -- End function
	.set _ZN7rocprim17ROCPRIM_400000_NS6detail17trampoline_kernelINS0_14default_configENS1_32segmented_reduce_config_selectorIdEEZNS1_21segmented_reduce_implIS3_PKdPdPKldN6hipcub16HIPCUB_304000_NS6detail27convert_result_type_wrapperIS8_S9_N2at6native12_GLOBAL__N_19CustomSumEEEEE10hipError_tPvRmT0_T1_jT2_SQ_T4_T3_P12ihipStream_tbEUlT_E_NS1_11comp_targetILNS1_3genE9ELNS1_11target_archE1100ELNS1_3gpuE3ELNS1_3repE0EEENS1_30default_config_static_selectorELNS0_4arch9wavefront6targetE0EEEvSP_.num_vgpr, 0
	.set _ZN7rocprim17ROCPRIM_400000_NS6detail17trampoline_kernelINS0_14default_configENS1_32segmented_reduce_config_selectorIdEEZNS1_21segmented_reduce_implIS3_PKdPdPKldN6hipcub16HIPCUB_304000_NS6detail27convert_result_type_wrapperIS8_S9_N2at6native12_GLOBAL__N_19CustomSumEEEEE10hipError_tPvRmT0_T1_jT2_SQ_T4_T3_P12ihipStream_tbEUlT_E_NS1_11comp_targetILNS1_3genE9ELNS1_11target_archE1100ELNS1_3gpuE3ELNS1_3repE0EEENS1_30default_config_static_selectorELNS0_4arch9wavefront6targetE0EEEvSP_.num_agpr, 0
	.set _ZN7rocprim17ROCPRIM_400000_NS6detail17trampoline_kernelINS0_14default_configENS1_32segmented_reduce_config_selectorIdEEZNS1_21segmented_reduce_implIS3_PKdPdPKldN6hipcub16HIPCUB_304000_NS6detail27convert_result_type_wrapperIS8_S9_N2at6native12_GLOBAL__N_19CustomSumEEEEE10hipError_tPvRmT0_T1_jT2_SQ_T4_T3_P12ihipStream_tbEUlT_E_NS1_11comp_targetILNS1_3genE9ELNS1_11target_archE1100ELNS1_3gpuE3ELNS1_3repE0EEENS1_30default_config_static_selectorELNS0_4arch9wavefront6targetE0EEEvSP_.numbered_sgpr, 0
	.set _ZN7rocprim17ROCPRIM_400000_NS6detail17trampoline_kernelINS0_14default_configENS1_32segmented_reduce_config_selectorIdEEZNS1_21segmented_reduce_implIS3_PKdPdPKldN6hipcub16HIPCUB_304000_NS6detail27convert_result_type_wrapperIS8_S9_N2at6native12_GLOBAL__N_19CustomSumEEEEE10hipError_tPvRmT0_T1_jT2_SQ_T4_T3_P12ihipStream_tbEUlT_E_NS1_11comp_targetILNS1_3genE9ELNS1_11target_archE1100ELNS1_3gpuE3ELNS1_3repE0EEENS1_30default_config_static_selectorELNS0_4arch9wavefront6targetE0EEEvSP_.num_named_barrier, 0
	.set _ZN7rocprim17ROCPRIM_400000_NS6detail17trampoline_kernelINS0_14default_configENS1_32segmented_reduce_config_selectorIdEEZNS1_21segmented_reduce_implIS3_PKdPdPKldN6hipcub16HIPCUB_304000_NS6detail27convert_result_type_wrapperIS8_S9_N2at6native12_GLOBAL__N_19CustomSumEEEEE10hipError_tPvRmT0_T1_jT2_SQ_T4_T3_P12ihipStream_tbEUlT_E_NS1_11comp_targetILNS1_3genE9ELNS1_11target_archE1100ELNS1_3gpuE3ELNS1_3repE0EEENS1_30default_config_static_selectorELNS0_4arch9wavefront6targetE0EEEvSP_.private_seg_size, 0
	.set _ZN7rocprim17ROCPRIM_400000_NS6detail17trampoline_kernelINS0_14default_configENS1_32segmented_reduce_config_selectorIdEEZNS1_21segmented_reduce_implIS3_PKdPdPKldN6hipcub16HIPCUB_304000_NS6detail27convert_result_type_wrapperIS8_S9_N2at6native12_GLOBAL__N_19CustomSumEEEEE10hipError_tPvRmT0_T1_jT2_SQ_T4_T3_P12ihipStream_tbEUlT_E_NS1_11comp_targetILNS1_3genE9ELNS1_11target_archE1100ELNS1_3gpuE3ELNS1_3repE0EEENS1_30default_config_static_selectorELNS0_4arch9wavefront6targetE0EEEvSP_.uses_vcc, 0
	.set _ZN7rocprim17ROCPRIM_400000_NS6detail17trampoline_kernelINS0_14default_configENS1_32segmented_reduce_config_selectorIdEEZNS1_21segmented_reduce_implIS3_PKdPdPKldN6hipcub16HIPCUB_304000_NS6detail27convert_result_type_wrapperIS8_S9_N2at6native12_GLOBAL__N_19CustomSumEEEEE10hipError_tPvRmT0_T1_jT2_SQ_T4_T3_P12ihipStream_tbEUlT_E_NS1_11comp_targetILNS1_3genE9ELNS1_11target_archE1100ELNS1_3gpuE3ELNS1_3repE0EEENS1_30default_config_static_selectorELNS0_4arch9wavefront6targetE0EEEvSP_.uses_flat_scratch, 0
	.set _ZN7rocprim17ROCPRIM_400000_NS6detail17trampoline_kernelINS0_14default_configENS1_32segmented_reduce_config_selectorIdEEZNS1_21segmented_reduce_implIS3_PKdPdPKldN6hipcub16HIPCUB_304000_NS6detail27convert_result_type_wrapperIS8_S9_N2at6native12_GLOBAL__N_19CustomSumEEEEE10hipError_tPvRmT0_T1_jT2_SQ_T4_T3_P12ihipStream_tbEUlT_E_NS1_11comp_targetILNS1_3genE9ELNS1_11target_archE1100ELNS1_3gpuE3ELNS1_3repE0EEENS1_30default_config_static_selectorELNS0_4arch9wavefront6targetE0EEEvSP_.has_dyn_sized_stack, 0
	.set _ZN7rocprim17ROCPRIM_400000_NS6detail17trampoline_kernelINS0_14default_configENS1_32segmented_reduce_config_selectorIdEEZNS1_21segmented_reduce_implIS3_PKdPdPKldN6hipcub16HIPCUB_304000_NS6detail27convert_result_type_wrapperIS8_S9_N2at6native12_GLOBAL__N_19CustomSumEEEEE10hipError_tPvRmT0_T1_jT2_SQ_T4_T3_P12ihipStream_tbEUlT_E_NS1_11comp_targetILNS1_3genE9ELNS1_11target_archE1100ELNS1_3gpuE3ELNS1_3repE0EEENS1_30default_config_static_selectorELNS0_4arch9wavefront6targetE0EEEvSP_.has_recursion, 0
	.set _ZN7rocprim17ROCPRIM_400000_NS6detail17trampoline_kernelINS0_14default_configENS1_32segmented_reduce_config_selectorIdEEZNS1_21segmented_reduce_implIS3_PKdPdPKldN6hipcub16HIPCUB_304000_NS6detail27convert_result_type_wrapperIS8_S9_N2at6native12_GLOBAL__N_19CustomSumEEEEE10hipError_tPvRmT0_T1_jT2_SQ_T4_T3_P12ihipStream_tbEUlT_E_NS1_11comp_targetILNS1_3genE9ELNS1_11target_archE1100ELNS1_3gpuE3ELNS1_3repE0EEENS1_30default_config_static_selectorELNS0_4arch9wavefront6targetE0EEEvSP_.has_indirect_call, 0
	.section	.AMDGPU.csdata,"",@progbits
; Kernel info:
; codeLenInByte = 0
; TotalNumSgprs: 0
; NumVgprs: 0
; ScratchSize: 0
; MemoryBound: 0
; FloatMode: 240
; IeeeMode: 1
; LDSByteSize: 0 bytes/workgroup (compile time only)
; SGPRBlocks: 0
; VGPRBlocks: 0
; NumSGPRsForWavesPerEU: 1
; NumVGPRsForWavesPerEU: 1
; Occupancy: 16
; WaveLimiterHint : 0
; COMPUTE_PGM_RSRC2:SCRATCH_EN: 0
; COMPUTE_PGM_RSRC2:USER_SGPR: 6
; COMPUTE_PGM_RSRC2:TRAP_HANDLER: 0
; COMPUTE_PGM_RSRC2:TGID_X_EN: 1
; COMPUTE_PGM_RSRC2:TGID_Y_EN: 0
; COMPUTE_PGM_RSRC2:TGID_Z_EN: 0
; COMPUTE_PGM_RSRC2:TIDIG_COMP_CNT: 0
	.section	.text._ZN7rocprim17ROCPRIM_400000_NS6detail17trampoline_kernelINS0_14default_configENS1_32segmented_reduce_config_selectorIdEEZNS1_21segmented_reduce_implIS3_PKdPdPKldN6hipcub16HIPCUB_304000_NS6detail27convert_result_type_wrapperIS8_S9_N2at6native12_GLOBAL__N_19CustomSumEEEEE10hipError_tPvRmT0_T1_jT2_SQ_T4_T3_P12ihipStream_tbEUlT_E_NS1_11comp_targetILNS1_3genE8ELNS1_11target_archE1030ELNS1_3gpuE2ELNS1_3repE0EEENS1_30default_config_static_selectorELNS0_4arch9wavefront6targetE0EEEvSP_,"axG",@progbits,_ZN7rocprim17ROCPRIM_400000_NS6detail17trampoline_kernelINS0_14default_configENS1_32segmented_reduce_config_selectorIdEEZNS1_21segmented_reduce_implIS3_PKdPdPKldN6hipcub16HIPCUB_304000_NS6detail27convert_result_type_wrapperIS8_S9_N2at6native12_GLOBAL__N_19CustomSumEEEEE10hipError_tPvRmT0_T1_jT2_SQ_T4_T3_P12ihipStream_tbEUlT_E_NS1_11comp_targetILNS1_3genE8ELNS1_11target_archE1030ELNS1_3gpuE2ELNS1_3repE0EEENS1_30default_config_static_selectorELNS0_4arch9wavefront6targetE0EEEvSP_,comdat
	.globl	_ZN7rocprim17ROCPRIM_400000_NS6detail17trampoline_kernelINS0_14default_configENS1_32segmented_reduce_config_selectorIdEEZNS1_21segmented_reduce_implIS3_PKdPdPKldN6hipcub16HIPCUB_304000_NS6detail27convert_result_type_wrapperIS8_S9_N2at6native12_GLOBAL__N_19CustomSumEEEEE10hipError_tPvRmT0_T1_jT2_SQ_T4_T3_P12ihipStream_tbEUlT_E_NS1_11comp_targetILNS1_3genE8ELNS1_11target_archE1030ELNS1_3gpuE2ELNS1_3repE0EEENS1_30default_config_static_selectorELNS0_4arch9wavefront6targetE0EEEvSP_ ; -- Begin function _ZN7rocprim17ROCPRIM_400000_NS6detail17trampoline_kernelINS0_14default_configENS1_32segmented_reduce_config_selectorIdEEZNS1_21segmented_reduce_implIS3_PKdPdPKldN6hipcub16HIPCUB_304000_NS6detail27convert_result_type_wrapperIS8_S9_N2at6native12_GLOBAL__N_19CustomSumEEEEE10hipError_tPvRmT0_T1_jT2_SQ_T4_T3_P12ihipStream_tbEUlT_E_NS1_11comp_targetILNS1_3genE8ELNS1_11target_archE1030ELNS1_3gpuE2ELNS1_3repE0EEENS1_30default_config_static_selectorELNS0_4arch9wavefront6targetE0EEEvSP_
	.p2align	8
	.type	_ZN7rocprim17ROCPRIM_400000_NS6detail17trampoline_kernelINS0_14default_configENS1_32segmented_reduce_config_selectorIdEEZNS1_21segmented_reduce_implIS3_PKdPdPKldN6hipcub16HIPCUB_304000_NS6detail27convert_result_type_wrapperIS8_S9_N2at6native12_GLOBAL__N_19CustomSumEEEEE10hipError_tPvRmT0_T1_jT2_SQ_T4_T3_P12ihipStream_tbEUlT_E_NS1_11comp_targetILNS1_3genE8ELNS1_11target_archE1030ELNS1_3gpuE2ELNS1_3repE0EEENS1_30default_config_static_selectorELNS0_4arch9wavefront6targetE0EEEvSP_,@function
_ZN7rocprim17ROCPRIM_400000_NS6detail17trampoline_kernelINS0_14default_configENS1_32segmented_reduce_config_selectorIdEEZNS1_21segmented_reduce_implIS3_PKdPdPKldN6hipcub16HIPCUB_304000_NS6detail27convert_result_type_wrapperIS8_S9_N2at6native12_GLOBAL__N_19CustomSumEEEEE10hipError_tPvRmT0_T1_jT2_SQ_T4_T3_P12ihipStream_tbEUlT_E_NS1_11comp_targetILNS1_3genE8ELNS1_11target_archE1030ELNS1_3gpuE2ELNS1_3repE0EEENS1_30default_config_static_selectorELNS0_4arch9wavefront6targetE0EEEvSP_: ; @_ZN7rocprim17ROCPRIM_400000_NS6detail17trampoline_kernelINS0_14default_configENS1_32segmented_reduce_config_selectorIdEEZNS1_21segmented_reduce_implIS3_PKdPdPKldN6hipcub16HIPCUB_304000_NS6detail27convert_result_type_wrapperIS8_S9_N2at6native12_GLOBAL__N_19CustomSumEEEEE10hipError_tPvRmT0_T1_jT2_SQ_T4_T3_P12ihipStream_tbEUlT_E_NS1_11comp_targetILNS1_3genE8ELNS1_11target_archE1030ELNS1_3gpuE2ELNS1_3repE0EEENS1_30default_config_static_selectorELNS0_4arch9wavefront6targetE0EEEvSP_
; %bb.0:
	s_clause 0x1
	s_load_dwordx8 s[16:23], s[4:5], 0x0
	s_load_dwordx2 s[0:1], s[4:5], 0x20
	s_mov_b32 s7, 0
	s_load_dwordx2 s[24:25], s[4:5], 0x30
	s_waitcnt lgkmcnt(0)
	s_lshl_b64 s[20:21], s[20:21], 3
	s_add_u32 s2, s22, s20
	s_addc_u32 s3, s23, s21
	s_add_u32 s4, s0, s20
	s_addc_u32 s5, s1, s21
	s_lshl_b64 s[22:23], s[6:7], 3
	s_add_u32 s0, s2, s22
	s_addc_u32 s1, s3, s23
	s_add_u32 s2, s4, s22
	s_addc_u32 s3, s5, s23
	s_load_dwordx2 s[28:29], s[0:1], 0x0
	s_load_dwordx2 s[26:27], s[2:3], 0x0
	s_mov_b32 s1, -1
	s_waitcnt lgkmcnt(0)
	v_cmp_gt_i64_e64 s0, s[26:27], s[28:29]
	s_and_b32 vcc_lo, exec_lo, s0
	v_cmp_eq_u32_e64 s0, 0, v0
	s_cbranch_vccnz .LBB160_2
; %bb.1:
	s_mov_b32 s1, 0
	s_and_b32 s7, s0, exec_lo
.LBB160_2:
	s_andn2_b32 vcc_lo, exec_lo, s1
	s_cbranch_vccnz .LBB160_44
; %bb.3:
	s_add_u32 s0, s28, 0x1000
	s_addc_u32 s1, s29, 0
	v_cmp_le_i64_e64 s2, s[0:1], s[26:27]
	s_and_b32 vcc_lo, exec_lo, s2
	s_cbranch_vccz .LBB160_45
; %bb.4:
	v_lshlrev_b32_e32 v37, 3, v0
	s_lshl_b64 s[2:3], s[28:29], 3
	s_add_u32 s4, s16, s2
	s_addc_u32 s5, s17, s3
	v_add_co_u32 v15, s6, s4, v37
	v_add_co_ci_u32_e64 v16, null, s5, 0, s6
	v_add_co_u32 v1, vcc_lo, v15, 0x1000
	v_add_co_ci_u32_e64 v2, null, 0, v16, vcc_lo
	s_clause 0x2
	global_load_dwordx2 v[27:28], v37, s[4:5]
	global_load_dwordx2 v[31:32], v[1:2], off offset:-2048
	global_load_dwordx2 v[23:24], v[1:2], off
	v_add_co_u32 v1, vcc_lo, v15, 0x2000
	v_add_co_ci_u32_e64 v2, null, 0, v16, vcc_lo
	s_add_u32 s4, s28, 0x2000
	s_addc_u32 s5, s29, 0
	s_clause 0x1
	global_load_dwordx2 v[29:30], v[1:2], off offset:-2048
	global_load_dwordx2 v[19:20], v[1:2], off
	v_add_co_u32 v1, vcc_lo, v15, 0x3000
	v_add_co_ci_u32_e64 v2, null, 0, v16, vcc_lo
	v_cmp_ge_i64_e64 s4, s[4:5], s[26:27]
	s_clause 0x1
	global_load_dwordx2 v[25:26], v[1:2], off offset:-2048
	global_load_dwordx2 v[13:14], v[1:2], off
	v_add_co_u32 v1, vcc_lo, v15, 0x4000
	v_add_co_ci_u32_e64 v2, null, 0, v16, vcc_lo
	s_clause 0x1
	global_load_dwordx2 v[21:22], v[1:2], off offset:-2048
	global_load_dwordx2 v[9:10], v[1:2], off
	v_add_co_u32 v1, vcc_lo, v15, 0x5000
	v_add_co_ci_u32_e64 v2, null, 0, v16, vcc_lo
	;; [unrolled: 5-line block ×5, first 2 shown]
	s_and_b32 vcc_lo, exec_lo, s4
	global_load_dwordx2 v[15:16], v[15:16], off
	s_waitcnt vmcnt(14)
	v_add_f64 v[33:34], v[27:28], v[31:32]
	s_waitcnt vmcnt(13)
	v_add_f64 v[33:34], v[33:34], v[23:24]
	;; [unrolled: 2-line block ×15, first 2 shown]
	s_cbranch_vccnz .LBB160_7
; %bb.5:
	s_add_u32 s2, s16, s2
	s_addc_u32 s3, s17, s3
	v_add_co_u32 v1, s2, s2, v37
	v_add_co_ci_u32_e64 v2, null, s3, 0, s2
	v_add_co_u32 v35, vcc_lo, 0x8000, v1
	v_add_co_ci_u32_e64 v36, null, 0, v2, vcc_lo
.LBB160_6:                              ; =>This Inner Loop Header: Depth=1
	global_load_dwordx2 v[27:28], v[35:36], off
	v_add_co_u32 v1, vcc_lo, v35, 0x1000
	v_add_co_ci_u32_e64 v2, null, 0, v36, vcc_lo
	s_mov_b64 s[2:3], s[0:1]
	s_clause 0x1
	global_load_dwordx2 v[31:32], v[1:2], off offset:-2048
	global_load_dwordx2 v[23:24], v[1:2], off
	v_add_co_u32 v1, vcc_lo, v35, 0x2000
	v_add_co_ci_u32_e64 v2, null, 0, v36, vcc_lo
	s_add_u32 s0, s2, 0x1000
	s_clause 0x1
	global_load_dwordx2 v[29:30], v[1:2], off offset:-2048
	global_load_dwordx2 v[19:20], v[1:2], off
	v_add_co_u32 v1, vcc_lo, v35, 0x3000
	v_add_co_ci_u32_e64 v2, null, 0, v36, vcc_lo
	s_clause 0x1
	global_load_dwordx2 v[25:26], v[1:2], off offset:-2048
	global_load_dwordx2 v[13:14], v[1:2], off
	v_add_co_u32 v1, vcc_lo, v35, 0x4000
	v_add_co_ci_u32_e64 v2, null, 0, v36, vcc_lo
	;; [unrolled: 5-line block ×6, first 2 shown]
	s_addc_u32 s1, s3, 0
	s_add_u32 s2, s2, 0x2000
	s_addc_u32 s3, s3, 0
	global_load_dwordx2 v[15:16], v[15:16], off
	v_cmp_lt_i64_e64 s2, s[2:3], s[26:27]
	v_add_co_u32 v35, vcc_lo, 0x8000, v35
	v_add_co_ci_u32_e64 v36, null, 0, v36, vcc_lo
	s_and_b32 vcc_lo, exec_lo, s2
	s_waitcnt vmcnt(15)
	v_add_f64 v[33:34], v[33:34], v[27:28]
	s_waitcnt vmcnt(14)
	v_add_f64 v[33:34], v[33:34], v[31:32]
	;; [unrolled: 2-line block ×16, first 2 shown]
	s_cbranch_vccnz .LBB160_6
.LBB160_7:
	s_sub_i32 s15, s26, s0
	s_lshl_b64 s[0:1], s[0:1], 3
	v_cmp_gt_u32_e32 vcc_lo, s15, v0
	s_add_u32 s30, s16, s0
	s_addc_u32 s31, s17, s1
	s_and_saveexec_b32 s0, vcc_lo
	s_cbranch_execz .LBB160_9
; %bb.8:
	global_load_dwordx2 v[27:28], v37, s[30:31]
.LBB160_9:
	s_or_b32 exec_lo, exec_lo, s0
	v_or_b32_e32 v35, 0x100, v0
	v_cmp_gt_u32_e64 s0, s15, v35
	s_and_saveexec_b32 s1, s0
	s_cbranch_execz .LBB160_11
; %bb.10:
	v_lshlrev_b32_e32 v31, 3, v35
	global_load_dwordx2 v[31:32], v31, s[30:31]
.LBB160_11:
	s_or_b32 exec_lo, exec_lo, s1
	v_or_b32_e32 v35, 0x200, v0
	v_cmp_gt_u32_e64 s1, s15, v35
	s_and_saveexec_b32 s2, s1
	s_cbranch_execz .LBB160_13
; %bb.12:
	v_lshlrev_b32_e32 v23, 3, v35
	global_load_dwordx2 v[23:24], v23, s[30:31]
.LBB160_13:
	s_or_b32 exec_lo, exec_lo, s2
	v_or_b32_e32 v35, 0x300, v0
	v_cmp_gt_u32_e64 s2, s15, v35
	s_and_saveexec_b32 s3, s2
	s_cbranch_execz .LBB160_15
; %bb.14:
	v_lshlrev_b32_e32 v29, 3, v35
	global_load_dwordx2 v[29:30], v29, s[30:31]
.LBB160_15:
	s_or_b32 exec_lo, exec_lo, s3
	v_or_b32_e32 v35, 0x400, v0
	v_cmp_gt_u32_e64 s3, s15, v35
	s_and_saveexec_b32 s4, s3
	s_cbranch_execz .LBB160_17
; %bb.16:
	v_lshlrev_b32_e32 v19, 3, v35
	global_load_dwordx2 v[19:20], v19, s[30:31]
.LBB160_17:
	s_or_b32 exec_lo, exec_lo, s4
	v_or_b32_e32 v35, 0x500, v0
	v_cmp_gt_u32_e64 s4, s15, v35
	s_and_saveexec_b32 s5, s4
	s_cbranch_execz .LBB160_19
; %bb.18:
	v_lshlrev_b32_e32 v25, 3, v35
	global_load_dwordx2 v[25:26], v25, s[30:31]
.LBB160_19:
	s_or_b32 exec_lo, exec_lo, s5
	v_or_b32_e32 v35, 0x600, v0
	v_cmp_gt_u32_e64 s5, s15, v35
	s_and_saveexec_b32 s6, s5
	s_cbranch_execz .LBB160_21
; %bb.20:
	v_lshlrev_b32_e32 v13, 3, v35
	global_load_dwordx2 v[13:14], v13, s[30:31]
.LBB160_21:
	s_or_b32 exec_lo, exec_lo, s6
	v_or_b32_e32 v35, 0x700, v0
	v_cmp_gt_u32_e64 s6, s15, v35
	s_and_saveexec_b32 s8, s6
	s_cbranch_execz .LBB160_23
; %bb.22:
	v_lshlrev_b32_e32 v21, 3, v35
	global_load_dwordx2 v[21:22], v21, s[30:31]
.LBB160_23:
	s_or_b32 exec_lo, exec_lo, s8
	v_or_b32_e32 v35, 0x800, v0
	v_cmp_gt_u32_e64 s8, s15, v35
	s_and_saveexec_b32 s9, s8
	s_cbranch_execz .LBB160_25
; %bb.24:
	v_lshlrev_b32_e32 v9, 3, v35
	global_load_dwordx2 v[9:10], v9, s[30:31]
.LBB160_25:
	s_or_b32 exec_lo, exec_lo, s9
	v_or_b32_e32 v35, 0x900, v0
	v_cmp_gt_u32_e64 s9, s15, v35
	s_and_saveexec_b32 s10, s9
	s_cbranch_execz .LBB160_27
; %bb.26:
	v_lshlrev_b32_e32 v17, 3, v35
	global_load_dwordx2 v[17:18], v17, s[30:31]
.LBB160_27:
	s_or_b32 exec_lo, exec_lo, s10
	v_or_b32_e32 v35, 0xa00, v0
	v_cmp_gt_u32_e64 s10, s15, v35
	s_and_saveexec_b32 s11, s10
	s_cbranch_execz .LBB160_29
; %bb.28:
	v_lshlrev_b32_e32 v5, 3, v35
	global_load_dwordx2 v[5:6], v5, s[30:31]
.LBB160_29:
	s_or_b32 exec_lo, exec_lo, s11
	v_or_b32_e32 v35, 0xb00, v0
	v_cmp_gt_u32_e64 s11, s15, v35
	s_and_saveexec_b32 s12, s11
	s_cbranch_execz .LBB160_31
; %bb.30:
	v_lshlrev_b32_e32 v11, 3, v35
	global_load_dwordx2 v[11:12], v11, s[30:31]
.LBB160_31:
	s_or_b32 exec_lo, exec_lo, s12
	v_or_b32_e32 v35, 0xc00, v0
	v_cmp_gt_u32_e64 s12, s15, v35
	s_and_saveexec_b32 s13, s12
	s_cbranch_execz .LBB160_33
; %bb.32:
	v_lshlrev_b32_e32 v3, 3, v35
	global_load_dwordx2 v[3:4], v3, s[30:31]
.LBB160_33:
	s_or_b32 exec_lo, exec_lo, s13
	v_or_b32_e32 v35, 0xd00, v0
	v_cmp_gt_u32_e64 s13, s15, v35
	s_and_saveexec_b32 s14, s13
	s_cbranch_execz .LBB160_35
; %bb.34:
	v_lshlrev_b32_e32 v7, 3, v35
	global_load_dwordx2 v[7:8], v7, s[30:31]
.LBB160_35:
	s_or_b32 exec_lo, exec_lo, s14
	v_or_b32_e32 v35, 0xe00, v0
	v_cmp_gt_u32_e64 s14, s15, v35
	s_and_saveexec_b32 s33, s14
	s_cbranch_execz .LBB160_37
; %bb.36:
	v_lshlrev_b32_e32 v1, 3, v35
	global_load_dwordx2 v[1:2], v1, s[30:31]
.LBB160_37:
	s_or_b32 exec_lo, exec_lo, s33
	v_or_b32_e32 v35, 0xf00, v0
	v_cmp_gt_u32_e64 s15, s15, v35
	s_and_saveexec_b32 s33, s15
	s_cbranch_execz .LBB160_39
; %bb.38:
	v_lshlrev_b32_e32 v15, 3, v35
	global_load_dwordx2 v[15:16], v15, s[30:31]
.LBB160_39:
	s_or_b32 exec_lo, exec_lo, s33
	s_waitcnt vmcnt(0)
	v_add_f64 v[27:28], v[33:34], v[27:28]
	v_cndmask_b32_e32 v28, v34, v28, vcc_lo
	v_cndmask_b32_e32 v27, v33, v27, vcc_lo
	v_add_f64 v[31:32], v[31:32], v[27:28]
	v_cndmask_b32_e64 v28, v28, v32, s0
	v_cndmask_b32_e64 v27, v27, v31, s0
	s_mov_b32 s0, exec_lo
	v_add_f64 v[23:24], v[23:24], v[27:28]
	v_cndmask_b32_e64 v24, v28, v24, s1
	v_cndmask_b32_e64 v23, v27, v23, s1
	v_add_f64 v[27:28], v[29:30], v[23:24]
	v_cndmask_b32_e64 v24, v24, v28, s2
	v_cndmask_b32_e64 v23, v23, v27, s2
	;; [unrolled: 3-line block ×14, first 2 shown]
	v_mov_b32_dpp v3, v1 quad_perm:[1,0,3,2] row_mask:0xf bank_mask:0xf
	v_mov_b32_dpp v4, v2 quad_perm:[1,0,3,2] row_mask:0xf bank_mask:0xf
	v_add_f64 v[1:2], v[1:2], v[3:4]
	v_mov_b32_dpp v3, v1 quad_perm:[2,3,0,1] row_mask:0xf bank_mask:0xf
	v_mov_b32_dpp v4, v2 quad_perm:[2,3,0,1] row_mask:0xf bank_mask:0xf
	v_add_f64 v[1:2], v[1:2], v[3:4]
	v_mov_b32_dpp v3, v1 row_ror:4 row_mask:0xf bank_mask:0xf
	v_mov_b32_dpp v4, v2 row_ror:4 row_mask:0xf bank_mask:0xf
	v_add_f64 v[1:2], v[1:2], v[3:4]
	v_mov_b32_dpp v3, v1 row_ror:8 row_mask:0xf bank_mask:0xf
	v_mov_b32_dpp v4, v2 row_ror:8 row_mask:0xf bank_mask:0xf
	v_add_f64 v[1:2], v[1:2], v[3:4]
	ds_swizzle_b32 v3, v1 offset:swizzle(BROADCAST,32,15)
	ds_swizzle_b32 v4, v2 offset:swizzle(BROADCAST,32,15)
	s_waitcnt lgkmcnt(0)
	v_add_f64 v[1:2], v[1:2], v[3:4]
	v_mov_b32_e32 v3, 0
	ds_bpermute_b32 v1, v3, v1 offset:124
	ds_bpermute_b32 v2, v3, v2 offset:124
	v_mbcnt_lo_u32_b32 v3, -1, 0
	v_cmpx_eq_u32_e32 0, v3
	s_cbranch_execz .LBB160_41
; %bb.40:
	v_lshrrev_b32_e32 v4, 2, v0
	v_and_b32_e32 v4, 56, v4
	s_waitcnt lgkmcnt(0)
	ds_write_b64 v4, v[1:2]
.LBB160_41:
	s_or_b32 exec_lo, exec_lo, s0
	s_mov_b32 s0, exec_lo
	s_waitcnt lgkmcnt(0)
	s_barrier
	buffer_gl0_inv
	v_cmpx_gt_u32_e32 32, v0
	s_cbranch_execz .LBB160_43
; %bb.42:
	v_and_b32_e32 v6, 7, v3
	v_lshlrev_b32_e32 v1, 3, v6
	v_cmp_ne_u32_e32 vcc_lo, 7, v6
	ds_read_b64 v[1:2], v1
	v_add_co_ci_u32_e64 v4, null, 0, v3, vcc_lo
	v_cmp_gt_u32_e32 vcc_lo, 6, v6
	v_lshlrev_b32_e32 v5, 2, v4
	s_waitcnt lgkmcnt(0)
	ds_bpermute_b32 v4, v5, v1
	ds_bpermute_b32 v5, v5, v2
	s_waitcnt lgkmcnt(0)
	v_add_f64 v[1:2], v[1:2], v[4:5]
	v_cndmask_b32_e64 v4, 0, 2, vcc_lo
	v_add_lshl_u32 v5, v4, v3, 2
	v_lshlrev_b32_e32 v3, 2, v3
	ds_bpermute_b32 v4, v5, v1
	ds_bpermute_b32 v5, v5, v2
	s_waitcnt lgkmcnt(0)
	v_add_f64 v[1:2], v[1:2], v[4:5]
	v_or_b32_e32 v4, 16, v3
	ds_bpermute_b32 v3, v4, v1
	ds_bpermute_b32 v4, v4, v2
	s_waitcnt lgkmcnt(0)
	v_add_f64 v[1:2], v[1:2], v[3:4]
.LBB160_43:
	s_or_b32 exec_lo, exec_lo, s0
	s_branch .LBB160_80
.LBB160_44:
	v_mov_b32_e32 v3, s24
	v_mov_b32_e32 v4, s25
	s_and_saveexec_b32 s0, s7
	s_cbranch_execnz .LBB160_83
	s_branch .LBB160_84
.LBB160_45:
                                        ; implicit-def: $vgpr1_vgpr2
	s_cbranch_execz .LBB160_80
; %bb.46:
	s_sub_i32 s1, s26, s28
	s_mov_b32 s2, exec_lo
                                        ; implicit-def: $vgpr3_vgpr4
	v_cmpx_gt_u32_e64 s1, v0
	s_cbranch_execz .LBB160_52
; %bb.47:
	v_add_co_u32 v1, s0, s28, v0
	v_add_co_ci_u32_e64 v2, null, s29, 0, s0
	s_mov_b32 s3, exec_lo
	v_lshlrev_b64 v[3:4], 3, v[1:2]
	v_add_co_u32 v5, vcc_lo, s16, v3
	v_add_co_ci_u32_e64 v6, null, s17, v4, vcc_lo
	v_add_co_u32 v1, vcc_lo, 0x100, v1
	v_add_co_ci_u32_e64 v2, null, 0, v2, vcc_lo
	global_load_dwordx2 v[3:4], v[5:6], off
	v_cmpx_gt_i64_e64 s[26:27], v[1:2]
	s_cbranch_execz .LBB160_51
; %bb.48:
	v_add_co_u32 v5, vcc_lo, 0x800, v5
	v_add_co_ci_u32_e64 v6, null, 0, v6, vcc_lo
	s_mov_b32 s4, 0
	.p2align	6
.LBB160_49:                             ; =>This Inner Loop Header: Depth=1
	global_load_dwordx2 v[7:8], v[5:6], off
	v_add_co_u32 v1, vcc_lo, 0x100, v1
	v_add_co_ci_u32_e64 v2, null, 0, v2, vcc_lo
	v_add_co_u32 v5, s0, 0x800, v5
	v_add_co_ci_u32_e64 v6, null, 0, v6, s0
	v_cmp_le_i64_e32 vcc_lo, s[26:27], v[1:2]
	s_or_b32 s4, vcc_lo, s4
	s_waitcnt vmcnt(0)
	v_add_f64 v[3:4], v[3:4], v[7:8]
	s_andn2_b32 exec_lo, exec_lo, s4
	s_cbranch_execnz .LBB160_49
; %bb.50:
	s_or_b32 exec_lo, exec_lo, s4
.LBB160_51:
	s_or_b32 exec_lo, exec_lo, s3
.LBB160_52:
	s_or_b32 exec_lo, exec_lo, s2
	v_mbcnt_lo_u32_b32 v7, -1, 0
	s_cmpk_lt_u32 s1, 0x100
	s_cbranch_scc0 .LBB160_74
; %bb.53:
	v_cmp_ne_u32_e32 vcc_lo, 31, v7
	s_waitcnt vmcnt(0)
	v_mov_b32_e32 v10, v4
	v_mov_b32_e32 v11, v3
	v_add_co_ci_u32_e64 v1, null, 0, v7, vcc_lo
	v_lshlrev_b32_e32 v1, 2, v1
	ds_bpermute_b32 v5, v1, v3
	ds_bpermute_b32 v6, v1, v4
	v_and_b32_e32 v1, 0xe0, v0
	v_sub_nc_u32_e64 v8, s1, v1 clamp
	v_add_nc_u32_e32 v1, 1, v7
	v_cmp_lt_u32_e32 vcc_lo, v1, v8
	v_mov_b32_e32 v1, v3
	v_mov_b32_e32 v2, v4
	s_and_saveexec_b32 s0, vcc_lo
	s_cbranch_execz .LBB160_55
; %bb.54:
	s_waitcnt lgkmcnt(0)
	v_add_f64 v[1:2], v[3:4], v[5:6]
	v_mov_b32_e32 v10, v2
	v_mov_b32_e32 v11, v1
.LBB160_55:
	s_or_b32 exec_lo, exec_lo, s0
	v_cmp_gt_u32_e32 vcc_lo, 30, v7
	v_add_nc_u32_e32 v9, 2, v7
	s_mov_b32 s0, exec_lo
	s_waitcnt lgkmcnt(1)
	v_cndmask_b32_e64 v5, 0, 2, vcc_lo
	s_waitcnt lgkmcnt(0)
	v_add_lshl_u32 v6, v5, v7, 2
	ds_bpermute_b32 v5, v6, v11
	ds_bpermute_b32 v6, v6, v10
	v_cmpx_lt_u32_e64 v9, v8
	s_cbranch_execz .LBB160_57
; %bb.56:
	s_waitcnt lgkmcnt(0)
	v_add_f64 v[1:2], v[1:2], v[5:6]
	v_mov_b32_e32 v10, v2
	v_mov_b32_e32 v11, v1
.LBB160_57:
	s_or_b32 exec_lo, exec_lo, s0
	v_cmp_gt_u32_e32 vcc_lo, 28, v7
	v_add_nc_u32_e32 v9, 4, v7
	s_mov_b32 s0, exec_lo
	s_waitcnt lgkmcnt(1)
	v_cndmask_b32_e64 v5, 0, 4, vcc_lo
	s_waitcnt lgkmcnt(0)
	v_add_lshl_u32 v6, v5, v7, 2
	ds_bpermute_b32 v5, v6, v11
	ds_bpermute_b32 v6, v6, v10
	v_cmpx_lt_u32_e64 v9, v8
	;; [unrolled: 18-line block ×3, first 2 shown]
	s_cbranch_execz .LBB160_61
; %bb.60:
	s_waitcnt lgkmcnt(0)
	v_add_f64 v[1:2], v[1:2], v[5:6]
	v_mov_b32_e32 v10, v2
	v_mov_b32_e32 v11, v1
.LBB160_61:
	s_or_b32 exec_lo, exec_lo, s0
	v_lshlrev_b32_e32 v9, 2, v7
	s_mov_b32 s0, exec_lo
	s_waitcnt lgkmcnt(0)
	v_or_b32_e32 v6, 64, v9
	ds_bpermute_b32 v5, v6, v11
	ds_bpermute_b32 v6, v6, v10
	v_add_nc_u32_e32 v10, 16, v7
	v_cmpx_lt_u32_e64 v10, v8
	s_cbranch_execz .LBB160_63
; %bb.62:
	s_waitcnt lgkmcnt(0)
	v_add_f64 v[1:2], v[1:2], v[5:6]
.LBB160_63:
	s_or_b32 exec_lo, exec_lo, s0
	s_mov_b32 s0, exec_lo
	v_cmpx_eq_u32_e32 0, v7
	s_cbranch_execz .LBB160_65
; %bb.64:
	s_waitcnt lgkmcnt(1)
	v_lshrrev_b32_e32 v5, 2, v0
	v_and_b32_e32 v5, 56, v5
	ds_write_b64 v5, v[1:2]
.LBB160_65:
	s_or_b32 exec_lo, exec_lo, s0
	s_mov_b32 s0, exec_lo
	s_waitcnt lgkmcnt(0)
	s_barrier
	buffer_gl0_inv
	v_cmpx_gt_u32_e32 8, v0
	s_cbranch_execz .LBB160_73
; %bb.66:
	v_lshlrev_b32_e32 v1, 3, v7
	v_and_b32_e32 v8, 7, v7
	s_add_i32 s1, s1, 31
	s_mov_b32 s2, exec_lo
	s_lshr_b32 s1, s1, 5
	ds_read_b64 v[1:2], v1
	v_cmp_ne_u32_e32 vcc_lo, 7, v8
	v_add_nc_u32_e32 v10, 1, v8
	v_add_co_ci_u32_e64 v5, null, 0, v7, vcc_lo
	v_lshlrev_b32_e32 v6, 2, v5
	s_waitcnt lgkmcnt(0)
	ds_bpermute_b32 v5, v6, v1
	ds_bpermute_b32 v6, v6, v2
	v_cmpx_gt_u32_e64 s1, v10
	s_cbranch_execz .LBB160_68
; %bb.67:
	s_waitcnt lgkmcnt(0)
	v_add_f64 v[1:2], v[1:2], v[5:6]
.LBB160_68:
	s_or_b32 exec_lo, exec_lo, s2
	v_cmp_gt_u32_e32 vcc_lo, 6, v8
	v_add_nc_u32_e32 v10, 2, v8
	s_mov_b32 s2, exec_lo
	s_waitcnt lgkmcnt(1)
	v_cndmask_b32_e64 v5, 0, 2, vcc_lo
	s_waitcnt lgkmcnt(0)
	v_add_lshl_u32 v6, v5, v7, 2
	ds_bpermute_b32 v5, v6, v1
	ds_bpermute_b32 v6, v6, v2
	v_cmpx_gt_u32_e64 s1, v10
	s_cbranch_execz .LBB160_70
; %bb.69:
	s_waitcnt lgkmcnt(0)
	v_add_f64 v[1:2], v[1:2], v[5:6]
.LBB160_70:
	s_or_b32 exec_lo, exec_lo, s2
	s_waitcnt lgkmcnt(0)
	v_or_b32_e32 v6, 16, v9
	v_add_nc_u32_e32 v8, 4, v8
	ds_bpermute_b32 v5, v6, v1
	ds_bpermute_b32 v6, v6, v2
	v_cmp_gt_u32_e32 vcc_lo, s1, v8
	s_and_saveexec_b32 s1, vcc_lo
	s_cbranch_execz .LBB160_72
; %bb.71:
	s_waitcnt lgkmcnt(0)
	v_add_f64 v[1:2], v[1:2], v[5:6]
.LBB160_72:
	s_or_b32 exec_lo, exec_lo, s1
.LBB160_73:
	s_or_b32 exec_lo, exec_lo, s0
	s_branch .LBB160_80
.LBB160_74:
                                        ; implicit-def: $vgpr1_vgpr2
	s_cbranch_execz .LBB160_80
; %bb.75:
	s_waitcnt vmcnt(0)
	v_mov_b32_dpp v1, v3 quad_perm:[1,0,3,2] row_mask:0xf bank_mask:0xf
	v_mov_b32_dpp v2, v4 quad_perm:[1,0,3,2] row_mask:0xf bank_mask:0xf
	s_mov_b32 s0, exec_lo
	v_add_f64 v[1:2], v[3:4], v[1:2]
	v_mov_b32_dpp v3, v1 quad_perm:[2,3,0,1] row_mask:0xf bank_mask:0xf
	v_mov_b32_dpp v4, v2 quad_perm:[2,3,0,1] row_mask:0xf bank_mask:0xf
	v_add_f64 v[1:2], v[1:2], v[3:4]
	v_mov_b32_dpp v3, v1 row_ror:4 row_mask:0xf bank_mask:0xf
	v_mov_b32_dpp v4, v2 row_ror:4 row_mask:0xf bank_mask:0xf
	v_add_f64 v[1:2], v[1:2], v[3:4]
	v_mov_b32_dpp v3, v1 row_ror:8 row_mask:0xf bank_mask:0xf
	v_mov_b32_dpp v4, v2 row_ror:8 row_mask:0xf bank_mask:0xf
	v_add_f64 v[1:2], v[1:2], v[3:4]
	ds_swizzle_b32 v3, v1 offset:swizzle(BROADCAST,32,15)
	ds_swizzle_b32 v4, v2 offset:swizzle(BROADCAST,32,15)
	s_waitcnt lgkmcnt(0)
	v_add_f64 v[1:2], v[1:2], v[3:4]
	v_mov_b32_e32 v3, 0
	ds_bpermute_b32 v1, v3, v1 offset:124
	ds_bpermute_b32 v2, v3, v2 offset:124
	v_cmpx_eq_u32_e32 0, v7
	s_cbranch_execz .LBB160_77
; %bb.76:
	v_lshrrev_b32_e32 v3, 2, v0
	v_and_b32_e32 v3, 56, v3
	s_waitcnt lgkmcnt(0)
	ds_write_b64 v3, v[1:2]
.LBB160_77:
	s_or_b32 exec_lo, exec_lo, s0
	s_mov_b32 s0, exec_lo
	s_waitcnt lgkmcnt(0)
	s_barrier
	buffer_gl0_inv
	v_cmpx_gt_u32_e32 32, v0
	s_cbranch_execz .LBB160_79
; %bb.78:
	v_and_b32_e32 v5, 7, v7
	v_lshlrev_b32_e32 v1, 3, v5
	v_cmp_ne_u32_e32 vcc_lo, 7, v5
	ds_read_b64 v[1:2], v1
	v_add_co_ci_u32_e64 v3, null, 0, v7, vcc_lo
	v_cmp_gt_u32_e32 vcc_lo, 6, v5
	v_lshlrev_b32_e32 v4, 2, v3
	s_waitcnt lgkmcnt(0)
	ds_bpermute_b32 v3, v4, v1
	ds_bpermute_b32 v4, v4, v2
	s_waitcnt lgkmcnt(0)
	v_add_f64 v[1:2], v[1:2], v[3:4]
	v_cndmask_b32_e64 v3, 0, 2, vcc_lo
	v_add_lshl_u32 v4, v3, v7, 2
	ds_bpermute_b32 v3, v4, v1
	ds_bpermute_b32 v4, v4, v2
	s_waitcnt lgkmcnt(0)
	v_add_f64 v[1:2], v[1:2], v[3:4]
	v_lshlrev_b32_e32 v3, 2, v7
	v_or_b32_e32 v4, 16, v3
	ds_bpermute_b32 v3, v4, v1
	ds_bpermute_b32 v4, v4, v2
	s_waitcnt lgkmcnt(0)
	v_add_f64 v[1:2], v[1:2], v[3:4]
.LBB160_79:
	s_or_b32 exec_lo, exec_lo, s0
.LBB160_80:
	s_mov_b32 s0, exec_lo
                                        ; implicit-def: $vgpr3_vgpr4
	v_cmpx_eq_u32_e32 0, v0
	s_cbranch_execz .LBB160_82
; %bb.81:
	s_waitcnt vmcnt(0)
	v_add_f64 v[3:4], s[24:25], v[1:2]
	s_or_b32 s7, s7, exec_lo
.LBB160_82:
	s_or_b32 exec_lo, exec_lo, s0
	s_and_saveexec_b32 s0, s7
	s_cbranch_execz .LBB160_84
.LBB160_83:
	s_add_u32 s0, s18, s20
	v_mov_b32_e32 v0, 0
	s_addc_u32 s1, s19, s21
	s_add_u32 s0, s0, s22
	s_addc_u32 s1, s1, s23
	s_waitcnt vmcnt(0)
	global_store_dwordx2 v0, v[3:4], s[0:1]
.LBB160_84:
	s_endpgm
	.section	.rodata,"a",@progbits
	.p2align	6, 0x0
	.amdhsa_kernel _ZN7rocprim17ROCPRIM_400000_NS6detail17trampoline_kernelINS0_14default_configENS1_32segmented_reduce_config_selectorIdEEZNS1_21segmented_reduce_implIS3_PKdPdPKldN6hipcub16HIPCUB_304000_NS6detail27convert_result_type_wrapperIS8_S9_N2at6native12_GLOBAL__N_19CustomSumEEEEE10hipError_tPvRmT0_T1_jT2_SQ_T4_T3_P12ihipStream_tbEUlT_E_NS1_11comp_targetILNS1_3genE8ELNS1_11target_archE1030ELNS1_3gpuE2ELNS1_3repE0EEENS1_30default_config_static_selectorELNS0_4arch9wavefront6targetE0EEEvSP_
		.amdhsa_group_segment_fixed_size 64
		.amdhsa_private_segment_fixed_size 0
		.amdhsa_kernarg_size 56
		.amdhsa_user_sgpr_count 6
		.amdhsa_user_sgpr_private_segment_buffer 1
		.amdhsa_user_sgpr_dispatch_ptr 0
		.amdhsa_user_sgpr_queue_ptr 0
		.amdhsa_user_sgpr_kernarg_segment_ptr 1
		.amdhsa_user_sgpr_dispatch_id 0
		.amdhsa_user_sgpr_flat_scratch_init 0
		.amdhsa_user_sgpr_private_segment_size 0
		.amdhsa_wavefront_size32 1
		.amdhsa_uses_dynamic_stack 0
		.amdhsa_system_sgpr_private_segment_wavefront_offset 0
		.amdhsa_system_sgpr_workgroup_id_x 1
		.amdhsa_system_sgpr_workgroup_id_y 0
		.amdhsa_system_sgpr_workgroup_id_z 0
		.amdhsa_system_sgpr_workgroup_info 0
		.amdhsa_system_vgpr_workitem_id 0
		.amdhsa_next_free_vgpr 38
		.amdhsa_next_free_sgpr 34
		.amdhsa_reserve_vcc 1
		.amdhsa_reserve_flat_scratch 0
		.amdhsa_float_round_mode_32 0
		.amdhsa_float_round_mode_16_64 0
		.amdhsa_float_denorm_mode_32 3
		.amdhsa_float_denorm_mode_16_64 3
		.amdhsa_dx10_clamp 1
		.amdhsa_ieee_mode 1
		.amdhsa_fp16_overflow 0
		.amdhsa_workgroup_processor_mode 1
		.amdhsa_memory_ordered 1
		.amdhsa_forward_progress 1
		.amdhsa_shared_vgpr_count 0
		.amdhsa_exception_fp_ieee_invalid_op 0
		.amdhsa_exception_fp_denorm_src 0
		.amdhsa_exception_fp_ieee_div_zero 0
		.amdhsa_exception_fp_ieee_overflow 0
		.amdhsa_exception_fp_ieee_underflow 0
		.amdhsa_exception_fp_ieee_inexact 0
		.amdhsa_exception_int_div_zero 0
	.end_amdhsa_kernel
	.section	.text._ZN7rocprim17ROCPRIM_400000_NS6detail17trampoline_kernelINS0_14default_configENS1_32segmented_reduce_config_selectorIdEEZNS1_21segmented_reduce_implIS3_PKdPdPKldN6hipcub16HIPCUB_304000_NS6detail27convert_result_type_wrapperIS8_S9_N2at6native12_GLOBAL__N_19CustomSumEEEEE10hipError_tPvRmT0_T1_jT2_SQ_T4_T3_P12ihipStream_tbEUlT_E_NS1_11comp_targetILNS1_3genE8ELNS1_11target_archE1030ELNS1_3gpuE2ELNS1_3repE0EEENS1_30default_config_static_selectorELNS0_4arch9wavefront6targetE0EEEvSP_,"axG",@progbits,_ZN7rocprim17ROCPRIM_400000_NS6detail17trampoline_kernelINS0_14default_configENS1_32segmented_reduce_config_selectorIdEEZNS1_21segmented_reduce_implIS3_PKdPdPKldN6hipcub16HIPCUB_304000_NS6detail27convert_result_type_wrapperIS8_S9_N2at6native12_GLOBAL__N_19CustomSumEEEEE10hipError_tPvRmT0_T1_jT2_SQ_T4_T3_P12ihipStream_tbEUlT_E_NS1_11comp_targetILNS1_3genE8ELNS1_11target_archE1030ELNS1_3gpuE2ELNS1_3repE0EEENS1_30default_config_static_selectorELNS0_4arch9wavefront6targetE0EEEvSP_,comdat
.Lfunc_end160:
	.size	_ZN7rocprim17ROCPRIM_400000_NS6detail17trampoline_kernelINS0_14default_configENS1_32segmented_reduce_config_selectorIdEEZNS1_21segmented_reduce_implIS3_PKdPdPKldN6hipcub16HIPCUB_304000_NS6detail27convert_result_type_wrapperIS8_S9_N2at6native12_GLOBAL__N_19CustomSumEEEEE10hipError_tPvRmT0_T1_jT2_SQ_T4_T3_P12ihipStream_tbEUlT_E_NS1_11comp_targetILNS1_3genE8ELNS1_11target_archE1030ELNS1_3gpuE2ELNS1_3repE0EEENS1_30default_config_static_selectorELNS0_4arch9wavefront6targetE0EEEvSP_, .Lfunc_end160-_ZN7rocprim17ROCPRIM_400000_NS6detail17trampoline_kernelINS0_14default_configENS1_32segmented_reduce_config_selectorIdEEZNS1_21segmented_reduce_implIS3_PKdPdPKldN6hipcub16HIPCUB_304000_NS6detail27convert_result_type_wrapperIS8_S9_N2at6native12_GLOBAL__N_19CustomSumEEEEE10hipError_tPvRmT0_T1_jT2_SQ_T4_T3_P12ihipStream_tbEUlT_E_NS1_11comp_targetILNS1_3genE8ELNS1_11target_archE1030ELNS1_3gpuE2ELNS1_3repE0EEENS1_30default_config_static_selectorELNS0_4arch9wavefront6targetE0EEEvSP_
                                        ; -- End function
	.set _ZN7rocprim17ROCPRIM_400000_NS6detail17trampoline_kernelINS0_14default_configENS1_32segmented_reduce_config_selectorIdEEZNS1_21segmented_reduce_implIS3_PKdPdPKldN6hipcub16HIPCUB_304000_NS6detail27convert_result_type_wrapperIS8_S9_N2at6native12_GLOBAL__N_19CustomSumEEEEE10hipError_tPvRmT0_T1_jT2_SQ_T4_T3_P12ihipStream_tbEUlT_E_NS1_11comp_targetILNS1_3genE8ELNS1_11target_archE1030ELNS1_3gpuE2ELNS1_3repE0EEENS1_30default_config_static_selectorELNS0_4arch9wavefront6targetE0EEEvSP_.num_vgpr, 38
	.set _ZN7rocprim17ROCPRIM_400000_NS6detail17trampoline_kernelINS0_14default_configENS1_32segmented_reduce_config_selectorIdEEZNS1_21segmented_reduce_implIS3_PKdPdPKldN6hipcub16HIPCUB_304000_NS6detail27convert_result_type_wrapperIS8_S9_N2at6native12_GLOBAL__N_19CustomSumEEEEE10hipError_tPvRmT0_T1_jT2_SQ_T4_T3_P12ihipStream_tbEUlT_E_NS1_11comp_targetILNS1_3genE8ELNS1_11target_archE1030ELNS1_3gpuE2ELNS1_3repE0EEENS1_30default_config_static_selectorELNS0_4arch9wavefront6targetE0EEEvSP_.num_agpr, 0
	.set _ZN7rocprim17ROCPRIM_400000_NS6detail17trampoline_kernelINS0_14default_configENS1_32segmented_reduce_config_selectorIdEEZNS1_21segmented_reduce_implIS3_PKdPdPKldN6hipcub16HIPCUB_304000_NS6detail27convert_result_type_wrapperIS8_S9_N2at6native12_GLOBAL__N_19CustomSumEEEEE10hipError_tPvRmT0_T1_jT2_SQ_T4_T3_P12ihipStream_tbEUlT_E_NS1_11comp_targetILNS1_3genE8ELNS1_11target_archE1030ELNS1_3gpuE2ELNS1_3repE0EEENS1_30default_config_static_selectorELNS0_4arch9wavefront6targetE0EEEvSP_.numbered_sgpr, 34
	.set _ZN7rocprim17ROCPRIM_400000_NS6detail17trampoline_kernelINS0_14default_configENS1_32segmented_reduce_config_selectorIdEEZNS1_21segmented_reduce_implIS3_PKdPdPKldN6hipcub16HIPCUB_304000_NS6detail27convert_result_type_wrapperIS8_S9_N2at6native12_GLOBAL__N_19CustomSumEEEEE10hipError_tPvRmT0_T1_jT2_SQ_T4_T3_P12ihipStream_tbEUlT_E_NS1_11comp_targetILNS1_3genE8ELNS1_11target_archE1030ELNS1_3gpuE2ELNS1_3repE0EEENS1_30default_config_static_selectorELNS0_4arch9wavefront6targetE0EEEvSP_.num_named_barrier, 0
	.set _ZN7rocprim17ROCPRIM_400000_NS6detail17trampoline_kernelINS0_14default_configENS1_32segmented_reduce_config_selectorIdEEZNS1_21segmented_reduce_implIS3_PKdPdPKldN6hipcub16HIPCUB_304000_NS6detail27convert_result_type_wrapperIS8_S9_N2at6native12_GLOBAL__N_19CustomSumEEEEE10hipError_tPvRmT0_T1_jT2_SQ_T4_T3_P12ihipStream_tbEUlT_E_NS1_11comp_targetILNS1_3genE8ELNS1_11target_archE1030ELNS1_3gpuE2ELNS1_3repE0EEENS1_30default_config_static_selectorELNS0_4arch9wavefront6targetE0EEEvSP_.private_seg_size, 0
	.set _ZN7rocprim17ROCPRIM_400000_NS6detail17trampoline_kernelINS0_14default_configENS1_32segmented_reduce_config_selectorIdEEZNS1_21segmented_reduce_implIS3_PKdPdPKldN6hipcub16HIPCUB_304000_NS6detail27convert_result_type_wrapperIS8_S9_N2at6native12_GLOBAL__N_19CustomSumEEEEE10hipError_tPvRmT0_T1_jT2_SQ_T4_T3_P12ihipStream_tbEUlT_E_NS1_11comp_targetILNS1_3genE8ELNS1_11target_archE1030ELNS1_3gpuE2ELNS1_3repE0EEENS1_30default_config_static_selectorELNS0_4arch9wavefront6targetE0EEEvSP_.uses_vcc, 1
	.set _ZN7rocprim17ROCPRIM_400000_NS6detail17trampoline_kernelINS0_14default_configENS1_32segmented_reduce_config_selectorIdEEZNS1_21segmented_reduce_implIS3_PKdPdPKldN6hipcub16HIPCUB_304000_NS6detail27convert_result_type_wrapperIS8_S9_N2at6native12_GLOBAL__N_19CustomSumEEEEE10hipError_tPvRmT0_T1_jT2_SQ_T4_T3_P12ihipStream_tbEUlT_E_NS1_11comp_targetILNS1_3genE8ELNS1_11target_archE1030ELNS1_3gpuE2ELNS1_3repE0EEENS1_30default_config_static_selectorELNS0_4arch9wavefront6targetE0EEEvSP_.uses_flat_scratch, 0
	.set _ZN7rocprim17ROCPRIM_400000_NS6detail17trampoline_kernelINS0_14default_configENS1_32segmented_reduce_config_selectorIdEEZNS1_21segmented_reduce_implIS3_PKdPdPKldN6hipcub16HIPCUB_304000_NS6detail27convert_result_type_wrapperIS8_S9_N2at6native12_GLOBAL__N_19CustomSumEEEEE10hipError_tPvRmT0_T1_jT2_SQ_T4_T3_P12ihipStream_tbEUlT_E_NS1_11comp_targetILNS1_3genE8ELNS1_11target_archE1030ELNS1_3gpuE2ELNS1_3repE0EEENS1_30default_config_static_selectorELNS0_4arch9wavefront6targetE0EEEvSP_.has_dyn_sized_stack, 0
	.set _ZN7rocprim17ROCPRIM_400000_NS6detail17trampoline_kernelINS0_14default_configENS1_32segmented_reduce_config_selectorIdEEZNS1_21segmented_reduce_implIS3_PKdPdPKldN6hipcub16HIPCUB_304000_NS6detail27convert_result_type_wrapperIS8_S9_N2at6native12_GLOBAL__N_19CustomSumEEEEE10hipError_tPvRmT0_T1_jT2_SQ_T4_T3_P12ihipStream_tbEUlT_E_NS1_11comp_targetILNS1_3genE8ELNS1_11target_archE1030ELNS1_3gpuE2ELNS1_3repE0EEENS1_30default_config_static_selectorELNS0_4arch9wavefront6targetE0EEEvSP_.has_recursion, 0
	.set _ZN7rocprim17ROCPRIM_400000_NS6detail17trampoline_kernelINS0_14default_configENS1_32segmented_reduce_config_selectorIdEEZNS1_21segmented_reduce_implIS3_PKdPdPKldN6hipcub16HIPCUB_304000_NS6detail27convert_result_type_wrapperIS8_S9_N2at6native12_GLOBAL__N_19CustomSumEEEEE10hipError_tPvRmT0_T1_jT2_SQ_T4_T3_P12ihipStream_tbEUlT_E_NS1_11comp_targetILNS1_3genE8ELNS1_11target_archE1030ELNS1_3gpuE2ELNS1_3repE0EEENS1_30default_config_static_selectorELNS0_4arch9wavefront6targetE0EEEvSP_.has_indirect_call, 0
	.section	.AMDGPU.csdata,"",@progbits
; Kernel info:
; codeLenInByte = 4232
; TotalNumSgprs: 36
; NumVgprs: 38
; ScratchSize: 0
; MemoryBound: 0
; FloatMode: 240
; IeeeMode: 1
; LDSByteSize: 64 bytes/workgroup (compile time only)
; SGPRBlocks: 0
; VGPRBlocks: 4
; NumSGPRsForWavesPerEU: 36
; NumVGPRsForWavesPerEU: 38
; Occupancy: 16
; WaveLimiterHint : 1
; COMPUTE_PGM_RSRC2:SCRATCH_EN: 0
; COMPUTE_PGM_RSRC2:USER_SGPR: 6
; COMPUTE_PGM_RSRC2:TRAP_HANDLER: 0
; COMPUTE_PGM_RSRC2:TGID_X_EN: 1
; COMPUTE_PGM_RSRC2:TGID_Y_EN: 0
; COMPUTE_PGM_RSRC2:TGID_Z_EN: 0
; COMPUTE_PGM_RSRC2:TIDIG_COMP_CNT: 0
	.section	.text._ZN2at6native12_GLOBAL__N_119post_sum_div_kernelIdlEEvPT_PKT0_lbS3_,"axG",@progbits,_ZN2at6native12_GLOBAL__N_119post_sum_div_kernelIdlEEvPT_PKT0_lbS3_,comdat
	.globl	_ZN2at6native12_GLOBAL__N_119post_sum_div_kernelIdlEEvPT_PKT0_lbS3_ ; -- Begin function _ZN2at6native12_GLOBAL__N_119post_sum_div_kernelIdlEEvPT_PKT0_lbS3_
	.p2align	8
	.type	_ZN2at6native12_GLOBAL__N_119post_sum_div_kernelIdlEEvPT_PKT0_lbS3_,@function
_ZN2at6native12_GLOBAL__N_119post_sum_div_kernelIdlEEvPT_PKT0_lbS3_: ; @_ZN2at6native12_GLOBAL__N_119post_sum_div_kernelIdlEEvPT_PKT0_lbS3_
; %bb.0:
	s_clause 0x1
	s_load_dword s7, s[4:5], 0x34
	s_load_dwordx2 s[2:3], s[4:5], 0x10
	v_mov_b32_e32 v1, 0
	s_add_u32 s0, s4, 40
	s_addc_u32 s1, s5, 0
	s_waitcnt lgkmcnt(0)
	s_and_b32 s8, s7, 0xffff
	v_mad_u64_u32 v[2:3], null, s8, s6, v[0:1]
	s_mov_b32 s6, exec_lo
	v_cmpx_gt_i64_e64 s[2:3], v[2:3]
	s_cbranch_execz .LBB161_12
; %bb.1:
	s_load_dword s9, s[4:5], 0x18
	s_load_dword s0, s[0:1], 0x0
	s_clause 0x1
	s_load_dwordx2 s[12:13], s[4:5], 0x20
	s_load_dwordx4 s[4:7], s[4:5], 0x0
	v_mov_b32_e32 v0, v1
	v_mov_b32_e32 v1, v2
	s_mov_b32 s1, 0
                                        ; implicit-def: $sgpr11
                                        ; implicit-def: $sgpr14
	s_waitcnt lgkmcnt(0)
	s_bitcmp1_b32 s9, 0
	s_mul_i32 s10, s0, s8
	s_cselect_b32 s9, s13, 0x7ff80000
	s_cselect_b32 s8, s12, 0
	s_mov_b32 s12, s10
                                        ; implicit-def: $sgpr13
.LBB161_2:                              ; =>This Inner Loop Header: Depth=1
	v_ashrrev_i64 v[4:5], 29, v[0:1]
	s_or_b32 s13, s13, exec_lo
	s_or_b32 s14, s14, exec_lo
	s_mov_b32 s15, exec_lo
	v_add_co_u32 v4, vcc_lo, s6, v4
	v_add_co_ci_u32_e64 v5, null, s7, v5, vcc_lo
	global_load_dwordx2 v[6:7], v[4:5], off
	s_waitcnt vmcnt(0)
	v_cmpx_lt_i64_e32 -1, v[6:7]
	s_cbranch_execz .LBB161_10
; %bb.3:                                ;   in Loop: Header=BB161_2 Depth=1
	v_ashrrev_i32_e32 v5, 31, v1
	v_mov_b32_e32 v4, v1
	v_mov_b32_e32 v8, s8
	v_mov_b32_e32 v9, s9
	s_mov_b32 s16, -1
	v_lshlrev_b64 v[4:5], 3, v[4:5]
	v_add_co_u32 v4, s0, s4, v4
	v_add_co_ci_u32_e64 v5, null, s5, v5, s0
	s_mov_b32 s0, exec_lo
	v_cmpx_ne_u64_e32 0, v[6:7]
	s_cbranch_execz .LBB161_7
; %bb.4:                                ;   in Loop: Header=BB161_2 Depth=1
	global_load_dwordx2 v[10:11], v[4:5], off
	s_mov_b32 s16, 0
	s_mov_b32 s17, exec_lo
                                        ; implicit-def: $vgpr8_vgpr9
	s_waitcnt vmcnt(0)
	v_cmpx_o_f64_e32 v[10:11], v[10:11]
	s_cbranch_execz .LBB161_6
; %bb.5:                                ;   in Loop: Header=BB161_2 Depth=1
	v_cvt_f64_u32_e32 v[7:8], v7
	v_cvt_f64_u32_e32 v[12:13], v6
	s_mov_b32 s16, exec_lo
	v_ldexp_f64 v[6:7], v[7:8], 32
	v_add_f64 v[6:7], v[6:7], v[12:13]
	v_div_scale_f64 v[8:9], null, v[6:7], v[6:7], v[10:11]
	v_rcp_f64_e32 v[12:13], v[8:9]
	v_fma_f64 v[14:15], -v[8:9], v[12:13], 1.0
	v_fma_f64 v[12:13], v[12:13], v[14:15], v[12:13]
	v_fma_f64 v[14:15], -v[8:9], v[12:13], 1.0
	v_fma_f64 v[12:13], v[12:13], v[14:15], v[12:13]
	v_div_scale_f64 v[14:15], vcc_lo, v[10:11], v[6:7], v[10:11]
	v_mul_f64 v[16:17], v[14:15], v[12:13]
	v_fma_f64 v[8:9], -v[8:9], v[16:17], v[14:15]
	v_div_fmas_f64 v[8:9], v[8:9], v[12:13], v[16:17]
	v_div_fixup_f64 v[8:9], v[8:9], v[6:7], v[10:11]
.LBB161_6:                              ;   in Loop: Header=BB161_2 Depth=1
	s_or_b32 exec_lo, exec_lo, s17
	s_orn2_b32 s16, s16, exec_lo
.LBB161_7:                              ;   in Loop: Header=BB161_2 Depth=1
	s_or_b32 exec_lo, exec_lo, s0
	s_and_saveexec_b32 s0, s16
	s_cbranch_execz .LBB161_9
; %bb.8:                                ;   in Loop: Header=BB161_2 Depth=1
	global_store_dwordx2 v[4:5], v[8:9], off
.LBB161_9:                              ;   in Loop: Header=BB161_2 Depth=1
	s_or_b32 exec_lo, exec_lo, s0
	v_add_co_u32 v2, vcc_lo, v2, s10
	v_add_co_ci_u32_e64 v3, null, 0, v3, vcc_lo
	v_add_co_u32 v0, s0, v0, 0
	v_add_co_ci_u32_e64 v1, null, s12, v1, s0
	v_cmp_le_i64_e32 vcc_lo, s[2:3], v[2:3]
	s_andn2_b32 s0, s14, exec_lo
	s_andn2_b32 s13, s13, exec_lo
	s_and_b32 s14, vcc_lo, exec_lo
	s_or_b32 s14, s0, s14
.LBB161_10:                             ;   in Loop: Header=BB161_2 Depth=1
	s_or_b32 exec_lo, exec_lo, s15
	s_and_b32 s0, exec_lo, s14
	s_or_b32 s1, s0, s1
	s_andn2_b32 s0, s11, exec_lo
	s_and_b32 s11, s13, exec_lo
	s_or_b32 s11, s0, s11
	s_andn2_b32 exec_lo, exec_lo, s1
	s_cbranch_execnz .LBB161_2
; %bb.11:
	s_or_b32 exec_lo, exec_lo, s1
	s_and_saveexec_b32 s0, s11
	s_xor_b32 s0, exec_lo, s0
	s_cbranch_execnz .LBB161_13
.LBB161_12:
	s_endpgm
.LBB161_13:
	s_trap 2
	; divergent unreachable
	s_endpgm
	.section	.rodata,"a",@progbits
	.p2align	6, 0x0
	.amdhsa_kernel _ZN2at6native12_GLOBAL__N_119post_sum_div_kernelIdlEEvPT_PKT0_lbS3_
		.amdhsa_group_segment_fixed_size 0
		.amdhsa_private_segment_fixed_size 0
		.amdhsa_kernarg_size 296
		.amdhsa_user_sgpr_count 6
		.amdhsa_user_sgpr_private_segment_buffer 1
		.amdhsa_user_sgpr_dispatch_ptr 0
		.amdhsa_user_sgpr_queue_ptr 0
		.amdhsa_user_sgpr_kernarg_segment_ptr 1
		.amdhsa_user_sgpr_dispatch_id 0
		.amdhsa_user_sgpr_flat_scratch_init 0
		.amdhsa_user_sgpr_private_segment_size 0
		.amdhsa_wavefront_size32 1
		.amdhsa_uses_dynamic_stack 0
		.amdhsa_system_sgpr_private_segment_wavefront_offset 0
		.amdhsa_system_sgpr_workgroup_id_x 1
		.amdhsa_system_sgpr_workgroup_id_y 0
		.amdhsa_system_sgpr_workgroup_id_z 0
		.amdhsa_system_sgpr_workgroup_info 0
		.amdhsa_system_vgpr_workitem_id 0
		.amdhsa_next_free_vgpr 18
		.amdhsa_next_free_sgpr 18
		.amdhsa_reserve_vcc 1
		.amdhsa_reserve_flat_scratch 0
		.amdhsa_float_round_mode_32 0
		.amdhsa_float_round_mode_16_64 0
		.amdhsa_float_denorm_mode_32 3
		.amdhsa_float_denorm_mode_16_64 3
		.amdhsa_dx10_clamp 1
		.amdhsa_ieee_mode 1
		.amdhsa_fp16_overflow 0
		.amdhsa_workgroup_processor_mode 1
		.amdhsa_memory_ordered 1
		.amdhsa_forward_progress 1
		.amdhsa_shared_vgpr_count 0
		.amdhsa_exception_fp_ieee_invalid_op 0
		.amdhsa_exception_fp_denorm_src 0
		.amdhsa_exception_fp_ieee_div_zero 0
		.amdhsa_exception_fp_ieee_overflow 0
		.amdhsa_exception_fp_ieee_underflow 0
		.amdhsa_exception_fp_ieee_inexact 0
		.amdhsa_exception_int_div_zero 0
	.end_amdhsa_kernel
	.section	.text._ZN2at6native12_GLOBAL__N_119post_sum_div_kernelIdlEEvPT_PKT0_lbS3_,"axG",@progbits,_ZN2at6native12_GLOBAL__N_119post_sum_div_kernelIdlEEvPT_PKT0_lbS3_,comdat
.Lfunc_end161:
	.size	_ZN2at6native12_GLOBAL__N_119post_sum_div_kernelIdlEEvPT_PKT0_lbS3_, .Lfunc_end161-_ZN2at6native12_GLOBAL__N_119post_sum_div_kernelIdlEEvPT_PKT0_lbS3_
                                        ; -- End function
	.set _ZN2at6native12_GLOBAL__N_119post_sum_div_kernelIdlEEvPT_PKT0_lbS3_.num_vgpr, 18
	.set _ZN2at6native12_GLOBAL__N_119post_sum_div_kernelIdlEEvPT_PKT0_lbS3_.num_agpr, 0
	.set _ZN2at6native12_GLOBAL__N_119post_sum_div_kernelIdlEEvPT_PKT0_lbS3_.numbered_sgpr, 18
	.set _ZN2at6native12_GLOBAL__N_119post_sum_div_kernelIdlEEvPT_PKT0_lbS3_.num_named_barrier, 0
	.set _ZN2at6native12_GLOBAL__N_119post_sum_div_kernelIdlEEvPT_PKT0_lbS3_.private_seg_size, 0
	.set _ZN2at6native12_GLOBAL__N_119post_sum_div_kernelIdlEEvPT_PKT0_lbS3_.uses_vcc, 1
	.set _ZN2at6native12_GLOBAL__N_119post_sum_div_kernelIdlEEvPT_PKT0_lbS3_.uses_flat_scratch, 0
	.set _ZN2at6native12_GLOBAL__N_119post_sum_div_kernelIdlEEvPT_PKT0_lbS3_.has_dyn_sized_stack, 0
	.set _ZN2at6native12_GLOBAL__N_119post_sum_div_kernelIdlEEvPT_PKT0_lbS3_.has_recursion, 0
	.set _ZN2at6native12_GLOBAL__N_119post_sum_div_kernelIdlEEvPT_PKT0_lbS3_.has_indirect_call, 0
	.section	.AMDGPU.csdata,"",@progbits
; Kernel info:
; codeLenInByte = 540
; TotalNumSgprs: 20
; NumVgprs: 18
; ScratchSize: 0
; MemoryBound: 0
; FloatMode: 240
; IeeeMode: 1
; LDSByteSize: 0 bytes/workgroup (compile time only)
; SGPRBlocks: 0
; VGPRBlocks: 2
; NumSGPRsForWavesPerEU: 20
; NumVGPRsForWavesPerEU: 18
; Occupancy: 16
; WaveLimiterHint : 0
; COMPUTE_PGM_RSRC2:SCRATCH_EN: 0
; COMPUTE_PGM_RSRC2:USER_SGPR: 6
; COMPUTE_PGM_RSRC2:TRAP_HANDLER: 0
; COMPUTE_PGM_RSRC2:TGID_X_EN: 1
; COMPUTE_PGM_RSRC2:TGID_Y_EN: 0
; COMPUTE_PGM_RSRC2:TGID_Z_EN: 0
; COMPUTE_PGM_RSRC2:TIDIG_COMP_CNT: 0
	.section	.text._ZN7rocprim17ROCPRIM_400000_NS6detail17trampoline_kernelINS0_14default_configENS1_32segmented_reduce_config_selectorIdEEZNS1_21segmented_reduce_implIS3_PKdPdPKldN6hipcub16HIPCUB_304000_NS6detail27convert_result_type_wrapperIS8_S9_N2at6native12_GLOBAL__N_19CustomMinEEEEE10hipError_tPvRmT0_T1_jT2_SQ_T4_T3_P12ihipStream_tbEUlT_E_NS1_11comp_targetILNS1_3genE0ELNS1_11target_archE4294967295ELNS1_3gpuE0ELNS1_3repE0EEENS1_30default_config_static_selectorELNS0_4arch9wavefront6targetE0EEEvSP_,"axG",@progbits,_ZN7rocprim17ROCPRIM_400000_NS6detail17trampoline_kernelINS0_14default_configENS1_32segmented_reduce_config_selectorIdEEZNS1_21segmented_reduce_implIS3_PKdPdPKldN6hipcub16HIPCUB_304000_NS6detail27convert_result_type_wrapperIS8_S9_N2at6native12_GLOBAL__N_19CustomMinEEEEE10hipError_tPvRmT0_T1_jT2_SQ_T4_T3_P12ihipStream_tbEUlT_E_NS1_11comp_targetILNS1_3genE0ELNS1_11target_archE4294967295ELNS1_3gpuE0ELNS1_3repE0EEENS1_30default_config_static_selectorELNS0_4arch9wavefront6targetE0EEEvSP_,comdat
	.globl	_ZN7rocprim17ROCPRIM_400000_NS6detail17trampoline_kernelINS0_14default_configENS1_32segmented_reduce_config_selectorIdEEZNS1_21segmented_reduce_implIS3_PKdPdPKldN6hipcub16HIPCUB_304000_NS6detail27convert_result_type_wrapperIS8_S9_N2at6native12_GLOBAL__N_19CustomMinEEEEE10hipError_tPvRmT0_T1_jT2_SQ_T4_T3_P12ihipStream_tbEUlT_E_NS1_11comp_targetILNS1_3genE0ELNS1_11target_archE4294967295ELNS1_3gpuE0ELNS1_3repE0EEENS1_30default_config_static_selectorELNS0_4arch9wavefront6targetE0EEEvSP_ ; -- Begin function _ZN7rocprim17ROCPRIM_400000_NS6detail17trampoline_kernelINS0_14default_configENS1_32segmented_reduce_config_selectorIdEEZNS1_21segmented_reduce_implIS3_PKdPdPKldN6hipcub16HIPCUB_304000_NS6detail27convert_result_type_wrapperIS8_S9_N2at6native12_GLOBAL__N_19CustomMinEEEEE10hipError_tPvRmT0_T1_jT2_SQ_T4_T3_P12ihipStream_tbEUlT_E_NS1_11comp_targetILNS1_3genE0ELNS1_11target_archE4294967295ELNS1_3gpuE0ELNS1_3repE0EEENS1_30default_config_static_selectorELNS0_4arch9wavefront6targetE0EEEvSP_
	.p2align	8
	.type	_ZN7rocprim17ROCPRIM_400000_NS6detail17trampoline_kernelINS0_14default_configENS1_32segmented_reduce_config_selectorIdEEZNS1_21segmented_reduce_implIS3_PKdPdPKldN6hipcub16HIPCUB_304000_NS6detail27convert_result_type_wrapperIS8_S9_N2at6native12_GLOBAL__N_19CustomMinEEEEE10hipError_tPvRmT0_T1_jT2_SQ_T4_T3_P12ihipStream_tbEUlT_E_NS1_11comp_targetILNS1_3genE0ELNS1_11target_archE4294967295ELNS1_3gpuE0ELNS1_3repE0EEENS1_30default_config_static_selectorELNS0_4arch9wavefront6targetE0EEEvSP_,@function
_ZN7rocprim17ROCPRIM_400000_NS6detail17trampoline_kernelINS0_14default_configENS1_32segmented_reduce_config_selectorIdEEZNS1_21segmented_reduce_implIS3_PKdPdPKldN6hipcub16HIPCUB_304000_NS6detail27convert_result_type_wrapperIS8_S9_N2at6native12_GLOBAL__N_19CustomMinEEEEE10hipError_tPvRmT0_T1_jT2_SQ_T4_T3_P12ihipStream_tbEUlT_E_NS1_11comp_targetILNS1_3genE0ELNS1_11target_archE4294967295ELNS1_3gpuE0ELNS1_3repE0EEENS1_30default_config_static_selectorELNS0_4arch9wavefront6targetE0EEEvSP_: ; @_ZN7rocprim17ROCPRIM_400000_NS6detail17trampoline_kernelINS0_14default_configENS1_32segmented_reduce_config_selectorIdEEZNS1_21segmented_reduce_implIS3_PKdPdPKldN6hipcub16HIPCUB_304000_NS6detail27convert_result_type_wrapperIS8_S9_N2at6native12_GLOBAL__N_19CustomMinEEEEE10hipError_tPvRmT0_T1_jT2_SQ_T4_T3_P12ihipStream_tbEUlT_E_NS1_11comp_targetILNS1_3genE0ELNS1_11target_archE4294967295ELNS1_3gpuE0ELNS1_3repE0EEENS1_30default_config_static_selectorELNS0_4arch9wavefront6targetE0EEEvSP_
; %bb.0:
	.section	.rodata,"a",@progbits
	.p2align	6, 0x0
	.amdhsa_kernel _ZN7rocprim17ROCPRIM_400000_NS6detail17trampoline_kernelINS0_14default_configENS1_32segmented_reduce_config_selectorIdEEZNS1_21segmented_reduce_implIS3_PKdPdPKldN6hipcub16HIPCUB_304000_NS6detail27convert_result_type_wrapperIS8_S9_N2at6native12_GLOBAL__N_19CustomMinEEEEE10hipError_tPvRmT0_T1_jT2_SQ_T4_T3_P12ihipStream_tbEUlT_E_NS1_11comp_targetILNS1_3genE0ELNS1_11target_archE4294967295ELNS1_3gpuE0ELNS1_3repE0EEENS1_30default_config_static_selectorELNS0_4arch9wavefront6targetE0EEEvSP_
		.amdhsa_group_segment_fixed_size 0
		.amdhsa_private_segment_fixed_size 0
		.amdhsa_kernarg_size 56
		.amdhsa_user_sgpr_count 6
		.amdhsa_user_sgpr_private_segment_buffer 1
		.amdhsa_user_sgpr_dispatch_ptr 0
		.amdhsa_user_sgpr_queue_ptr 0
		.amdhsa_user_sgpr_kernarg_segment_ptr 1
		.amdhsa_user_sgpr_dispatch_id 0
		.amdhsa_user_sgpr_flat_scratch_init 0
		.amdhsa_user_sgpr_private_segment_size 0
		.amdhsa_wavefront_size32 1
		.amdhsa_uses_dynamic_stack 0
		.amdhsa_system_sgpr_private_segment_wavefront_offset 0
		.amdhsa_system_sgpr_workgroup_id_x 1
		.amdhsa_system_sgpr_workgroup_id_y 0
		.amdhsa_system_sgpr_workgroup_id_z 0
		.amdhsa_system_sgpr_workgroup_info 0
		.amdhsa_system_vgpr_workitem_id 0
		.amdhsa_next_free_vgpr 1
		.amdhsa_next_free_sgpr 1
		.amdhsa_reserve_vcc 0
		.amdhsa_reserve_flat_scratch 0
		.amdhsa_float_round_mode_32 0
		.amdhsa_float_round_mode_16_64 0
		.amdhsa_float_denorm_mode_32 3
		.amdhsa_float_denorm_mode_16_64 3
		.amdhsa_dx10_clamp 1
		.amdhsa_ieee_mode 1
		.amdhsa_fp16_overflow 0
		.amdhsa_workgroup_processor_mode 1
		.amdhsa_memory_ordered 1
		.amdhsa_forward_progress 1
		.amdhsa_shared_vgpr_count 0
		.amdhsa_exception_fp_ieee_invalid_op 0
		.amdhsa_exception_fp_denorm_src 0
		.amdhsa_exception_fp_ieee_div_zero 0
		.amdhsa_exception_fp_ieee_overflow 0
		.amdhsa_exception_fp_ieee_underflow 0
		.amdhsa_exception_fp_ieee_inexact 0
		.amdhsa_exception_int_div_zero 0
	.end_amdhsa_kernel
	.section	.text._ZN7rocprim17ROCPRIM_400000_NS6detail17trampoline_kernelINS0_14default_configENS1_32segmented_reduce_config_selectorIdEEZNS1_21segmented_reduce_implIS3_PKdPdPKldN6hipcub16HIPCUB_304000_NS6detail27convert_result_type_wrapperIS8_S9_N2at6native12_GLOBAL__N_19CustomMinEEEEE10hipError_tPvRmT0_T1_jT2_SQ_T4_T3_P12ihipStream_tbEUlT_E_NS1_11comp_targetILNS1_3genE0ELNS1_11target_archE4294967295ELNS1_3gpuE0ELNS1_3repE0EEENS1_30default_config_static_selectorELNS0_4arch9wavefront6targetE0EEEvSP_,"axG",@progbits,_ZN7rocprim17ROCPRIM_400000_NS6detail17trampoline_kernelINS0_14default_configENS1_32segmented_reduce_config_selectorIdEEZNS1_21segmented_reduce_implIS3_PKdPdPKldN6hipcub16HIPCUB_304000_NS6detail27convert_result_type_wrapperIS8_S9_N2at6native12_GLOBAL__N_19CustomMinEEEEE10hipError_tPvRmT0_T1_jT2_SQ_T4_T3_P12ihipStream_tbEUlT_E_NS1_11comp_targetILNS1_3genE0ELNS1_11target_archE4294967295ELNS1_3gpuE0ELNS1_3repE0EEENS1_30default_config_static_selectorELNS0_4arch9wavefront6targetE0EEEvSP_,comdat
.Lfunc_end162:
	.size	_ZN7rocprim17ROCPRIM_400000_NS6detail17trampoline_kernelINS0_14default_configENS1_32segmented_reduce_config_selectorIdEEZNS1_21segmented_reduce_implIS3_PKdPdPKldN6hipcub16HIPCUB_304000_NS6detail27convert_result_type_wrapperIS8_S9_N2at6native12_GLOBAL__N_19CustomMinEEEEE10hipError_tPvRmT0_T1_jT2_SQ_T4_T3_P12ihipStream_tbEUlT_E_NS1_11comp_targetILNS1_3genE0ELNS1_11target_archE4294967295ELNS1_3gpuE0ELNS1_3repE0EEENS1_30default_config_static_selectorELNS0_4arch9wavefront6targetE0EEEvSP_, .Lfunc_end162-_ZN7rocprim17ROCPRIM_400000_NS6detail17trampoline_kernelINS0_14default_configENS1_32segmented_reduce_config_selectorIdEEZNS1_21segmented_reduce_implIS3_PKdPdPKldN6hipcub16HIPCUB_304000_NS6detail27convert_result_type_wrapperIS8_S9_N2at6native12_GLOBAL__N_19CustomMinEEEEE10hipError_tPvRmT0_T1_jT2_SQ_T4_T3_P12ihipStream_tbEUlT_E_NS1_11comp_targetILNS1_3genE0ELNS1_11target_archE4294967295ELNS1_3gpuE0ELNS1_3repE0EEENS1_30default_config_static_selectorELNS0_4arch9wavefront6targetE0EEEvSP_
                                        ; -- End function
	.set _ZN7rocprim17ROCPRIM_400000_NS6detail17trampoline_kernelINS0_14default_configENS1_32segmented_reduce_config_selectorIdEEZNS1_21segmented_reduce_implIS3_PKdPdPKldN6hipcub16HIPCUB_304000_NS6detail27convert_result_type_wrapperIS8_S9_N2at6native12_GLOBAL__N_19CustomMinEEEEE10hipError_tPvRmT0_T1_jT2_SQ_T4_T3_P12ihipStream_tbEUlT_E_NS1_11comp_targetILNS1_3genE0ELNS1_11target_archE4294967295ELNS1_3gpuE0ELNS1_3repE0EEENS1_30default_config_static_selectorELNS0_4arch9wavefront6targetE0EEEvSP_.num_vgpr, 0
	.set _ZN7rocprim17ROCPRIM_400000_NS6detail17trampoline_kernelINS0_14default_configENS1_32segmented_reduce_config_selectorIdEEZNS1_21segmented_reduce_implIS3_PKdPdPKldN6hipcub16HIPCUB_304000_NS6detail27convert_result_type_wrapperIS8_S9_N2at6native12_GLOBAL__N_19CustomMinEEEEE10hipError_tPvRmT0_T1_jT2_SQ_T4_T3_P12ihipStream_tbEUlT_E_NS1_11comp_targetILNS1_3genE0ELNS1_11target_archE4294967295ELNS1_3gpuE0ELNS1_3repE0EEENS1_30default_config_static_selectorELNS0_4arch9wavefront6targetE0EEEvSP_.num_agpr, 0
	.set _ZN7rocprim17ROCPRIM_400000_NS6detail17trampoline_kernelINS0_14default_configENS1_32segmented_reduce_config_selectorIdEEZNS1_21segmented_reduce_implIS3_PKdPdPKldN6hipcub16HIPCUB_304000_NS6detail27convert_result_type_wrapperIS8_S9_N2at6native12_GLOBAL__N_19CustomMinEEEEE10hipError_tPvRmT0_T1_jT2_SQ_T4_T3_P12ihipStream_tbEUlT_E_NS1_11comp_targetILNS1_3genE0ELNS1_11target_archE4294967295ELNS1_3gpuE0ELNS1_3repE0EEENS1_30default_config_static_selectorELNS0_4arch9wavefront6targetE0EEEvSP_.numbered_sgpr, 0
	.set _ZN7rocprim17ROCPRIM_400000_NS6detail17trampoline_kernelINS0_14default_configENS1_32segmented_reduce_config_selectorIdEEZNS1_21segmented_reduce_implIS3_PKdPdPKldN6hipcub16HIPCUB_304000_NS6detail27convert_result_type_wrapperIS8_S9_N2at6native12_GLOBAL__N_19CustomMinEEEEE10hipError_tPvRmT0_T1_jT2_SQ_T4_T3_P12ihipStream_tbEUlT_E_NS1_11comp_targetILNS1_3genE0ELNS1_11target_archE4294967295ELNS1_3gpuE0ELNS1_3repE0EEENS1_30default_config_static_selectorELNS0_4arch9wavefront6targetE0EEEvSP_.num_named_barrier, 0
	.set _ZN7rocprim17ROCPRIM_400000_NS6detail17trampoline_kernelINS0_14default_configENS1_32segmented_reduce_config_selectorIdEEZNS1_21segmented_reduce_implIS3_PKdPdPKldN6hipcub16HIPCUB_304000_NS6detail27convert_result_type_wrapperIS8_S9_N2at6native12_GLOBAL__N_19CustomMinEEEEE10hipError_tPvRmT0_T1_jT2_SQ_T4_T3_P12ihipStream_tbEUlT_E_NS1_11comp_targetILNS1_3genE0ELNS1_11target_archE4294967295ELNS1_3gpuE0ELNS1_3repE0EEENS1_30default_config_static_selectorELNS0_4arch9wavefront6targetE0EEEvSP_.private_seg_size, 0
	.set _ZN7rocprim17ROCPRIM_400000_NS6detail17trampoline_kernelINS0_14default_configENS1_32segmented_reduce_config_selectorIdEEZNS1_21segmented_reduce_implIS3_PKdPdPKldN6hipcub16HIPCUB_304000_NS6detail27convert_result_type_wrapperIS8_S9_N2at6native12_GLOBAL__N_19CustomMinEEEEE10hipError_tPvRmT0_T1_jT2_SQ_T4_T3_P12ihipStream_tbEUlT_E_NS1_11comp_targetILNS1_3genE0ELNS1_11target_archE4294967295ELNS1_3gpuE0ELNS1_3repE0EEENS1_30default_config_static_selectorELNS0_4arch9wavefront6targetE0EEEvSP_.uses_vcc, 0
	.set _ZN7rocprim17ROCPRIM_400000_NS6detail17trampoline_kernelINS0_14default_configENS1_32segmented_reduce_config_selectorIdEEZNS1_21segmented_reduce_implIS3_PKdPdPKldN6hipcub16HIPCUB_304000_NS6detail27convert_result_type_wrapperIS8_S9_N2at6native12_GLOBAL__N_19CustomMinEEEEE10hipError_tPvRmT0_T1_jT2_SQ_T4_T3_P12ihipStream_tbEUlT_E_NS1_11comp_targetILNS1_3genE0ELNS1_11target_archE4294967295ELNS1_3gpuE0ELNS1_3repE0EEENS1_30default_config_static_selectorELNS0_4arch9wavefront6targetE0EEEvSP_.uses_flat_scratch, 0
	.set _ZN7rocprim17ROCPRIM_400000_NS6detail17trampoline_kernelINS0_14default_configENS1_32segmented_reduce_config_selectorIdEEZNS1_21segmented_reduce_implIS3_PKdPdPKldN6hipcub16HIPCUB_304000_NS6detail27convert_result_type_wrapperIS8_S9_N2at6native12_GLOBAL__N_19CustomMinEEEEE10hipError_tPvRmT0_T1_jT2_SQ_T4_T3_P12ihipStream_tbEUlT_E_NS1_11comp_targetILNS1_3genE0ELNS1_11target_archE4294967295ELNS1_3gpuE0ELNS1_3repE0EEENS1_30default_config_static_selectorELNS0_4arch9wavefront6targetE0EEEvSP_.has_dyn_sized_stack, 0
	.set _ZN7rocprim17ROCPRIM_400000_NS6detail17trampoline_kernelINS0_14default_configENS1_32segmented_reduce_config_selectorIdEEZNS1_21segmented_reduce_implIS3_PKdPdPKldN6hipcub16HIPCUB_304000_NS6detail27convert_result_type_wrapperIS8_S9_N2at6native12_GLOBAL__N_19CustomMinEEEEE10hipError_tPvRmT0_T1_jT2_SQ_T4_T3_P12ihipStream_tbEUlT_E_NS1_11comp_targetILNS1_3genE0ELNS1_11target_archE4294967295ELNS1_3gpuE0ELNS1_3repE0EEENS1_30default_config_static_selectorELNS0_4arch9wavefront6targetE0EEEvSP_.has_recursion, 0
	.set _ZN7rocprim17ROCPRIM_400000_NS6detail17trampoline_kernelINS0_14default_configENS1_32segmented_reduce_config_selectorIdEEZNS1_21segmented_reduce_implIS3_PKdPdPKldN6hipcub16HIPCUB_304000_NS6detail27convert_result_type_wrapperIS8_S9_N2at6native12_GLOBAL__N_19CustomMinEEEEE10hipError_tPvRmT0_T1_jT2_SQ_T4_T3_P12ihipStream_tbEUlT_E_NS1_11comp_targetILNS1_3genE0ELNS1_11target_archE4294967295ELNS1_3gpuE0ELNS1_3repE0EEENS1_30default_config_static_selectorELNS0_4arch9wavefront6targetE0EEEvSP_.has_indirect_call, 0
	.section	.AMDGPU.csdata,"",@progbits
; Kernel info:
; codeLenInByte = 0
; TotalNumSgprs: 0
; NumVgprs: 0
; ScratchSize: 0
; MemoryBound: 0
; FloatMode: 240
; IeeeMode: 1
; LDSByteSize: 0 bytes/workgroup (compile time only)
; SGPRBlocks: 0
; VGPRBlocks: 0
; NumSGPRsForWavesPerEU: 1
; NumVGPRsForWavesPerEU: 1
; Occupancy: 16
; WaveLimiterHint : 0
; COMPUTE_PGM_RSRC2:SCRATCH_EN: 0
; COMPUTE_PGM_RSRC2:USER_SGPR: 6
; COMPUTE_PGM_RSRC2:TRAP_HANDLER: 0
; COMPUTE_PGM_RSRC2:TGID_X_EN: 1
; COMPUTE_PGM_RSRC2:TGID_Y_EN: 0
; COMPUTE_PGM_RSRC2:TGID_Z_EN: 0
; COMPUTE_PGM_RSRC2:TIDIG_COMP_CNT: 0
	.section	.text._ZN7rocprim17ROCPRIM_400000_NS6detail17trampoline_kernelINS0_14default_configENS1_32segmented_reduce_config_selectorIdEEZNS1_21segmented_reduce_implIS3_PKdPdPKldN6hipcub16HIPCUB_304000_NS6detail27convert_result_type_wrapperIS8_S9_N2at6native12_GLOBAL__N_19CustomMinEEEEE10hipError_tPvRmT0_T1_jT2_SQ_T4_T3_P12ihipStream_tbEUlT_E_NS1_11comp_targetILNS1_3genE5ELNS1_11target_archE942ELNS1_3gpuE9ELNS1_3repE0EEENS1_30default_config_static_selectorELNS0_4arch9wavefront6targetE0EEEvSP_,"axG",@progbits,_ZN7rocprim17ROCPRIM_400000_NS6detail17trampoline_kernelINS0_14default_configENS1_32segmented_reduce_config_selectorIdEEZNS1_21segmented_reduce_implIS3_PKdPdPKldN6hipcub16HIPCUB_304000_NS6detail27convert_result_type_wrapperIS8_S9_N2at6native12_GLOBAL__N_19CustomMinEEEEE10hipError_tPvRmT0_T1_jT2_SQ_T4_T3_P12ihipStream_tbEUlT_E_NS1_11comp_targetILNS1_3genE5ELNS1_11target_archE942ELNS1_3gpuE9ELNS1_3repE0EEENS1_30default_config_static_selectorELNS0_4arch9wavefront6targetE0EEEvSP_,comdat
	.globl	_ZN7rocprim17ROCPRIM_400000_NS6detail17trampoline_kernelINS0_14default_configENS1_32segmented_reduce_config_selectorIdEEZNS1_21segmented_reduce_implIS3_PKdPdPKldN6hipcub16HIPCUB_304000_NS6detail27convert_result_type_wrapperIS8_S9_N2at6native12_GLOBAL__N_19CustomMinEEEEE10hipError_tPvRmT0_T1_jT2_SQ_T4_T3_P12ihipStream_tbEUlT_E_NS1_11comp_targetILNS1_3genE5ELNS1_11target_archE942ELNS1_3gpuE9ELNS1_3repE0EEENS1_30default_config_static_selectorELNS0_4arch9wavefront6targetE0EEEvSP_ ; -- Begin function _ZN7rocprim17ROCPRIM_400000_NS6detail17trampoline_kernelINS0_14default_configENS1_32segmented_reduce_config_selectorIdEEZNS1_21segmented_reduce_implIS3_PKdPdPKldN6hipcub16HIPCUB_304000_NS6detail27convert_result_type_wrapperIS8_S9_N2at6native12_GLOBAL__N_19CustomMinEEEEE10hipError_tPvRmT0_T1_jT2_SQ_T4_T3_P12ihipStream_tbEUlT_E_NS1_11comp_targetILNS1_3genE5ELNS1_11target_archE942ELNS1_3gpuE9ELNS1_3repE0EEENS1_30default_config_static_selectorELNS0_4arch9wavefront6targetE0EEEvSP_
	.p2align	8
	.type	_ZN7rocprim17ROCPRIM_400000_NS6detail17trampoline_kernelINS0_14default_configENS1_32segmented_reduce_config_selectorIdEEZNS1_21segmented_reduce_implIS3_PKdPdPKldN6hipcub16HIPCUB_304000_NS6detail27convert_result_type_wrapperIS8_S9_N2at6native12_GLOBAL__N_19CustomMinEEEEE10hipError_tPvRmT0_T1_jT2_SQ_T4_T3_P12ihipStream_tbEUlT_E_NS1_11comp_targetILNS1_3genE5ELNS1_11target_archE942ELNS1_3gpuE9ELNS1_3repE0EEENS1_30default_config_static_selectorELNS0_4arch9wavefront6targetE0EEEvSP_,@function
_ZN7rocprim17ROCPRIM_400000_NS6detail17trampoline_kernelINS0_14default_configENS1_32segmented_reduce_config_selectorIdEEZNS1_21segmented_reduce_implIS3_PKdPdPKldN6hipcub16HIPCUB_304000_NS6detail27convert_result_type_wrapperIS8_S9_N2at6native12_GLOBAL__N_19CustomMinEEEEE10hipError_tPvRmT0_T1_jT2_SQ_T4_T3_P12ihipStream_tbEUlT_E_NS1_11comp_targetILNS1_3genE5ELNS1_11target_archE942ELNS1_3gpuE9ELNS1_3repE0EEENS1_30default_config_static_selectorELNS0_4arch9wavefront6targetE0EEEvSP_: ; @_ZN7rocprim17ROCPRIM_400000_NS6detail17trampoline_kernelINS0_14default_configENS1_32segmented_reduce_config_selectorIdEEZNS1_21segmented_reduce_implIS3_PKdPdPKldN6hipcub16HIPCUB_304000_NS6detail27convert_result_type_wrapperIS8_S9_N2at6native12_GLOBAL__N_19CustomMinEEEEE10hipError_tPvRmT0_T1_jT2_SQ_T4_T3_P12ihipStream_tbEUlT_E_NS1_11comp_targetILNS1_3genE5ELNS1_11target_archE942ELNS1_3gpuE9ELNS1_3repE0EEENS1_30default_config_static_selectorELNS0_4arch9wavefront6targetE0EEEvSP_
; %bb.0:
	.section	.rodata,"a",@progbits
	.p2align	6, 0x0
	.amdhsa_kernel _ZN7rocprim17ROCPRIM_400000_NS6detail17trampoline_kernelINS0_14default_configENS1_32segmented_reduce_config_selectorIdEEZNS1_21segmented_reduce_implIS3_PKdPdPKldN6hipcub16HIPCUB_304000_NS6detail27convert_result_type_wrapperIS8_S9_N2at6native12_GLOBAL__N_19CustomMinEEEEE10hipError_tPvRmT0_T1_jT2_SQ_T4_T3_P12ihipStream_tbEUlT_E_NS1_11comp_targetILNS1_3genE5ELNS1_11target_archE942ELNS1_3gpuE9ELNS1_3repE0EEENS1_30default_config_static_selectorELNS0_4arch9wavefront6targetE0EEEvSP_
		.amdhsa_group_segment_fixed_size 0
		.amdhsa_private_segment_fixed_size 0
		.amdhsa_kernarg_size 56
		.amdhsa_user_sgpr_count 6
		.amdhsa_user_sgpr_private_segment_buffer 1
		.amdhsa_user_sgpr_dispatch_ptr 0
		.amdhsa_user_sgpr_queue_ptr 0
		.amdhsa_user_sgpr_kernarg_segment_ptr 1
		.amdhsa_user_sgpr_dispatch_id 0
		.amdhsa_user_sgpr_flat_scratch_init 0
		.amdhsa_user_sgpr_private_segment_size 0
		.amdhsa_wavefront_size32 1
		.amdhsa_uses_dynamic_stack 0
		.amdhsa_system_sgpr_private_segment_wavefront_offset 0
		.amdhsa_system_sgpr_workgroup_id_x 1
		.amdhsa_system_sgpr_workgroup_id_y 0
		.amdhsa_system_sgpr_workgroup_id_z 0
		.amdhsa_system_sgpr_workgroup_info 0
		.amdhsa_system_vgpr_workitem_id 0
		.amdhsa_next_free_vgpr 1
		.amdhsa_next_free_sgpr 1
		.amdhsa_reserve_vcc 0
		.amdhsa_reserve_flat_scratch 0
		.amdhsa_float_round_mode_32 0
		.amdhsa_float_round_mode_16_64 0
		.amdhsa_float_denorm_mode_32 3
		.amdhsa_float_denorm_mode_16_64 3
		.amdhsa_dx10_clamp 1
		.amdhsa_ieee_mode 1
		.amdhsa_fp16_overflow 0
		.amdhsa_workgroup_processor_mode 1
		.amdhsa_memory_ordered 1
		.amdhsa_forward_progress 1
		.amdhsa_shared_vgpr_count 0
		.amdhsa_exception_fp_ieee_invalid_op 0
		.amdhsa_exception_fp_denorm_src 0
		.amdhsa_exception_fp_ieee_div_zero 0
		.amdhsa_exception_fp_ieee_overflow 0
		.amdhsa_exception_fp_ieee_underflow 0
		.amdhsa_exception_fp_ieee_inexact 0
		.amdhsa_exception_int_div_zero 0
	.end_amdhsa_kernel
	.section	.text._ZN7rocprim17ROCPRIM_400000_NS6detail17trampoline_kernelINS0_14default_configENS1_32segmented_reduce_config_selectorIdEEZNS1_21segmented_reduce_implIS3_PKdPdPKldN6hipcub16HIPCUB_304000_NS6detail27convert_result_type_wrapperIS8_S9_N2at6native12_GLOBAL__N_19CustomMinEEEEE10hipError_tPvRmT0_T1_jT2_SQ_T4_T3_P12ihipStream_tbEUlT_E_NS1_11comp_targetILNS1_3genE5ELNS1_11target_archE942ELNS1_3gpuE9ELNS1_3repE0EEENS1_30default_config_static_selectorELNS0_4arch9wavefront6targetE0EEEvSP_,"axG",@progbits,_ZN7rocprim17ROCPRIM_400000_NS6detail17trampoline_kernelINS0_14default_configENS1_32segmented_reduce_config_selectorIdEEZNS1_21segmented_reduce_implIS3_PKdPdPKldN6hipcub16HIPCUB_304000_NS6detail27convert_result_type_wrapperIS8_S9_N2at6native12_GLOBAL__N_19CustomMinEEEEE10hipError_tPvRmT0_T1_jT2_SQ_T4_T3_P12ihipStream_tbEUlT_E_NS1_11comp_targetILNS1_3genE5ELNS1_11target_archE942ELNS1_3gpuE9ELNS1_3repE0EEENS1_30default_config_static_selectorELNS0_4arch9wavefront6targetE0EEEvSP_,comdat
.Lfunc_end163:
	.size	_ZN7rocprim17ROCPRIM_400000_NS6detail17trampoline_kernelINS0_14default_configENS1_32segmented_reduce_config_selectorIdEEZNS1_21segmented_reduce_implIS3_PKdPdPKldN6hipcub16HIPCUB_304000_NS6detail27convert_result_type_wrapperIS8_S9_N2at6native12_GLOBAL__N_19CustomMinEEEEE10hipError_tPvRmT0_T1_jT2_SQ_T4_T3_P12ihipStream_tbEUlT_E_NS1_11comp_targetILNS1_3genE5ELNS1_11target_archE942ELNS1_3gpuE9ELNS1_3repE0EEENS1_30default_config_static_selectorELNS0_4arch9wavefront6targetE0EEEvSP_, .Lfunc_end163-_ZN7rocprim17ROCPRIM_400000_NS6detail17trampoline_kernelINS0_14default_configENS1_32segmented_reduce_config_selectorIdEEZNS1_21segmented_reduce_implIS3_PKdPdPKldN6hipcub16HIPCUB_304000_NS6detail27convert_result_type_wrapperIS8_S9_N2at6native12_GLOBAL__N_19CustomMinEEEEE10hipError_tPvRmT0_T1_jT2_SQ_T4_T3_P12ihipStream_tbEUlT_E_NS1_11comp_targetILNS1_3genE5ELNS1_11target_archE942ELNS1_3gpuE9ELNS1_3repE0EEENS1_30default_config_static_selectorELNS0_4arch9wavefront6targetE0EEEvSP_
                                        ; -- End function
	.set _ZN7rocprim17ROCPRIM_400000_NS6detail17trampoline_kernelINS0_14default_configENS1_32segmented_reduce_config_selectorIdEEZNS1_21segmented_reduce_implIS3_PKdPdPKldN6hipcub16HIPCUB_304000_NS6detail27convert_result_type_wrapperIS8_S9_N2at6native12_GLOBAL__N_19CustomMinEEEEE10hipError_tPvRmT0_T1_jT2_SQ_T4_T3_P12ihipStream_tbEUlT_E_NS1_11comp_targetILNS1_3genE5ELNS1_11target_archE942ELNS1_3gpuE9ELNS1_3repE0EEENS1_30default_config_static_selectorELNS0_4arch9wavefront6targetE0EEEvSP_.num_vgpr, 0
	.set _ZN7rocprim17ROCPRIM_400000_NS6detail17trampoline_kernelINS0_14default_configENS1_32segmented_reduce_config_selectorIdEEZNS1_21segmented_reduce_implIS3_PKdPdPKldN6hipcub16HIPCUB_304000_NS6detail27convert_result_type_wrapperIS8_S9_N2at6native12_GLOBAL__N_19CustomMinEEEEE10hipError_tPvRmT0_T1_jT2_SQ_T4_T3_P12ihipStream_tbEUlT_E_NS1_11comp_targetILNS1_3genE5ELNS1_11target_archE942ELNS1_3gpuE9ELNS1_3repE0EEENS1_30default_config_static_selectorELNS0_4arch9wavefront6targetE0EEEvSP_.num_agpr, 0
	.set _ZN7rocprim17ROCPRIM_400000_NS6detail17trampoline_kernelINS0_14default_configENS1_32segmented_reduce_config_selectorIdEEZNS1_21segmented_reduce_implIS3_PKdPdPKldN6hipcub16HIPCUB_304000_NS6detail27convert_result_type_wrapperIS8_S9_N2at6native12_GLOBAL__N_19CustomMinEEEEE10hipError_tPvRmT0_T1_jT2_SQ_T4_T3_P12ihipStream_tbEUlT_E_NS1_11comp_targetILNS1_3genE5ELNS1_11target_archE942ELNS1_3gpuE9ELNS1_3repE0EEENS1_30default_config_static_selectorELNS0_4arch9wavefront6targetE0EEEvSP_.numbered_sgpr, 0
	.set _ZN7rocprim17ROCPRIM_400000_NS6detail17trampoline_kernelINS0_14default_configENS1_32segmented_reduce_config_selectorIdEEZNS1_21segmented_reduce_implIS3_PKdPdPKldN6hipcub16HIPCUB_304000_NS6detail27convert_result_type_wrapperIS8_S9_N2at6native12_GLOBAL__N_19CustomMinEEEEE10hipError_tPvRmT0_T1_jT2_SQ_T4_T3_P12ihipStream_tbEUlT_E_NS1_11comp_targetILNS1_3genE5ELNS1_11target_archE942ELNS1_3gpuE9ELNS1_3repE0EEENS1_30default_config_static_selectorELNS0_4arch9wavefront6targetE0EEEvSP_.num_named_barrier, 0
	.set _ZN7rocprim17ROCPRIM_400000_NS6detail17trampoline_kernelINS0_14default_configENS1_32segmented_reduce_config_selectorIdEEZNS1_21segmented_reduce_implIS3_PKdPdPKldN6hipcub16HIPCUB_304000_NS6detail27convert_result_type_wrapperIS8_S9_N2at6native12_GLOBAL__N_19CustomMinEEEEE10hipError_tPvRmT0_T1_jT2_SQ_T4_T3_P12ihipStream_tbEUlT_E_NS1_11comp_targetILNS1_3genE5ELNS1_11target_archE942ELNS1_3gpuE9ELNS1_3repE0EEENS1_30default_config_static_selectorELNS0_4arch9wavefront6targetE0EEEvSP_.private_seg_size, 0
	.set _ZN7rocprim17ROCPRIM_400000_NS6detail17trampoline_kernelINS0_14default_configENS1_32segmented_reduce_config_selectorIdEEZNS1_21segmented_reduce_implIS3_PKdPdPKldN6hipcub16HIPCUB_304000_NS6detail27convert_result_type_wrapperIS8_S9_N2at6native12_GLOBAL__N_19CustomMinEEEEE10hipError_tPvRmT0_T1_jT2_SQ_T4_T3_P12ihipStream_tbEUlT_E_NS1_11comp_targetILNS1_3genE5ELNS1_11target_archE942ELNS1_3gpuE9ELNS1_3repE0EEENS1_30default_config_static_selectorELNS0_4arch9wavefront6targetE0EEEvSP_.uses_vcc, 0
	.set _ZN7rocprim17ROCPRIM_400000_NS6detail17trampoline_kernelINS0_14default_configENS1_32segmented_reduce_config_selectorIdEEZNS1_21segmented_reduce_implIS3_PKdPdPKldN6hipcub16HIPCUB_304000_NS6detail27convert_result_type_wrapperIS8_S9_N2at6native12_GLOBAL__N_19CustomMinEEEEE10hipError_tPvRmT0_T1_jT2_SQ_T4_T3_P12ihipStream_tbEUlT_E_NS1_11comp_targetILNS1_3genE5ELNS1_11target_archE942ELNS1_3gpuE9ELNS1_3repE0EEENS1_30default_config_static_selectorELNS0_4arch9wavefront6targetE0EEEvSP_.uses_flat_scratch, 0
	.set _ZN7rocprim17ROCPRIM_400000_NS6detail17trampoline_kernelINS0_14default_configENS1_32segmented_reduce_config_selectorIdEEZNS1_21segmented_reduce_implIS3_PKdPdPKldN6hipcub16HIPCUB_304000_NS6detail27convert_result_type_wrapperIS8_S9_N2at6native12_GLOBAL__N_19CustomMinEEEEE10hipError_tPvRmT0_T1_jT2_SQ_T4_T3_P12ihipStream_tbEUlT_E_NS1_11comp_targetILNS1_3genE5ELNS1_11target_archE942ELNS1_3gpuE9ELNS1_3repE0EEENS1_30default_config_static_selectorELNS0_4arch9wavefront6targetE0EEEvSP_.has_dyn_sized_stack, 0
	.set _ZN7rocprim17ROCPRIM_400000_NS6detail17trampoline_kernelINS0_14default_configENS1_32segmented_reduce_config_selectorIdEEZNS1_21segmented_reduce_implIS3_PKdPdPKldN6hipcub16HIPCUB_304000_NS6detail27convert_result_type_wrapperIS8_S9_N2at6native12_GLOBAL__N_19CustomMinEEEEE10hipError_tPvRmT0_T1_jT2_SQ_T4_T3_P12ihipStream_tbEUlT_E_NS1_11comp_targetILNS1_3genE5ELNS1_11target_archE942ELNS1_3gpuE9ELNS1_3repE0EEENS1_30default_config_static_selectorELNS0_4arch9wavefront6targetE0EEEvSP_.has_recursion, 0
	.set _ZN7rocprim17ROCPRIM_400000_NS6detail17trampoline_kernelINS0_14default_configENS1_32segmented_reduce_config_selectorIdEEZNS1_21segmented_reduce_implIS3_PKdPdPKldN6hipcub16HIPCUB_304000_NS6detail27convert_result_type_wrapperIS8_S9_N2at6native12_GLOBAL__N_19CustomMinEEEEE10hipError_tPvRmT0_T1_jT2_SQ_T4_T3_P12ihipStream_tbEUlT_E_NS1_11comp_targetILNS1_3genE5ELNS1_11target_archE942ELNS1_3gpuE9ELNS1_3repE0EEENS1_30default_config_static_selectorELNS0_4arch9wavefront6targetE0EEEvSP_.has_indirect_call, 0
	.section	.AMDGPU.csdata,"",@progbits
; Kernel info:
; codeLenInByte = 0
; TotalNumSgprs: 0
; NumVgprs: 0
; ScratchSize: 0
; MemoryBound: 0
; FloatMode: 240
; IeeeMode: 1
; LDSByteSize: 0 bytes/workgroup (compile time only)
; SGPRBlocks: 0
; VGPRBlocks: 0
; NumSGPRsForWavesPerEU: 1
; NumVGPRsForWavesPerEU: 1
; Occupancy: 16
; WaveLimiterHint : 0
; COMPUTE_PGM_RSRC2:SCRATCH_EN: 0
; COMPUTE_PGM_RSRC2:USER_SGPR: 6
; COMPUTE_PGM_RSRC2:TRAP_HANDLER: 0
; COMPUTE_PGM_RSRC2:TGID_X_EN: 1
; COMPUTE_PGM_RSRC2:TGID_Y_EN: 0
; COMPUTE_PGM_RSRC2:TGID_Z_EN: 0
; COMPUTE_PGM_RSRC2:TIDIG_COMP_CNT: 0
	.section	.text._ZN7rocprim17ROCPRIM_400000_NS6detail17trampoline_kernelINS0_14default_configENS1_32segmented_reduce_config_selectorIdEEZNS1_21segmented_reduce_implIS3_PKdPdPKldN6hipcub16HIPCUB_304000_NS6detail27convert_result_type_wrapperIS8_S9_N2at6native12_GLOBAL__N_19CustomMinEEEEE10hipError_tPvRmT0_T1_jT2_SQ_T4_T3_P12ihipStream_tbEUlT_E_NS1_11comp_targetILNS1_3genE10ELNS1_11target_archE1201ELNS1_3gpuE5ELNS1_3repE0EEENS1_30default_config_static_selectorELNS0_4arch9wavefront6targetE0EEEvSP_,"axG",@progbits,_ZN7rocprim17ROCPRIM_400000_NS6detail17trampoline_kernelINS0_14default_configENS1_32segmented_reduce_config_selectorIdEEZNS1_21segmented_reduce_implIS3_PKdPdPKldN6hipcub16HIPCUB_304000_NS6detail27convert_result_type_wrapperIS8_S9_N2at6native12_GLOBAL__N_19CustomMinEEEEE10hipError_tPvRmT0_T1_jT2_SQ_T4_T3_P12ihipStream_tbEUlT_E_NS1_11comp_targetILNS1_3genE10ELNS1_11target_archE1201ELNS1_3gpuE5ELNS1_3repE0EEENS1_30default_config_static_selectorELNS0_4arch9wavefront6targetE0EEEvSP_,comdat
	.globl	_ZN7rocprim17ROCPRIM_400000_NS6detail17trampoline_kernelINS0_14default_configENS1_32segmented_reduce_config_selectorIdEEZNS1_21segmented_reduce_implIS3_PKdPdPKldN6hipcub16HIPCUB_304000_NS6detail27convert_result_type_wrapperIS8_S9_N2at6native12_GLOBAL__N_19CustomMinEEEEE10hipError_tPvRmT0_T1_jT2_SQ_T4_T3_P12ihipStream_tbEUlT_E_NS1_11comp_targetILNS1_3genE10ELNS1_11target_archE1201ELNS1_3gpuE5ELNS1_3repE0EEENS1_30default_config_static_selectorELNS0_4arch9wavefront6targetE0EEEvSP_ ; -- Begin function _ZN7rocprim17ROCPRIM_400000_NS6detail17trampoline_kernelINS0_14default_configENS1_32segmented_reduce_config_selectorIdEEZNS1_21segmented_reduce_implIS3_PKdPdPKldN6hipcub16HIPCUB_304000_NS6detail27convert_result_type_wrapperIS8_S9_N2at6native12_GLOBAL__N_19CustomMinEEEEE10hipError_tPvRmT0_T1_jT2_SQ_T4_T3_P12ihipStream_tbEUlT_E_NS1_11comp_targetILNS1_3genE10ELNS1_11target_archE1201ELNS1_3gpuE5ELNS1_3repE0EEENS1_30default_config_static_selectorELNS0_4arch9wavefront6targetE0EEEvSP_
	.p2align	8
	.type	_ZN7rocprim17ROCPRIM_400000_NS6detail17trampoline_kernelINS0_14default_configENS1_32segmented_reduce_config_selectorIdEEZNS1_21segmented_reduce_implIS3_PKdPdPKldN6hipcub16HIPCUB_304000_NS6detail27convert_result_type_wrapperIS8_S9_N2at6native12_GLOBAL__N_19CustomMinEEEEE10hipError_tPvRmT0_T1_jT2_SQ_T4_T3_P12ihipStream_tbEUlT_E_NS1_11comp_targetILNS1_3genE10ELNS1_11target_archE1201ELNS1_3gpuE5ELNS1_3repE0EEENS1_30default_config_static_selectorELNS0_4arch9wavefront6targetE0EEEvSP_,@function
_ZN7rocprim17ROCPRIM_400000_NS6detail17trampoline_kernelINS0_14default_configENS1_32segmented_reduce_config_selectorIdEEZNS1_21segmented_reduce_implIS3_PKdPdPKldN6hipcub16HIPCUB_304000_NS6detail27convert_result_type_wrapperIS8_S9_N2at6native12_GLOBAL__N_19CustomMinEEEEE10hipError_tPvRmT0_T1_jT2_SQ_T4_T3_P12ihipStream_tbEUlT_E_NS1_11comp_targetILNS1_3genE10ELNS1_11target_archE1201ELNS1_3gpuE5ELNS1_3repE0EEENS1_30default_config_static_selectorELNS0_4arch9wavefront6targetE0EEEvSP_: ; @_ZN7rocprim17ROCPRIM_400000_NS6detail17trampoline_kernelINS0_14default_configENS1_32segmented_reduce_config_selectorIdEEZNS1_21segmented_reduce_implIS3_PKdPdPKldN6hipcub16HIPCUB_304000_NS6detail27convert_result_type_wrapperIS8_S9_N2at6native12_GLOBAL__N_19CustomMinEEEEE10hipError_tPvRmT0_T1_jT2_SQ_T4_T3_P12ihipStream_tbEUlT_E_NS1_11comp_targetILNS1_3genE10ELNS1_11target_archE1201ELNS1_3gpuE5ELNS1_3repE0EEENS1_30default_config_static_selectorELNS0_4arch9wavefront6targetE0EEEvSP_
; %bb.0:
	.section	.rodata,"a",@progbits
	.p2align	6, 0x0
	.amdhsa_kernel _ZN7rocprim17ROCPRIM_400000_NS6detail17trampoline_kernelINS0_14default_configENS1_32segmented_reduce_config_selectorIdEEZNS1_21segmented_reduce_implIS3_PKdPdPKldN6hipcub16HIPCUB_304000_NS6detail27convert_result_type_wrapperIS8_S9_N2at6native12_GLOBAL__N_19CustomMinEEEEE10hipError_tPvRmT0_T1_jT2_SQ_T4_T3_P12ihipStream_tbEUlT_E_NS1_11comp_targetILNS1_3genE10ELNS1_11target_archE1201ELNS1_3gpuE5ELNS1_3repE0EEENS1_30default_config_static_selectorELNS0_4arch9wavefront6targetE0EEEvSP_
		.amdhsa_group_segment_fixed_size 0
		.amdhsa_private_segment_fixed_size 0
		.amdhsa_kernarg_size 56
		.amdhsa_user_sgpr_count 6
		.amdhsa_user_sgpr_private_segment_buffer 1
		.amdhsa_user_sgpr_dispatch_ptr 0
		.amdhsa_user_sgpr_queue_ptr 0
		.amdhsa_user_sgpr_kernarg_segment_ptr 1
		.amdhsa_user_sgpr_dispatch_id 0
		.amdhsa_user_sgpr_flat_scratch_init 0
		.amdhsa_user_sgpr_private_segment_size 0
		.amdhsa_wavefront_size32 1
		.amdhsa_uses_dynamic_stack 0
		.amdhsa_system_sgpr_private_segment_wavefront_offset 0
		.amdhsa_system_sgpr_workgroup_id_x 1
		.amdhsa_system_sgpr_workgroup_id_y 0
		.amdhsa_system_sgpr_workgroup_id_z 0
		.amdhsa_system_sgpr_workgroup_info 0
		.amdhsa_system_vgpr_workitem_id 0
		.amdhsa_next_free_vgpr 1
		.amdhsa_next_free_sgpr 1
		.amdhsa_reserve_vcc 0
		.amdhsa_reserve_flat_scratch 0
		.amdhsa_float_round_mode_32 0
		.amdhsa_float_round_mode_16_64 0
		.amdhsa_float_denorm_mode_32 3
		.amdhsa_float_denorm_mode_16_64 3
		.amdhsa_dx10_clamp 1
		.amdhsa_ieee_mode 1
		.amdhsa_fp16_overflow 0
		.amdhsa_workgroup_processor_mode 1
		.amdhsa_memory_ordered 1
		.amdhsa_forward_progress 1
		.amdhsa_shared_vgpr_count 0
		.amdhsa_exception_fp_ieee_invalid_op 0
		.amdhsa_exception_fp_denorm_src 0
		.amdhsa_exception_fp_ieee_div_zero 0
		.amdhsa_exception_fp_ieee_overflow 0
		.amdhsa_exception_fp_ieee_underflow 0
		.amdhsa_exception_fp_ieee_inexact 0
		.amdhsa_exception_int_div_zero 0
	.end_amdhsa_kernel
	.section	.text._ZN7rocprim17ROCPRIM_400000_NS6detail17trampoline_kernelINS0_14default_configENS1_32segmented_reduce_config_selectorIdEEZNS1_21segmented_reduce_implIS3_PKdPdPKldN6hipcub16HIPCUB_304000_NS6detail27convert_result_type_wrapperIS8_S9_N2at6native12_GLOBAL__N_19CustomMinEEEEE10hipError_tPvRmT0_T1_jT2_SQ_T4_T3_P12ihipStream_tbEUlT_E_NS1_11comp_targetILNS1_3genE10ELNS1_11target_archE1201ELNS1_3gpuE5ELNS1_3repE0EEENS1_30default_config_static_selectorELNS0_4arch9wavefront6targetE0EEEvSP_,"axG",@progbits,_ZN7rocprim17ROCPRIM_400000_NS6detail17trampoline_kernelINS0_14default_configENS1_32segmented_reduce_config_selectorIdEEZNS1_21segmented_reduce_implIS3_PKdPdPKldN6hipcub16HIPCUB_304000_NS6detail27convert_result_type_wrapperIS8_S9_N2at6native12_GLOBAL__N_19CustomMinEEEEE10hipError_tPvRmT0_T1_jT2_SQ_T4_T3_P12ihipStream_tbEUlT_E_NS1_11comp_targetILNS1_3genE10ELNS1_11target_archE1201ELNS1_3gpuE5ELNS1_3repE0EEENS1_30default_config_static_selectorELNS0_4arch9wavefront6targetE0EEEvSP_,comdat
.Lfunc_end164:
	.size	_ZN7rocprim17ROCPRIM_400000_NS6detail17trampoline_kernelINS0_14default_configENS1_32segmented_reduce_config_selectorIdEEZNS1_21segmented_reduce_implIS3_PKdPdPKldN6hipcub16HIPCUB_304000_NS6detail27convert_result_type_wrapperIS8_S9_N2at6native12_GLOBAL__N_19CustomMinEEEEE10hipError_tPvRmT0_T1_jT2_SQ_T4_T3_P12ihipStream_tbEUlT_E_NS1_11comp_targetILNS1_3genE10ELNS1_11target_archE1201ELNS1_3gpuE5ELNS1_3repE0EEENS1_30default_config_static_selectorELNS0_4arch9wavefront6targetE0EEEvSP_, .Lfunc_end164-_ZN7rocprim17ROCPRIM_400000_NS6detail17trampoline_kernelINS0_14default_configENS1_32segmented_reduce_config_selectorIdEEZNS1_21segmented_reduce_implIS3_PKdPdPKldN6hipcub16HIPCUB_304000_NS6detail27convert_result_type_wrapperIS8_S9_N2at6native12_GLOBAL__N_19CustomMinEEEEE10hipError_tPvRmT0_T1_jT2_SQ_T4_T3_P12ihipStream_tbEUlT_E_NS1_11comp_targetILNS1_3genE10ELNS1_11target_archE1201ELNS1_3gpuE5ELNS1_3repE0EEENS1_30default_config_static_selectorELNS0_4arch9wavefront6targetE0EEEvSP_
                                        ; -- End function
	.set _ZN7rocprim17ROCPRIM_400000_NS6detail17trampoline_kernelINS0_14default_configENS1_32segmented_reduce_config_selectorIdEEZNS1_21segmented_reduce_implIS3_PKdPdPKldN6hipcub16HIPCUB_304000_NS6detail27convert_result_type_wrapperIS8_S9_N2at6native12_GLOBAL__N_19CustomMinEEEEE10hipError_tPvRmT0_T1_jT2_SQ_T4_T3_P12ihipStream_tbEUlT_E_NS1_11comp_targetILNS1_3genE10ELNS1_11target_archE1201ELNS1_3gpuE5ELNS1_3repE0EEENS1_30default_config_static_selectorELNS0_4arch9wavefront6targetE0EEEvSP_.num_vgpr, 0
	.set _ZN7rocprim17ROCPRIM_400000_NS6detail17trampoline_kernelINS0_14default_configENS1_32segmented_reduce_config_selectorIdEEZNS1_21segmented_reduce_implIS3_PKdPdPKldN6hipcub16HIPCUB_304000_NS6detail27convert_result_type_wrapperIS8_S9_N2at6native12_GLOBAL__N_19CustomMinEEEEE10hipError_tPvRmT0_T1_jT2_SQ_T4_T3_P12ihipStream_tbEUlT_E_NS1_11comp_targetILNS1_3genE10ELNS1_11target_archE1201ELNS1_3gpuE5ELNS1_3repE0EEENS1_30default_config_static_selectorELNS0_4arch9wavefront6targetE0EEEvSP_.num_agpr, 0
	.set _ZN7rocprim17ROCPRIM_400000_NS6detail17trampoline_kernelINS0_14default_configENS1_32segmented_reduce_config_selectorIdEEZNS1_21segmented_reduce_implIS3_PKdPdPKldN6hipcub16HIPCUB_304000_NS6detail27convert_result_type_wrapperIS8_S9_N2at6native12_GLOBAL__N_19CustomMinEEEEE10hipError_tPvRmT0_T1_jT2_SQ_T4_T3_P12ihipStream_tbEUlT_E_NS1_11comp_targetILNS1_3genE10ELNS1_11target_archE1201ELNS1_3gpuE5ELNS1_3repE0EEENS1_30default_config_static_selectorELNS0_4arch9wavefront6targetE0EEEvSP_.numbered_sgpr, 0
	.set _ZN7rocprim17ROCPRIM_400000_NS6detail17trampoline_kernelINS0_14default_configENS1_32segmented_reduce_config_selectorIdEEZNS1_21segmented_reduce_implIS3_PKdPdPKldN6hipcub16HIPCUB_304000_NS6detail27convert_result_type_wrapperIS8_S9_N2at6native12_GLOBAL__N_19CustomMinEEEEE10hipError_tPvRmT0_T1_jT2_SQ_T4_T3_P12ihipStream_tbEUlT_E_NS1_11comp_targetILNS1_3genE10ELNS1_11target_archE1201ELNS1_3gpuE5ELNS1_3repE0EEENS1_30default_config_static_selectorELNS0_4arch9wavefront6targetE0EEEvSP_.num_named_barrier, 0
	.set _ZN7rocprim17ROCPRIM_400000_NS6detail17trampoline_kernelINS0_14default_configENS1_32segmented_reduce_config_selectorIdEEZNS1_21segmented_reduce_implIS3_PKdPdPKldN6hipcub16HIPCUB_304000_NS6detail27convert_result_type_wrapperIS8_S9_N2at6native12_GLOBAL__N_19CustomMinEEEEE10hipError_tPvRmT0_T1_jT2_SQ_T4_T3_P12ihipStream_tbEUlT_E_NS1_11comp_targetILNS1_3genE10ELNS1_11target_archE1201ELNS1_3gpuE5ELNS1_3repE0EEENS1_30default_config_static_selectorELNS0_4arch9wavefront6targetE0EEEvSP_.private_seg_size, 0
	.set _ZN7rocprim17ROCPRIM_400000_NS6detail17trampoline_kernelINS0_14default_configENS1_32segmented_reduce_config_selectorIdEEZNS1_21segmented_reduce_implIS3_PKdPdPKldN6hipcub16HIPCUB_304000_NS6detail27convert_result_type_wrapperIS8_S9_N2at6native12_GLOBAL__N_19CustomMinEEEEE10hipError_tPvRmT0_T1_jT2_SQ_T4_T3_P12ihipStream_tbEUlT_E_NS1_11comp_targetILNS1_3genE10ELNS1_11target_archE1201ELNS1_3gpuE5ELNS1_3repE0EEENS1_30default_config_static_selectorELNS0_4arch9wavefront6targetE0EEEvSP_.uses_vcc, 0
	.set _ZN7rocprim17ROCPRIM_400000_NS6detail17trampoline_kernelINS0_14default_configENS1_32segmented_reduce_config_selectorIdEEZNS1_21segmented_reduce_implIS3_PKdPdPKldN6hipcub16HIPCUB_304000_NS6detail27convert_result_type_wrapperIS8_S9_N2at6native12_GLOBAL__N_19CustomMinEEEEE10hipError_tPvRmT0_T1_jT2_SQ_T4_T3_P12ihipStream_tbEUlT_E_NS1_11comp_targetILNS1_3genE10ELNS1_11target_archE1201ELNS1_3gpuE5ELNS1_3repE0EEENS1_30default_config_static_selectorELNS0_4arch9wavefront6targetE0EEEvSP_.uses_flat_scratch, 0
	.set _ZN7rocprim17ROCPRIM_400000_NS6detail17trampoline_kernelINS0_14default_configENS1_32segmented_reduce_config_selectorIdEEZNS1_21segmented_reduce_implIS3_PKdPdPKldN6hipcub16HIPCUB_304000_NS6detail27convert_result_type_wrapperIS8_S9_N2at6native12_GLOBAL__N_19CustomMinEEEEE10hipError_tPvRmT0_T1_jT2_SQ_T4_T3_P12ihipStream_tbEUlT_E_NS1_11comp_targetILNS1_3genE10ELNS1_11target_archE1201ELNS1_3gpuE5ELNS1_3repE0EEENS1_30default_config_static_selectorELNS0_4arch9wavefront6targetE0EEEvSP_.has_dyn_sized_stack, 0
	.set _ZN7rocprim17ROCPRIM_400000_NS6detail17trampoline_kernelINS0_14default_configENS1_32segmented_reduce_config_selectorIdEEZNS1_21segmented_reduce_implIS3_PKdPdPKldN6hipcub16HIPCUB_304000_NS6detail27convert_result_type_wrapperIS8_S9_N2at6native12_GLOBAL__N_19CustomMinEEEEE10hipError_tPvRmT0_T1_jT2_SQ_T4_T3_P12ihipStream_tbEUlT_E_NS1_11comp_targetILNS1_3genE10ELNS1_11target_archE1201ELNS1_3gpuE5ELNS1_3repE0EEENS1_30default_config_static_selectorELNS0_4arch9wavefront6targetE0EEEvSP_.has_recursion, 0
	.set _ZN7rocprim17ROCPRIM_400000_NS6detail17trampoline_kernelINS0_14default_configENS1_32segmented_reduce_config_selectorIdEEZNS1_21segmented_reduce_implIS3_PKdPdPKldN6hipcub16HIPCUB_304000_NS6detail27convert_result_type_wrapperIS8_S9_N2at6native12_GLOBAL__N_19CustomMinEEEEE10hipError_tPvRmT0_T1_jT2_SQ_T4_T3_P12ihipStream_tbEUlT_E_NS1_11comp_targetILNS1_3genE10ELNS1_11target_archE1201ELNS1_3gpuE5ELNS1_3repE0EEENS1_30default_config_static_selectorELNS0_4arch9wavefront6targetE0EEEvSP_.has_indirect_call, 0
	.section	.AMDGPU.csdata,"",@progbits
; Kernel info:
; codeLenInByte = 0
; TotalNumSgprs: 0
; NumVgprs: 0
; ScratchSize: 0
; MemoryBound: 0
; FloatMode: 240
; IeeeMode: 1
; LDSByteSize: 0 bytes/workgroup (compile time only)
; SGPRBlocks: 0
; VGPRBlocks: 0
; NumSGPRsForWavesPerEU: 1
; NumVGPRsForWavesPerEU: 1
; Occupancy: 16
; WaveLimiterHint : 0
; COMPUTE_PGM_RSRC2:SCRATCH_EN: 0
; COMPUTE_PGM_RSRC2:USER_SGPR: 6
; COMPUTE_PGM_RSRC2:TRAP_HANDLER: 0
; COMPUTE_PGM_RSRC2:TGID_X_EN: 1
; COMPUTE_PGM_RSRC2:TGID_Y_EN: 0
; COMPUTE_PGM_RSRC2:TGID_Z_EN: 0
; COMPUTE_PGM_RSRC2:TIDIG_COMP_CNT: 0
	.section	.text._ZN7rocprim17ROCPRIM_400000_NS6detail17trampoline_kernelINS0_14default_configENS1_32segmented_reduce_config_selectorIdEEZNS1_21segmented_reduce_implIS3_PKdPdPKldN6hipcub16HIPCUB_304000_NS6detail27convert_result_type_wrapperIS8_S9_N2at6native12_GLOBAL__N_19CustomMinEEEEE10hipError_tPvRmT0_T1_jT2_SQ_T4_T3_P12ihipStream_tbEUlT_E_NS1_11comp_targetILNS1_3genE4ELNS1_11target_archE910ELNS1_3gpuE8ELNS1_3repE0EEENS1_30default_config_static_selectorELNS0_4arch9wavefront6targetE0EEEvSP_,"axG",@progbits,_ZN7rocprim17ROCPRIM_400000_NS6detail17trampoline_kernelINS0_14default_configENS1_32segmented_reduce_config_selectorIdEEZNS1_21segmented_reduce_implIS3_PKdPdPKldN6hipcub16HIPCUB_304000_NS6detail27convert_result_type_wrapperIS8_S9_N2at6native12_GLOBAL__N_19CustomMinEEEEE10hipError_tPvRmT0_T1_jT2_SQ_T4_T3_P12ihipStream_tbEUlT_E_NS1_11comp_targetILNS1_3genE4ELNS1_11target_archE910ELNS1_3gpuE8ELNS1_3repE0EEENS1_30default_config_static_selectorELNS0_4arch9wavefront6targetE0EEEvSP_,comdat
	.globl	_ZN7rocprim17ROCPRIM_400000_NS6detail17trampoline_kernelINS0_14default_configENS1_32segmented_reduce_config_selectorIdEEZNS1_21segmented_reduce_implIS3_PKdPdPKldN6hipcub16HIPCUB_304000_NS6detail27convert_result_type_wrapperIS8_S9_N2at6native12_GLOBAL__N_19CustomMinEEEEE10hipError_tPvRmT0_T1_jT2_SQ_T4_T3_P12ihipStream_tbEUlT_E_NS1_11comp_targetILNS1_3genE4ELNS1_11target_archE910ELNS1_3gpuE8ELNS1_3repE0EEENS1_30default_config_static_selectorELNS0_4arch9wavefront6targetE0EEEvSP_ ; -- Begin function _ZN7rocprim17ROCPRIM_400000_NS6detail17trampoline_kernelINS0_14default_configENS1_32segmented_reduce_config_selectorIdEEZNS1_21segmented_reduce_implIS3_PKdPdPKldN6hipcub16HIPCUB_304000_NS6detail27convert_result_type_wrapperIS8_S9_N2at6native12_GLOBAL__N_19CustomMinEEEEE10hipError_tPvRmT0_T1_jT2_SQ_T4_T3_P12ihipStream_tbEUlT_E_NS1_11comp_targetILNS1_3genE4ELNS1_11target_archE910ELNS1_3gpuE8ELNS1_3repE0EEENS1_30default_config_static_selectorELNS0_4arch9wavefront6targetE0EEEvSP_
	.p2align	8
	.type	_ZN7rocprim17ROCPRIM_400000_NS6detail17trampoline_kernelINS0_14default_configENS1_32segmented_reduce_config_selectorIdEEZNS1_21segmented_reduce_implIS3_PKdPdPKldN6hipcub16HIPCUB_304000_NS6detail27convert_result_type_wrapperIS8_S9_N2at6native12_GLOBAL__N_19CustomMinEEEEE10hipError_tPvRmT0_T1_jT2_SQ_T4_T3_P12ihipStream_tbEUlT_E_NS1_11comp_targetILNS1_3genE4ELNS1_11target_archE910ELNS1_3gpuE8ELNS1_3repE0EEENS1_30default_config_static_selectorELNS0_4arch9wavefront6targetE0EEEvSP_,@function
_ZN7rocprim17ROCPRIM_400000_NS6detail17trampoline_kernelINS0_14default_configENS1_32segmented_reduce_config_selectorIdEEZNS1_21segmented_reduce_implIS3_PKdPdPKldN6hipcub16HIPCUB_304000_NS6detail27convert_result_type_wrapperIS8_S9_N2at6native12_GLOBAL__N_19CustomMinEEEEE10hipError_tPvRmT0_T1_jT2_SQ_T4_T3_P12ihipStream_tbEUlT_E_NS1_11comp_targetILNS1_3genE4ELNS1_11target_archE910ELNS1_3gpuE8ELNS1_3repE0EEENS1_30default_config_static_selectorELNS0_4arch9wavefront6targetE0EEEvSP_: ; @_ZN7rocprim17ROCPRIM_400000_NS6detail17trampoline_kernelINS0_14default_configENS1_32segmented_reduce_config_selectorIdEEZNS1_21segmented_reduce_implIS3_PKdPdPKldN6hipcub16HIPCUB_304000_NS6detail27convert_result_type_wrapperIS8_S9_N2at6native12_GLOBAL__N_19CustomMinEEEEE10hipError_tPvRmT0_T1_jT2_SQ_T4_T3_P12ihipStream_tbEUlT_E_NS1_11comp_targetILNS1_3genE4ELNS1_11target_archE910ELNS1_3gpuE8ELNS1_3repE0EEENS1_30default_config_static_selectorELNS0_4arch9wavefront6targetE0EEEvSP_
; %bb.0:
	.section	.rodata,"a",@progbits
	.p2align	6, 0x0
	.amdhsa_kernel _ZN7rocprim17ROCPRIM_400000_NS6detail17trampoline_kernelINS0_14default_configENS1_32segmented_reduce_config_selectorIdEEZNS1_21segmented_reduce_implIS3_PKdPdPKldN6hipcub16HIPCUB_304000_NS6detail27convert_result_type_wrapperIS8_S9_N2at6native12_GLOBAL__N_19CustomMinEEEEE10hipError_tPvRmT0_T1_jT2_SQ_T4_T3_P12ihipStream_tbEUlT_E_NS1_11comp_targetILNS1_3genE4ELNS1_11target_archE910ELNS1_3gpuE8ELNS1_3repE0EEENS1_30default_config_static_selectorELNS0_4arch9wavefront6targetE0EEEvSP_
		.amdhsa_group_segment_fixed_size 0
		.amdhsa_private_segment_fixed_size 0
		.amdhsa_kernarg_size 56
		.amdhsa_user_sgpr_count 6
		.amdhsa_user_sgpr_private_segment_buffer 1
		.amdhsa_user_sgpr_dispatch_ptr 0
		.amdhsa_user_sgpr_queue_ptr 0
		.amdhsa_user_sgpr_kernarg_segment_ptr 1
		.amdhsa_user_sgpr_dispatch_id 0
		.amdhsa_user_sgpr_flat_scratch_init 0
		.amdhsa_user_sgpr_private_segment_size 0
		.amdhsa_wavefront_size32 1
		.amdhsa_uses_dynamic_stack 0
		.amdhsa_system_sgpr_private_segment_wavefront_offset 0
		.amdhsa_system_sgpr_workgroup_id_x 1
		.amdhsa_system_sgpr_workgroup_id_y 0
		.amdhsa_system_sgpr_workgroup_id_z 0
		.amdhsa_system_sgpr_workgroup_info 0
		.amdhsa_system_vgpr_workitem_id 0
		.amdhsa_next_free_vgpr 1
		.amdhsa_next_free_sgpr 1
		.amdhsa_reserve_vcc 0
		.amdhsa_reserve_flat_scratch 0
		.amdhsa_float_round_mode_32 0
		.amdhsa_float_round_mode_16_64 0
		.amdhsa_float_denorm_mode_32 3
		.amdhsa_float_denorm_mode_16_64 3
		.amdhsa_dx10_clamp 1
		.amdhsa_ieee_mode 1
		.amdhsa_fp16_overflow 0
		.amdhsa_workgroup_processor_mode 1
		.amdhsa_memory_ordered 1
		.amdhsa_forward_progress 1
		.amdhsa_shared_vgpr_count 0
		.amdhsa_exception_fp_ieee_invalid_op 0
		.amdhsa_exception_fp_denorm_src 0
		.amdhsa_exception_fp_ieee_div_zero 0
		.amdhsa_exception_fp_ieee_overflow 0
		.amdhsa_exception_fp_ieee_underflow 0
		.amdhsa_exception_fp_ieee_inexact 0
		.amdhsa_exception_int_div_zero 0
	.end_amdhsa_kernel
	.section	.text._ZN7rocprim17ROCPRIM_400000_NS6detail17trampoline_kernelINS0_14default_configENS1_32segmented_reduce_config_selectorIdEEZNS1_21segmented_reduce_implIS3_PKdPdPKldN6hipcub16HIPCUB_304000_NS6detail27convert_result_type_wrapperIS8_S9_N2at6native12_GLOBAL__N_19CustomMinEEEEE10hipError_tPvRmT0_T1_jT2_SQ_T4_T3_P12ihipStream_tbEUlT_E_NS1_11comp_targetILNS1_3genE4ELNS1_11target_archE910ELNS1_3gpuE8ELNS1_3repE0EEENS1_30default_config_static_selectorELNS0_4arch9wavefront6targetE0EEEvSP_,"axG",@progbits,_ZN7rocprim17ROCPRIM_400000_NS6detail17trampoline_kernelINS0_14default_configENS1_32segmented_reduce_config_selectorIdEEZNS1_21segmented_reduce_implIS3_PKdPdPKldN6hipcub16HIPCUB_304000_NS6detail27convert_result_type_wrapperIS8_S9_N2at6native12_GLOBAL__N_19CustomMinEEEEE10hipError_tPvRmT0_T1_jT2_SQ_T4_T3_P12ihipStream_tbEUlT_E_NS1_11comp_targetILNS1_3genE4ELNS1_11target_archE910ELNS1_3gpuE8ELNS1_3repE0EEENS1_30default_config_static_selectorELNS0_4arch9wavefront6targetE0EEEvSP_,comdat
.Lfunc_end165:
	.size	_ZN7rocprim17ROCPRIM_400000_NS6detail17trampoline_kernelINS0_14default_configENS1_32segmented_reduce_config_selectorIdEEZNS1_21segmented_reduce_implIS3_PKdPdPKldN6hipcub16HIPCUB_304000_NS6detail27convert_result_type_wrapperIS8_S9_N2at6native12_GLOBAL__N_19CustomMinEEEEE10hipError_tPvRmT0_T1_jT2_SQ_T4_T3_P12ihipStream_tbEUlT_E_NS1_11comp_targetILNS1_3genE4ELNS1_11target_archE910ELNS1_3gpuE8ELNS1_3repE0EEENS1_30default_config_static_selectorELNS0_4arch9wavefront6targetE0EEEvSP_, .Lfunc_end165-_ZN7rocprim17ROCPRIM_400000_NS6detail17trampoline_kernelINS0_14default_configENS1_32segmented_reduce_config_selectorIdEEZNS1_21segmented_reduce_implIS3_PKdPdPKldN6hipcub16HIPCUB_304000_NS6detail27convert_result_type_wrapperIS8_S9_N2at6native12_GLOBAL__N_19CustomMinEEEEE10hipError_tPvRmT0_T1_jT2_SQ_T4_T3_P12ihipStream_tbEUlT_E_NS1_11comp_targetILNS1_3genE4ELNS1_11target_archE910ELNS1_3gpuE8ELNS1_3repE0EEENS1_30default_config_static_selectorELNS0_4arch9wavefront6targetE0EEEvSP_
                                        ; -- End function
	.set _ZN7rocprim17ROCPRIM_400000_NS6detail17trampoline_kernelINS0_14default_configENS1_32segmented_reduce_config_selectorIdEEZNS1_21segmented_reduce_implIS3_PKdPdPKldN6hipcub16HIPCUB_304000_NS6detail27convert_result_type_wrapperIS8_S9_N2at6native12_GLOBAL__N_19CustomMinEEEEE10hipError_tPvRmT0_T1_jT2_SQ_T4_T3_P12ihipStream_tbEUlT_E_NS1_11comp_targetILNS1_3genE4ELNS1_11target_archE910ELNS1_3gpuE8ELNS1_3repE0EEENS1_30default_config_static_selectorELNS0_4arch9wavefront6targetE0EEEvSP_.num_vgpr, 0
	.set _ZN7rocprim17ROCPRIM_400000_NS6detail17trampoline_kernelINS0_14default_configENS1_32segmented_reduce_config_selectorIdEEZNS1_21segmented_reduce_implIS3_PKdPdPKldN6hipcub16HIPCUB_304000_NS6detail27convert_result_type_wrapperIS8_S9_N2at6native12_GLOBAL__N_19CustomMinEEEEE10hipError_tPvRmT0_T1_jT2_SQ_T4_T3_P12ihipStream_tbEUlT_E_NS1_11comp_targetILNS1_3genE4ELNS1_11target_archE910ELNS1_3gpuE8ELNS1_3repE0EEENS1_30default_config_static_selectorELNS0_4arch9wavefront6targetE0EEEvSP_.num_agpr, 0
	.set _ZN7rocprim17ROCPRIM_400000_NS6detail17trampoline_kernelINS0_14default_configENS1_32segmented_reduce_config_selectorIdEEZNS1_21segmented_reduce_implIS3_PKdPdPKldN6hipcub16HIPCUB_304000_NS6detail27convert_result_type_wrapperIS8_S9_N2at6native12_GLOBAL__N_19CustomMinEEEEE10hipError_tPvRmT0_T1_jT2_SQ_T4_T3_P12ihipStream_tbEUlT_E_NS1_11comp_targetILNS1_3genE4ELNS1_11target_archE910ELNS1_3gpuE8ELNS1_3repE0EEENS1_30default_config_static_selectorELNS0_4arch9wavefront6targetE0EEEvSP_.numbered_sgpr, 0
	.set _ZN7rocprim17ROCPRIM_400000_NS6detail17trampoline_kernelINS0_14default_configENS1_32segmented_reduce_config_selectorIdEEZNS1_21segmented_reduce_implIS3_PKdPdPKldN6hipcub16HIPCUB_304000_NS6detail27convert_result_type_wrapperIS8_S9_N2at6native12_GLOBAL__N_19CustomMinEEEEE10hipError_tPvRmT0_T1_jT2_SQ_T4_T3_P12ihipStream_tbEUlT_E_NS1_11comp_targetILNS1_3genE4ELNS1_11target_archE910ELNS1_3gpuE8ELNS1_3repE0EEENS1_30default_config_static_selectorELNS0_4arch9wavefront6targetE0EEEvSP_.num_named_barrier, 0
	.set _ZN7rocprim17ROCPRIM_400000_NS6detail17trampoline_kernelINS0_14default_configENS1_32segmented_reduce_config_selectorIdEEZNS1_21segmented_reduce_implIS3_PKdPdPKldN6hipcub16HIPCUB_304000_NS6detail27convert_result_type_wrapperIS8_S9_N2at6native12_GLOBAL__N_19CustomMinEEEEE10hipError_tPvRmT0_T1_jT2_SQ_T4_T3_P12ihipStream_tbEUlT_E_NS1_11comp_targetILNS1_3genE4ELNS1_11target_archE910ELNS1_3gpuE8ELNS1_3repE0EEENS1_30default_config_static_selectorELNS0_4arch9wavefront6targetE0EEEvSP_.private_seg_size, 0
	.set _ZN7rocprim17ROCPRIM_400000_NS6detail17trampoline_kernelINS0_14default_configENS1_32segmented_reduce_config_selectorIdEEZNS1_21segmented_reduce_implIS3_PKdPdPKldN6hipcub16HIPCUB_304000_NS6detail27convert_result_type_wrapperIS8_S9_N2at6native12_GLOBAL__N_19CustomMinEEEEE10hipError_tPvRmT0_T1_jT2_SQ_T4_T3_P12ihipStream_tbEUlT_E_NS1_11comp_targetILNS1_3genE4ELNS1_11target_archE910ELNS1_3gpuE8ELNS1_3repE0EEENS1_30default_config_static_selectorELNS0_4arch9wavefront6targetE0EEEvSP_.uses_vcc, 0
	.set _ZN7rocprim17ROCPRIM_400000_NS6detail17trampoline_kernelINS0_14default_configENS1_32segmented_reduce_config_selectorIdEEZNS1_21segmented_reduce_implIS3_PKdPdPKldN6hipcub16HIPCUB_304000_NS6detail27convert_result_type_wrapperIS8_S9_N2at6native12_GLOBAL__N_19CustomMinEEEEE10hipError_tPvRmT0_T1_jT2_SQ_T4_T3_P12ihipStream_tbEUlT_E_NS1_11comp_targetILNS1_3genE4ELNS1_11target_archE910ELNS1_3gpuE8ELNS1_3repE0EEENS1_30default_config_static_selectorELNS0_4arch9wavefront6targetE0EEEvSP_.uses_flat_scratch, 0
	.set _ZN7rocprim17ROCPRIM_400000_NS6detail17trampoline_kernelINS0_14default_configENS1_32segmented_reduce_config_selectorIdEEZNS1_21segmented_reduce_implIS3_PKdPdPKldN6hipcub16HIPCUB_304000_NS6detail27convert_result_type_wrapperIS8_S9_N2at6native12_GLOBAL__N_19CustomMinEEEEE10hipError_tPvRmT0_T1_jT2_SQ_T4_T3_P12ihipStream_tbEUlT_E_NS1_11comp_targetILNS1_3genE4ELNS1_11target_archE910ELNS1_3gpuE8ELNS1_3repE0EEENS1_30default_config_static_selectorELNS0_4arch9wavefront6targetE0EEEvSP_.has_dyn_sized_stack, 0
	.set _ZN7rocprim17ROCPRIM_400000_NS6detail17trampoline_kernelINS0_14default_configENS1_32segmented_reduce_config_selectorIdEEZNS1_21segmented_reduce_implIS3_PKdPdPKldN6hipcub16HIPCUB_304000_NS6detail27convert_result_type_wrapperIS8_S9_N2at6native12_GLOBAL__N_19CustomMinEEEEE10hipError_tPvRmT0_T1_jT2_SQ_T4_T3_P12ihipStream_tbEUlT_E_NS1_11comp_targetILNS1_3genE4ELNS1_11target_archE910ELNS1_3gpuE8ELNS1_3repE0EEENS1_30default_config_static_selectorELNS0_4arch9wavefront6targetE0EEEvSP_.has_recursion, 0
	.set _ZN7rocprim17ROCPRIM_400000_NS6detail17trampoline_kernelINS0_14default_configENS1_32segmented_reduce_config_selectorIdEEZNS1_21segmented_reduce_implIS3_PKdPdPKldN6hipcub16HIPCUB_304000_NS6detail27convert_result_type_wrapperIS8_S9_N2at6native12_GLOBAL__N_19CustomMinEEEEE10hipError_tPvRmT0_T1_jT2_SQ_T4_T3_P12ihipStream_tbEUlT_E_NS1_11comp_targetILNS1_3genE4ELNS1_11target_archE910ELNS1_3gpuE8ELNS1_3repE0EEENS1_30default_config_static_selectorELNS0_4arch9wavefront6targetE0EEEvSP_.has_indirect_call, 0
	.section	.AMDGPU.csdata,"",@progbits
; Kernel info:
; codeLenInByte = 0
; TotalNumSgprs: 0
; NumVgprs: 0
; ScratchSize: 0
; MemoryBound: 0
; FloatMode: 240
; IeeeMode: 1
; LDSByteSize: 0 bytes/workgroup (compile time only)
; SGPRBlocks: 0
; VGPRBlocks: 0
; NumSGPRsForWavesPerEU: 1
; NumVGPRsForWavesPerEU: 1
; Occupancy: 16
; WaveLimiterHint : 0
; COMPUTE_PGM_RSRC2:SCRATCH_EN: 0
; COMPUTE_PGM_RSRC2:USER_SGPR: 6
; COMPUTE_PGM_RSRC2:TRAP_HANDLER: 0
; COMPUTE_PGM_RSRC2:TGID_X_EN: 1
; COMPUTE_PGM_RSRC2:TGID_Y_EN: 0
; COMPUTE_PGM_RSRC2:TGID_Z_EN: 0
; COMPUTE_PGM_RSRC2:TIDIG_COMP_CNT: 0
	.section	.text._ZN7rocprim17ROCPRIM_400000_NS6detail17trampoline_kernelINS0_14default_configENS1_32segmented_reduce_config_selectorIdEEZNS1_21segmented_reduce_implIS3_PKdPdPKldN6hipcub16HIPCUB_304000_NS6detail27convert_result_type_wrapperIS8_S9_N2at6native12_GLOBAL__N_19CustomMinEEEEE10hipError_tPvRmT0_T1_jT2_SQ_T4_T3_P12ihipStream_tbEUlT_E_NS1_11comp_targetILNS1_3genE3ELNS1_11target_archE908ELNS1_3gpuE7ELNS1_3repE0EEENS1_30default_config_static_selectorELNS0_4arch9wavefront6targetE0EEEvSP_,"axG",@progbits,_ZN7rocprim17ROCPRIM_400000_NS6detail17trampoline_kernelINS0_14default_configENS1_32segmented_reduce_config_selectorIdEEZNS1_21segmented_reduce_implIS3_PKdPdPKldN6hipcub16HIPCUB_304000_NS6detail27convert_result_type_wrapperIS8_S9_N2at6native12_GLOBAL__N_19CustomMinEEEEE10hipError_tPvRmT0_T1_jT2_SQ_T4_T3_P12ihipStream_tbEUlT_E_NS1_11comp_targetILNS1_3genE3ELNS1_11target_archE908ELNS1_3gpuE7ELNS1_3repE0EEENS1_30default_config_static_selectorELNS0_4arch9wavefront6targetE0EEEvSP_,comdat
	.globl	_ZN7rocprim17ROCPRIM_400000_NS6detail17trampoline_kernelINS0_14default_configENS1_32segmented_reduce_config_selectorIdEEZNS1_21segmented_reduce_implIS3_PKdPdPKldN6hipcub16HIPCUB_304000_NS6detail27convert_result_type_wrapperIS8_S9_N2at6native12_GLOBAL__N_19CustomMinEEEEE10hipError_tPvRmT0_T1_jT2_SQ_T4_T3_P12ihipStream_tbEUlT_E_NS1_11comp_targetILNS1_3genE3ELNS1_11target_archE908ELNS1_3gpuE7ELNS1_3repE0EEENS1_30default_config_static_selectorELNS0_4arch9wavefront6targetE0EEEvSP_ ; -- Begin function _ZN7rocprim17ROCPRIM_400000_NS6detail17trampoline_kernelINS0_14default_configENS1_32segmented_reduce_config_selectorIdEEZNS1_21segmented_reduce_implIS3_PKdPdPKldN6hipcub16HIPCUB_304000_NS6detail27convert_result_type_wrapperIS8_S9_N2at6native12_GLOBAL__N_19CustomMinEEEEE10hipError_tPvRmT0_T1_jT2_SQ_T4_T3_P12ihipStream_tbEUlT_E_NS1_11comp_targetILNS1_3genE3ELNS1_11target_archE908ELNS1_3gpuE7ELNS1_3repE0EEENS1_30default_config_static_selectorELNS0_4arch9wavefront6targetE0EEEvSP_
	.p2align	8
	.type	_ZN7rocprim17ROCPRIM_400000_NS6detail17trampoline_kernelINS0_14default_configENS1_32segmented_reduce_config_selectorIdEEZNS1_21segmented_reduce_implIS3_PKdPdPKldN6hipcub16HIPCUB_304000_NS6detail27convert_result_type_wrapperIS8_S9_N2at6native12_GLOBAL__N_19CustomMinEEEEE10hipError_tPvRmT0_T1_jT2_SQ_T4_T3_P12ihipStream_tbEUlT_E_NS1_11comp_targetILNS1_3genE3ELNS1_11target_archE908ELNS1_3gpuE7ELNS1_3repE0EEENS1_30default_config_static_selectorELNS0_4arch9wavefront6targetE0EEEvSP_,@function
_ZN7rocprim17ROCPRIM_400000_NS6detail17trampoline_kernelINS0_14default_configENS1_32segmented_reduce_config_selectorIdEEZNS1_21segmented_reduce_implIS3_PKdPdPKldN6hipcub16HIPCUB_304000_NS6detail27convert_result_type_wrapperIS8_S9_N2at6native12_GLOBAL__N_19CustomMinEEEEE10hipError_tPvRmT0_T1_jT2_SQ_T4_T3_P12ihipStream_tbEUlT_E_NS1_11comp_targetILNS1_3genE3ELNS1_11target_archE908ELNS1_3gpuE7ELNS1_3repE0EEENS1_30default_config_static_selectorELNS0_4arch9wavefront6targetE0EEEvSP_: ; @_ZN7rocprim17ROCPRIM_400000_NS6detail17trampoline_kernelINS0_14default_configENS1_32segmented_reduce_config_selectorIdEEZNS1_21segmented_reduce_implIS3_PKdPdPKldN6hipcub16HIPCUB_304000_NS6detail27convert_result_type_wrapperIS8_S9_N2at6native12_GLOBAL__N_19CustomMinEEEEE10hipError_tPvRmT0_T1_jT2_SQ_T4_T3_P12ihipStream_tbEUlT_E_NS1_11comp_targetILNS1_3genE3ELNS1_11target_archE908ELNS1_3gpuE7ELNS1_3repE0EEENS1_30default_config_static_selectorELNS0_4arch9wavefront6targetE0EEEvSP_
; %bb.0:
	.section	.rodata,"a",@progbits
	.p2align	6, 0x0
	.amdhsa_kernel _ZN7rocprim17ROCPRIM_400000_NS6detail17trampoline_kernelINS0_14default_configENS1_32segmented_reduce_config_selectorIdEEZNS1_21segmented_reduce_implIS3_PKdPdPKldN6hipcub16HIPCUB_304000_NS6detail27convert_result_type_wrapperIS8_S9_N2at6native12_GLOBAL__N_19CustomMinEEEEE10hipError_tPvRmT0_T1_jT2_SQ_T4_T3_P12ihipStream_tbEUlT_E_NS1_11comp_targetILNS1_3genE3ELNS1_11target_archE908ELNS1_3gpuE7ELNS1_3repE0EEENS1_30default_config_static_selectorELNS0_4arch9wavefront6targetE0EEEvSP_
		.amdhsa_group_segment_fixed_size 0
		.amdhsa_private_segment_fixed_size 0
		.amdhsa_kernarg_size 56
		.amdhsa_user_sgpr_count 6
		.amdhsa_user_sgpr_private_segment_buffer 1
		.amdhsa_user_sgpr_dispatch_ptr 0
		.amdhsa_user_sgpr_queue_ptr 0
		.amdhsa_user_sgpr_kernarg_segment_ptr 1
		.amdhsa_user_sgpr_dispatch_id 0
		.amdhsa_user_sgpr_flat_scratch_init 0
		.amdhsa_user_sgpr_private_segment_size 0
		.amdhsa_wavefront_size32 1
		.amdhsa_uses_dynamic_stack 0
		.amdhsa_system_sgpr_private_segment_wavefront_offset 0
		.amdhsa_system_sgpr_workgroup_id_x 1
		.amdhsa_system_sgpr_workgroup_id_y 0
		.amdhsa_system_sgpr_workgroup_id_z 0
		.amdhsa_system_sgpr_workgroup_info 0
		.amdhsa_system_vgpr_workitem_id 0
		.amdhsa_next_free_vgpr 1
		.amdhsa_next_free_sgpr 1
		.amdhsa_reserve_vcc 0
		.amdhsa_reserve_flat_scratch 0
		.amdhsa_float_round_mode_32 0
		.amdhsa_float_round_mode_16_64 0
		.amdhsa_float_denorm_mode_32 3
		.amdhsa_float_denorm_mode_16_64 3
		.amdhsa_dx10_clamp 1
		.amdhsa_ieee_mode 1
		.amdhsa_fp16_overflow 0
		.amdhsa_workgroup_processor_mode 1
		.amdhsa_memory_ordered 1
		.amdhsa_forward_progress 1
		.amdhsa_shared_vgpr_count 0
		.amdhsa_exception_fp_ieee_invalid_op 0
		.amdhsa_exception_fp_denorm_src 0
		.amdhsa_exception_fp_ieee_div_zero 0
		.amdhsa_exception_fp_ieee_overflow 0
		.amdhsa_exception_fp_ieee_underflow 0
		.amdhsa_exception_fp_ieee_inexact 0
		.amdhsa_exception_int_div_zero 0
	.end_amdhsa_kernel
	.section	.text._ZN7rocprim17ROCPRIM_400000_NS6detail17trampoline_kernelINS0_14default_configENS1_32segmented_reduce_config_selectorIdEEZNS1_21segmented_reduce_implIS3_PKdPdPKldN6hipcub16HIPCUB_304000_NS6detail27convert_result_type_wrapperIS8_S9_N2at6native12_GLOBAL__N_19CustomMinEEEEE10hipError_tPvRmT0_T1_jT2_SQ_T4_T3_P12ihipStream_tbEUlT_E_NS1_11comp_targetILNS1_3genE3ELNS1_11target_archE908ELNS1_3gpuE7ELNS1_3repE0EEENS1_30default_config_static_selectorELNS0_4arch9wavefront6targetE0EEEvSP_,"axG",@progbits,_ZN7rocprim17ROCPRIM_400000_NS6detail17trampoline_kernelINS0_14default_configENS1_32segmented_reduce_config_selectorIdEEZNS1_21segmented_reduce_implIS3_PKdPdPKldN6hipcub16HIPCUB_304000_NS6detail27convert_result_type_wrapperIS8_S9_N2at6native12_GLOBAL__N_19CustomMinEEEEE10hipError_tPvRmT0_T1_jT2_SQ_T4_T3_P12ihipStream_tbEUlT_E_NS1_11comp_targetILNS1_3genE3ELNS1_11target_archE908ELNS1_3gpuE7ELNS1_3repE0EEENS1_30default_config_static_selectorELNS0_4arch9wavefront6targetE0EEEvSP_,comdat
.Lfunc_end166:
	.size	_ZN7rocprim17ROCPRIM_400000_NS6detail17trampoline_kernelINS0_14default_configENS1_32segmented_reduce_config_selectorIdEEZNS1_21segmented_reduce_implIS3_PKdPdPKldN6hipcub16HIPCUB_304000_NS6detail27convert_result_type_wrapperIS8_S9_N2at6native12_GLOBAL__N_19CustomMinEEEEE10hipError_tPvRmT0_T1_jT2_SQ_T4_T3_P12ihipStream_tbEUlT_E_NS1_11comp_targetILNS1_3genE3ELNS1_11target_archE908ELNS1_3gpuE7ELNS1_3repE0EEENS1_30default_config_static_selectorELNS0_4arch9wavefront6targetE0EEEvSP_, .Lfunc_end166-_ZN7rocprim17ROCPRIM_400000_NS6detail17trampoline_kernelINS0_14default_configENS1_32segmented_reduce_config_selectorIdEEZNS1_21segmented_reduce_implIS3_PKdPdPKldN6hipcub16HIPCUB_304000_NS6detail27convert_result_type_wrapperIS8_S9_N2at6native12_GLOBAL__N_19CustomMinEEEEE10hipError_tPvRmT0_T1_jT2_SQ_T4_T3_P12ihipStream_tbEUlT_E_NS1_11comp_targetILNS1_3genE3ELNS1_11target_archE908ELNS1_3gpuE7ELNS1_3repE0EEENS1_30default_config_static_selectorELNS0_4arch9wavefront6targetE0EEEvSP_
                                        ; -- End function
	.set _ZN7rocprim17ROCPRIM_400000_NS6detail17trampoline_kernelINS0_14default_configENS1_32segmented_reduce_config_selectorIdEEZNS1_21segmented_reduce_implIS3_PKdPdPKldN6hipcub16HIPCUB_304000_NS6detail27convert_result_type_wrapperIS8_S9_N2at6native12_GLOBAL__N_19CustomMinEEEEE10hipError_tPvRmT0_T1_jT2_SQ_T4_T3_P12ihipStream_tbEUlT_E_NS1_11comp_targetILNS1_3genE3ELNS1_11target_archE908ELNS1_3gpuE7ELNS1_3repE0EEENS1_30default_config_static_selectorELNS0_4arch9wavefront6targetE0EEEvSP_.num_vgpr, 0
	.set _ZN7rocprim17ROCPRIM_400000_NS6detail17trampoline_kernelINS0_14default_configENS1_32segmented_reduce_config_selectorIdEEZNS1_21segmented_reduce_implIS3_PKdPdPKldN6hipcub16HIPCUB_304000_NS6detail27convert_result_type_wrapperIS8_S9_N2at6native12_GLOBAL__N_19CustomMinEEEEE10hipError_tPvRmT0_T1_jT2_SQ_T4_T3_P12ihipStream_tbEUlT_E_NS1_11comp_targetILNS1_3genE3ELNS1_11target_archE908ELNS1_3gpuE7ELNS1_3repE0EEENS1_30default_config_static_selectorELNS0_4arch9wavefront6targetE0EEEvSP_.num_agpr, 0
	.set _ZN7rocprim17ROCPRIM_400000_NS6detail17trampoline_kernelINS0_14default_configENS1_32segmented_reduce_config_selectorIdEEZNS1_21segmented_reduce_implIS3_PKdPdPKldN6hipcub16HIPCUB_304000_NS6detail27convert_result_type_wrapperIS8_S9_N2at6native12_GLOBAL__N_19CustomMinEEEEE10hipError_tPvRmT0_T1_jT2_SQ_T4_T3_P12ihipStream_tbEUlT_E_NS1_11comp_targetILNS1_3genE3ELNS1_11target_archE908ELNS1_3gpuE7ELNS1_3repE0EEENS1_30default_config_static_selectorELNS0_4arch9wavefront6targetE0EEEvSP_.numbered_sgpr, 0
	.set _ZN7rocprim17ROCPRIM_400000_NS6detail17trampoline_kernelINS0_14default_configENS1_32segmented_reduce_config_selectorIdEEZNS1_21segmented_reduce_implIS3_PKdPdPKldN6hipcub16HIPCUB_304000_NS6detail27convert_result_type_wrapperIS8_S9_N2at6native12_GLOBAL__N_19CustomMinEEEEE10hipError_tPvRmT0_T1_jT2_SQ_T4_T3_P12ihipStream_tbEUlT_E_NS1_11comp_targetILNS1_3genE3ELNS1_11target_archE908ELNS1_3gpuE7ELNS1_3repE0EEENS1_30default_config_static_selectorELNS0_4arch9wavefront6targetE0EEEvSP_.num_named_barrier, 0
	.set _ZN7rocprim17ROCPRIM_400000_NS6detail17trampoline_kernelINS0_14default_configENS1_32segmented_reduce_config_selectorIdEEZNS1_21segmented_reduce_implIS3_PKdPdPKldN6hipcub16HIPCUB_304000_NS6detail27convert_result_type_wrapperIS8_S9_N2at6native12_GLOBAL__N_19CustomMinEEEEE10hipError_tPvRmT0_T1_jT2_SQ_T4_T3_P12ihipStream_tbEUlT_E_NS1_11comp_targetILNS1_3genE3ELNS1_11target_archE908ELNS1_3gpuE7ELNS1_3repE0EEENS1_30default_config_static_selectorELNS0_4arch9wavefront6targetE0EEEvSP_.private_seg_size, 0
	.set _ZN7rocprim17ROCPRIM_400000_NS6detail17trampoline_kernelINS0_14default_configENS1_32segmented_reduce_config_selectorIdEEZNS1_21segmented_reduce_implIS3_PKdPdPKldN6hipcub16HIPCUB_304000_NS6detail27convert_result_type_wrapperIS8_S9_N2at6native12_GLOBAL__N_19CustomMinEEEEE10hipError_tPvRmT0_T1_jT2_SQ_T4_T3_P12ihipStream_tbEUlT_E_NS1_11comp_targetILNS1_3genE3ELNS1_11target_archE908ELNS1_3gpuE7ELNS1_3repE0EEENS1_30default_config_static_selectorELNS0_4arch9wavefront6targetE0EEEvSP_.uses_vcc, 0
	.set _ZN7rocprim17ROCPRIM_400000_NS6detail17trampoline_kernelINS0_14default_configENS1_32segmented_reduce_config_selectorIdEEZNS1_21segmented_reduce_implIS3_PKdPdPKldN6hipcub16HIPCUB_304000_NS6detail27convert_result_type_wrapperIS8_S9_N2at6native12_GLOBAL__N_19CustomMinEEEEE10hipError_tPvRmT0_T1_jT2_SQ_T4_T3_P12ihipStream_tbEUlT_E_NS1_11comp_targetILNS1_3genE3ELNS1_11target_archE908ELNS1_3gpuE7ELNS1_3repE0EEENS1_30default_config_static_selectorELNS0_4arch9wavefront6targetE0EEEvSP_.uses_flat_scratch, 0
	.set _ZN7rocprim17ROCPRIM_400000_NS6detail17trampoline_kernelINS0_14default_configENS1_32segmented_reduce_config_selectorIdEEZNS1_21segmented_reduce_implIS3_PKdPdPKldN6hipcub16HIPCUB_304000_NS6detail27convert_result_type_wrapperIS8_S9_N2at6native12_GLOBAL__N_19CustomMinEEEEE10hipError_tPvRmT0_T1_jT2_SQ_T4_T3_P12ihipStream_tbEUlT_E_NS1_11comp_targetILNS1_3genE3ELNS1_11target_archE908ELNS1_3gpuE7ELNS1_3repE0EEENS1_30default_config_static_selectorELNS0_4arch9wavefront6targetE0EEEvSP_.has_dyn_sized_stack, 0
	.set _ZN7rocprim17ROCPRIM_400000_NS6detail17trampoline_kernelINS0_14default_configENS1_32segmented_reduce_config_selectorIdEEZNS1_21segmented_reduce_implIS3_PKdPdPKldN6hipcub16HIPCUB_304000_NS6detail27convert_result_type_wrapperIS8_S9_N2at6native12_GLOBAL__N_19CustomMinEEEEE10hipError_tPvRmT0_T1_jT2_SQ_T4_T3_P12ihipStream_tbEUlT_E_NS1_11comp_targetILNS1_3genE3ELNS1_11target_archE908ELNS1_3gpuE7ELNS1_3repE0EEENS1_30default_config_static_selectorELNS0_4arch9wavefront6targetE0EEEvSP_.has_recursion, 0
	.set _ZN7rocprim17ROCPRIM_400000_NS6detail17trampoline_kernelINS0_14default_configENS1_32segmented_reduce_config_selectorIdEEZNS1_21segmented_reduce_implIS3_PKdPdPKldN6hipcub16HIPCUB_304000_NS6detail27convert_result_type_wrapperIS8_S9_N2at6native12_GLOBAL__N_19CustomMinEEEEE10hipError_tPvRmT0_T1_jT2_SQ_T4_T3_P12ihipStream_tbEUlT_E_NS1_11comp_targetILNS1_3genE3ELNS1_11target_archE908ELNS1_3gpuE7ELNS1_3repE0EEENS1_30default_config_static_selectorELNS0_4arch9wavefront6targetE0EEEvSP_.has_indirect_call, 0
	.section	.AMDGPU.csdata,"",@progbits
; Kernel info:
; codeLenInByte = 0
; TotalNumSgprs: 0
; NumVgprs: 0
; ScratchSize: 0
; MemoryBound: 0
; FloatMode: 240
; IeeeMode: 1
; LDSByteSize: 0 bytes/workgroup (compile time only)
; SGPRBlocks: 0
; VGPRBlocks: 0
; NumSGPRsForWavesPerEU: 1
; NumVGPRsForWavesPerEU: 1
; Occupancy: 16
; WaveLimiterHint : 0
; COMPUTE_PGM_RSRC2:SCRATCH_EN: 0
; COMPUTE_PGM_RSRC2:USER_SGPR: 6
; COMPUTE_PGM_RSRC2:TRAP_HANDLER: 0
; COMPUTE_PGM_RSRC2:TGID_X_EN: 1
; COMPUTE_PGM_RSRC2:TGID_Y_EN: 0
; COMPUTE_PGM_RSRC2:TGID_Z_EN: 0
; COMPUTE_PGM_RSRC2:TIDIG_COMP_CNT: 0
	.section	.text._ZN7rocprim17ROCPRIM_400000_NS6detail17trampoline_kernelINS0_14default_configENS1_32segmented_reduce_config_selectorIdEEZNS1_21segmented_reduce_implIS3_PKdPdPKldN6hipcub16HIPCUB_304000_NS6detail27convert_result_type_wrapperIS8_S9_N2at6native12_GLOBAL__N_19CustomMinEEEEE10hipError_tPvRmT0_T1_jT2_SQ_T4_T3_P12ihipStream_tbEUlT_E_NS1_11comp_targetILNS1_3genE2ELNS1_11target_archE906ELNS1_3gpuE6ELNS1_3repE0EEENS1_30default_config_static_selectorELNS0_4arch9wavefront6targetE0EEEvSP_,"axG",@progbits,_ZN7rocprim17ROCPRIM_400000_NS6detail17trampoline_kernelINS0_14default_configENS1_32segmented_reduce_config_selectorIdEEZNS1_21segmented_reduce_implIS3_PKdPdPKldN6hipcub16HIPCUB_304000_NS6detail27convert_result_type_wrapperIS8_S9_N2at6native12_GLOBAL__N_19CustomMinEEEEE10hipError_tPvRmT0_T1_jT2_SQ_T4_T3_P12ihipStream_tbEUlT_E_NS1_11comp_targetILNS1_3genE2ELNS1_11target_archE906ELNS1_3gpuE6ELNS1_3repE0EEENS1_30default_config_static_selectorELNS0_4arch9wavefront6targetE0EEEvSP_,comdat
	.globl	_ZN7rocprim17ROCPRIM_400000_NS6detail17trampoline_kernelINS0_14default_configENS1_32segmented_reduce_config_selectorIdEEZNS1_21segmented_reduce_implIS3_PKdPdPKldN6hipcub16HIPCUB_304000_NS6detail27convert_result_type_wrapperIS8_S9_N2at6native12_GLOBAL__N_19CustomMinEEEEE10hipError_tPvRmT0_T1_jT2_SQ_T4_T3_P12ihipStream_tbEUlT_E_NS1_11comp_targetILNS1_3genE2ELNS1_11target_archE906ELNS1_3gpuE6ELNS1_3repE0EEENS1_30default_config_static_selectorELNS0_4arch9wavefront6targetE0EEEvSP_ ; -- Begin function _ZN7rocprim17ROCPRIM_400000_NS6detail17trampoline_kernelINS0_14default_configENS1_32segmented_reduce_config_selectorIdEEZNS1_21segmented_reduce_implIS3_PKdPdPKldN6hipcub16HIPCUB_304000_NS6detail27convert_result_type_wrapperIS8_S9_N2at6native12_GLOBAL__N_19CustomMinEEEEE10hipError_tPvRmT0_T1_jT2_SQ_T4_T3_P12ihipStream_tbEUlT_E_NS1_11comp_targetILNS1_3genE2ELNS1_11target_archE906ELNS1_3gpuE6ELNS1_3repE0EEENS1_30default_config_static_selectorELNS0_4arch9wavefront6targetE0EEEvSP_
	.p2align	8
	.type	_ZN7rocprim17ROCPRIM_400000_NS6detail17trampoline_kernelINS0_14default_configENS1_32segmented_reduce_config_selectorIdEEZNS1_21segmented_reduce_implIS3_PKdPdPKldN6hipcub16HIPCUB_304000_NS6detail27convert_result_type_wrapperIS8_S9_N2at6native12_GLOBAL__N_19CustomMinEEEEE10hipError_tPvRmT0_T1_jT2_SQ_T4_T3_P12ihipStream_tbEUlT_E_NS1_11comp_targetILNS1_3genE2ELNS1_11target_archE906ELNS1_3gpuE6ELNS1_3repE0EEENS1_30default_config_static_selectorELNS0_4arch9wavefront6targetE0EEEvSP_,@function
_ZN7rocprim17ROCPRIM_400000_NS6detail17trampoline_kernelINS0_14default_configENS1_32segmented_reduce_config_selectorIdEEZNS1_21segmented_reduce_implIS3_PKdPdPKldN6hipcub16HIPCUB_304000_NS6detail27convert_result_type_wrapperIS8_S9_N2at6native12_GLOBAL__N_19CustomMinEEEEE10hipError_tPvRmT0_T1_jT2_SQ_T4_T3_P12ihipStream_tbEUlT_E_NS1_11comp_targetILNS1_3genE2ELNS1_11target_archE906ELNS1_3gpuE6ELNS1_3repE0EEENS1_30default_config_static_selectorELNS0_4arch9wavefront6targetE0EEEvSP_: ; @_ZN7rocprim17ROCPRIM_400000_NS6detail17trampoline_kernelINS0_14default_configENS1_32segmented_reduce_config_selectorIdEEZNS1_21segmented_reduce_implIS3_PKdPdPKldN6hipcub16HIPCUB_304000_NS6detail27convert_result_type_wrapperIS8_S9_N2at6native12_GLOBAL__N_19CustomMinEEEEE10hipError_tPvRmT0_T1_jT2_SQ_T4_T3_P12ihipStream_tbEUlT_E_NS1_11comp_targetILNS1_3genE2ELNS1_11target_archE906ELNS1_3gpuE6ELNS1_3repE0EEENS1_30default_config_static_selectorELNS0_4arch9wavefront6targetE0EEEvSP_
; %bb.0:
	.section	.rodata,"a",@progbits
	.p2align	6, 0x0
	.amdhsa_kernel _ZN7rocprim17ROCPRIM_400000_NS6detail17trampoline_kernelINS0_14default_configENS1_32segmented_reduce_config_selectorIdEEZNS1_21segmented_reduce_implIS3_PKdPdPKldN6hipcub16HIPCUB_304000_NS6detail27convert_result_type_wrapperIS8_S9_N2at6native12_GLOBAL__N_19CustomMinEEEEE10hipError_tPvRmT0_T1_jT2_SQ_T4_T3_P12ihipStream_tbEUlT_E_NS1_11comp_targetILNS1_3genE2ELNS1_11target_archE906ELNS1_3gpuE6ELNS1_3repE0EEENS1_30default_config_static_selectorELNS0_4arch9wavefront6targetE0EEEvSP_
		.amdhsa_group_segment_fixed_size 0
		.amdhsa_private_segment_fixed_size 0
		.amdhsa_kernarg_size 56
		.amdhsa_user_sgpr_count 6
		.amdhsa_user_sgpr_private_segment_buffer 1
		.amdhsa_user_sgpr_dispatch_ptr 0
		.amdhsa_user_sgpr_queue_ptr 0
		.amdhsa_user_sgpr_kernarg_segment_ptr 1
		.amdhsa_user_sgpr_dispatch_id 0
		.amdhsa_user_sgpr_flat_scratch_init 0
		.amdhsa_user_sgpr_private_segment_size 0
		.amdhsa_wavefront_size32 1
		.amdhsa_uses_dynamic_stack 0
		.amdhsa_system_sgpr_private_segment_wavefront_offset 0
		.amdhsa_system_sgpr_workgroup_id_x 1
		.amdhsa_system_sgpr_workgroup_id_y 0
		.amdhsa_system_sgpr_workgroup_id_z 0
		.amdhsa_system_sgpr_workgroup_info 0
		.amdhsa_system_vgpr_workitem_id 0
		.amdhsa_next_free_vgpr 1
		.amdhsa_next_free_sgpr 1
		.amdhsa_reserve_vcc 0
		.amdhsa_reserve_flat_scratch 0
		.amdhsa_float_round_mode_32 0
		.amdhsa_float_round_mode_16_64 0
		.amdhsa_float_denorm_mode_32 3
		.amdhsa_float_denorm_mode_16_64 3
		.amdhsa_dx10_clamp 1
		.amdhsa_ieee_mode 1
		.amdhsa_fp16_overflow 0
		.amdhsa_workgroup_processor_mode 1
		.amdhsa_memory_ordered 1
		.amdhsa_forward_progress 1
		.amdhsa_shared_vgpr_count 0
		.amdhsa_exception_fp_ieee_invalid_op 0
		.amdhsa_exception_fp_denorm_src 0
		.amdhsa_exception_fp_ieee_div_zero 0
		.amdhsa_exception_fp_ieee_overflow 0
		.amdhsa_exception_fp_ieee_underflow 0
		.amdhsa_exception_fp_ieee_inexact 0
		.amdhsa_exception_int_div_zero 0
	.end_amdhsa_kernel
	.section	.text._ZN7rocprim17ROCPRIM_400000_NS6detail17trampoline_kernelINS0_14default_configENS1_32segmented_reduce_config_selectorIdEEZNS1_21segmented_reduce_implIS3_PKdPdPKldN6hipcub16HIPCUB_304000_NS6detail27convert_result_type_wrapperIS8_S9_N2at6native12_GLOBAL__N_19CustomMinEEEEE10hipError_tPvRmT0_T1_jT2_SQ_T4_T3_P12ihipStream_tbEUlT_E_NS1_11comp_targetILNS1_3genE2ELNS1_11target_archE906ELNS1_3gpuE6ELNS1_3repE0EEENS1_30default_config_static_selectorELNS0_4arch9wavefront6targetE0EEEvSP_,"axG",@progbits,_ZN7rocprim17ROCPRIM_400000_NS6detail17trampoline_kernelINS0_14default_configENS1_32segmented_reduce_config_selectorIdEEZNS1_21segmented_reduce_implIS3_PKdPdPKldN6hipcub16HIPCUB_304000_NS6detail27convert_result_type_wrapperIS8_S9_N2at6native12_GLOBAL__N_19CustomMinEEEEE10hipError_tPvRmT0_T1_jT2_SQ_T4_T3_P12ihipStream_tbEUlT_E_NS1_11comp_targetILNS1_3genE2ELNS1_11target_archE906ELNS1_3gpuE6ELNS1_3repE0EEENS1_30default_config_static_selectorELNS0_4arch9wavefront6targetE0EEEvSP_,comdat
.Lfunc_end167:
	.size	_ZN7rocprim17ROCPRIM_400000_NS6detail17trampoline_kernelINS0_14default_configENS1_32segmented_reduce_config_selectorIdEEZNS1_21segmented_reduce_implIS3_PKdPdPKldN6hipcub16HIPCUB_304000_NS6detail27convert_result_type_wrapperIS8_S9_N2at6native12_GLOBAL__N_19CustomMinEEEEE10hipError_tPvRmT0_T1_jT2_SQ_T4_T3_P12ihipStream_tbEUlT_E_NS1_11comp_targetILNS1_3genE2ELNS1_11target_archE906ELNS1_3gpuE6ELNS1_3repE0EEENS1_30default_config_static_selectorELNS0_4arch9wavefront6targetE0EEEvSP_, .Lfunc_end167-_ZN7rocprim17ROCPRIM_400000_NS6detail17trampoline_kernelINS0_14default_configENS1_32segmented_reduce_config_selectorIdEEZNS1_21segmented_reduce_implIS3_PKdPdPKldN6hipcub16HIPCUB_304000_NS6detail27convert_result_type_wrapperIS8_S9_N2at6native12_GLOBAL__N_19CustomMinEEEEE10hipError_tPvRmT0_T1_jT2_SQ_T4_T3_P12ihipStream_tbEUlT_E_NS1_11comp_targetILNS1_3genE2ELNS1_11target_archE906ELNS1_3gpuE6ELNS1_3repE0EEENS1_30default_config_static_selectorELNS0_4arch9wavefront6targetE0EEEvSP_
                                        ; -- End function
	.set _ZN7rocprim17ROCPRIM_400000_NS6detail17trampoline_kernelINS0_14default_configENS1_32segmented_reduce_config_selectorIdEEZNS1_21segmented_reduce_implIS3_PKdPdPKldN6hipcub16HIPCUB_304000_NS6detail27convert_result_type_wrapperIS8_S9_N2at6native12_GLOBAL__N_19CustomMinEEEEE10hipError_tPvRmT0_T1_jT2_SQ_T4_T3_P12ihipStream_tbEUlT_E_NS1_11comp_targetILNS1_3genE2ELNS1_11target_archE906ELNS1_3gpuE6ELNS1_3repE0EEENS1_30default_config_static_selectorELNS0_4arch9wavefront6targetE0EEEvSP_.num_vgpr, 0
	.set _ZN7rocprim17ROCPRIM_400000_NS6detail17trampoline_kernelINS0_14default_configENS1_32segmented_reduce_config_selectorIdEEZNS1_21segmented_reduce_implIS3_PKdPdPKldN6hipcub16HIPCUB_304000_NS6detail27convert_result_type_wrapperIS8_S9_N2at6native12_GLOBAL__N_19CustomMinEEEEE10hipError_tPvRmT0_T1_jT2_SQ_T4_T3_P12ihipStream_tbEUlT_E_NS1_11comp_targetILNS1_3genE2ELNS1_11target_archE906ELNS1_3gpuE6ELNS1_3repE0EEENS1_30default_config_static_selectorELNS0_4arch9wavefront6targetE0EEEvSP_.num_agpr, 0
	.set _ZN7rocprim17ROCPRIM_400000_NS6detail17trampoline_kernelINS0_14default_configENS1_32segmented_reduce_config_selectorIdEEZNS1_21segmented_reduce_implIS3_PKdPdPKldN6hipcub16HIPCUB_304000_NS6detail27convert_result_type_wrapperIS8_S9_N2at6native12_GLOBAL__N_19CustomMinEEEEE10hipError_tPvRmT0_T1_jT2_SQ_T4_T3_P12ihipStream_tbEUlT_E_NS1_11comp_targetILNS1_3genE2ELNS1_11target_archE906ELNS1_3gpuE6ELNS1_3repE0EEENS1_30default_config_static_selectorELNS0_4arch9wavefront6targetE0EEEvSP_.numbered_sgpr, 0
	.set _ZN7rocprim17ROCPRIM_400000_NS6detail17trampoline_kernelINS0_14default_configENS1_32segmented_reduce_config_selectorIdEEZNS1_21segmented_reduce_implIS3_PKdPdPKldN6hipcub16HIPCUB_304000_NS6detail27convert_result_type_wrapperIS8_S9_N2at6native12_GLOBAL__N_19CustomMinEEEEE10hipError_tPvRmT0_T1_jT2_SQ_T4_T3_P12ihipStream_tbEUlT_E_NS1_11comp_targetILNS1_3genE2ELNS1_11target_archE906ELNS1_3gpuE6ELNS1_3repE0EEENS1_30default_config_static_selectorELNS0_4arch9wavefront6targetE0EEEvSP_.num_named_barrier, 0
	.set _ZN7rocprim17ROCPRIM_400000_NS6detail17trampoline_kernelINS0_14default_configENS1_32segmented_reduce_config_selectorIdEEZNS1_21segmented_reduce_implIS3_PKdPdPKldN6hipcub16HIPCUB_304000_NS6detail27convert_result_type_wrapperIS8_S9_N2at6native12_GLOBAL__N_19CustomMinEEEEE10hipError_tPvRmT0_T1_jT2_SQ_T4_T3_P12ihipStream_tbEUlT_E_NS1_11comp_targetILNS1_3genE2ELNS1_11target_archE906ELNS1_3gpuE6ELNS1_3repE0EEENS1_30default_config_static_selectorELNS0_4arch9wavefront6targetE0EEEvSP_.private_seg_size, 0
	.set _ZN7rocprim17ROCPRIM_400000_NS6detail17trampoline_kernelINS0_14default_configENS1_32segmented_reduce_config_selectorIdEEZNS1_21segmented_reduce_implIS3_PKdPdPKldN6hipcub16HIPCUB_304000_NS6detail27convert_result_type_wrapperIS8_S9_N2at6native12_GLOBAL__N_19CustomMinEEEEE10hipError_tPvRmT0_T1_jT2_SQ_T4_T3_P12ihipStream_tbEUlT_E_NS1_11comp_targetILNS1_3genE2ELNS1_11target_archE906ELNS1_3gpuE6ELNS1_3repE0EEENS1_30default_config_static_selectorELNS0_4arch9wavefront6targetE0EEEvSP_.uses_vcc, 0
	.set _ZN7rocprim17ROCPRIM_400000_NS6detail17trampoline_kernelINS0_14default_configENS1_32segmented_reduce_config_selectorIdEEZNS1_21segmented_reduce_implIS3_PKdPdPKldN6hipcub16HIPCUB_304000_NS6detail27convert_result_type_wrapperIS8_S9_N2at6native12_GLOBAL__N_19CustomMinEEEEE10hipError_tPvRmT0_T1_jT2_SQ_T4_T3_P12ihipStream_tbEUlT_E_NS1_11comp_targetILNS1_3genE2ELNS1_11target_archE906ELNS1_3gpuE6ELNS1_3repE0EEENS1_30default_config_static_selectorELNS0_4arch9wavefront6targetE0EEEvSP_.uses_flat_scratch, 0
	.set _ZN7rocprim17ROCPRIM_400000_NS6detail17trampoline_kernelINS0_14default_configENS1_32segmented_reduce_config_selectorIdEEZNS1_21segmented_reduce_implIS3_PKdPdPKldN6hipcub16HIPCUB_304000_NS6detail27convert_result_type_wrapperIS8_S9_N2at6native12_GLOBAL__N_19CustomMinEEEEE10hipError_tPvRmT0_T1_jT2_SQ_T4_T3_P12ihipStream_tbEUlT_E_NS1_11comp_targetILNS1_3genE2ELNS1_11target_archE906ELNS1_3gpuE6ELNS1_3repE0EEENS1_30default_config_static_selectorELNS0_4arch9wavefront6targetE0EEEvSP_.has_dyn_sized_stack, 0
	.set _ZN7rocprim17ROCPRIM_400000_NS6detail17trampoline_kernelINS0_14default_configENS1_32segmented_reduce_config_selectorIdEEZNS1_21segmented_reduce_implIS3_PKdPdPKldN6hipcub16HIPCUB_304000_NS6detail27convert_result_type_wrapperIS8_S9_N2at6native12_GLOBAL__N_19CustomMinEEEEE10hipError_tPvRmT0_T1_jT2_SQ_T4_T3_P12ihipStream_tbEUlT_E_NS1_11comp_targetILNS1_3genE2ELNS1_11target_archE906ELNS1_3gpuE6ELNS1_3repE0EEENS1_30default_config_static_selectorELNS0_4arch9wavefront6targetE0EEEvSP_.has_recursion, 0
	.set _ZN7rocprim17ROCPRIM_400000_NS6detail17trampoline_kernelINS0_14default_configENS1_32segmented_reduce_config_selectorIdEEZNS1_21segmented_reduce_implIS3_PKdPdPKldN6hipcub16HIPCUB_304000_NS6detail27convert_result_type_wrapperIS8_S9_N2at6native12_GLOBAL__N_19CustomMinEEEEE10hipError_tPvRmT0_T1_jT2_SQ_T4_T3_P12ihipStream_tbEUlT_E_NS1_11comp_targetILNS1_3genE2ELNS1_11target_archE906ELNS1_3gpuE6ELNS1_3repE0EEENS1_30default_config_static_selectorELNS0_4arch9wavefront6targetE0EEEvSP_.has_indirect_call, 0
	.section	.AMDGPU.csdata,"",@progbits
; Kernel info:
; codeLenInByte = 0
; TotalNumSgprs: 0
; NumVgprs: 0
; ScratchSize: 0
; MemoryBound: 0
; FloatMode: 240
; IeeeMode: 1
; LDSByteSize: 0 bytes/workgroup (compile time only)
; SGPRBlocks: 0
; VGPRBlocks: 0
; NumSGPRsForWavesPerEU: 1
; NumVGPRsForWavesPerEU: 1
; Occupancy: 16
; WaveLimiterHint : 0
; COMPUTE_PGM_RSRC2:SCRATCH_EN: 0
; COMPUTE_PGM_RSRC2:USER_SGPR: 6
; COMPUTE_PGM_RSRC2:TRAP_HANDLER: 0
; COMPUTE_PGM_RSRC2:TGID_X_EN: 1
; COMPUTE_PGM_RSRC2:TGID_Y_EN: 0
; COMPUTE_PGM_RSRC2:TGID_Z_EN: 0
; COMPUTE_PGM_RSRC2:TIDIG_COMP_CNT: 0
	.section	.text._ZN7rocprim17ROCPRIM_400000_NS6detail17trampoline_kernelINS0_14default_configENS1_32segmented_reduce_config_selectorIdEEZNS1_21segmented_reduce_implIS3_PKdPdPKldN6hipcub16HIPCUB_304000_NS6detail27convert_result_type_wrapperIS8_S9_N2at6native12_GLOBAL__N_19CustomMinEEEEE10hipError_tPvRmT0_T1_jT2_SQ_T4_T3_P12ihipStream_tbEUlT_E_NS1_11comp_targetILNS1_3genE9ELNS1_11target_archE1100ELNS1_3gpuE3ELNS1_3repE0EEENS1_30default_config_static_selectorELNS0_4arch9wavefront6targetE0EEEvSP_,"axG",@progbits,_ZN7rocprim17ROCPRIM_400000_NS6detail17trampoline_kernelINS0_14default_configENS1_32segmented_reduce_config_selectorIdEEZNS1_21segmented_reduce_implIS3_PKdPdPKldN6hipcub16HIPCUB_304000_NS6detail27convert_result_type_wrapperIS8_S9_N2at6native12_GLOBAL__N_19CustomMinEEEEE10hipError_tPvRmT0_T1_jT2_SQ_T4_T3_P12ihipStream_tbEUlT_E_NS1_11comp_targetILNS1_3genE9ELNS1_11target_archE1100ELNS1_3gpuE3ELNS1_3repE0EEENS1_30default_config_static_selectorELNS0_4arch9wavefront6targetE0EEEvSP_,comdat
	.globl	_ZN7rocprim17ROCPRIM_400000_NS6detail17trampoline_kernelINS0_14default_configENS1_32segmented_reduce_config_selectorIdEEZNS1_21segmented_reduce_implIS3_PKdPdPKldN6hipcub16HIPCUB_304000_NS6detail27convert_result_type_wrapperIS8_S9_N2at6native12_GLOBAL__N_19CustomMinEEEEE10hipError_tPvRmT0_T1_jT2_SQ_T4_T3_P12ihipStream_tbEUlT_E_NS1_11comp_targetILNS1_3genE9ELNS1_11target_archE1100ELNS1_3gpuE3ELNS1_3repE0EEENS1_30default_config_static_selectorELNS0_4arch9wavefront6targetE0EEEvSP_ ; -- Begin function _ZN7rocprim17ROCPRIM_400000_NS6detail17trampoline_kernelINS0_14default_configENS1_32segmented_reduce_config_selectorIdEEZNS1_21segmented_reduce_implIS3_PKdPdPKldN6hipcub16HIPCUB_304000_NS6detail27convert_result_type_wrapperIS8_S9_N2at6native12_GLOBAL__N_19CustomMinEEEEE10hipError_tPvRmT0_T1_jT2_SQ_T4_T3_P12ihipStream_tbEUlT_E_NS1_11comp_targetILNS1_3genE9ELNS1_11target_archE1100ELNS1_3gpuE3ELNS1_3repE0EEENS1_30default_config_static_selectorELNS0_4arch9wavefront6targetE0EEEvSP_
	.p2align	8
	.type	_ZN7rocprim17ROCPRIM_400000_NS6detail17trampoline_kernelINS0_14default_configENS1_32segmented_reduce_config_selectorIdEEZNS1_21segmented_reduce_implIS3_PKdPdPKldN6hipcub16HIPCUB_304000_NS6detail27convert_result_type_wrapperIS8_S9_N2at6native12_GLOBAL__N_19CustomMinEEEEE10hipError_tPvRmT0_T1_jT2_SQ_T4_T3_P12ihipStream_tbEUlT_E_NS1_11comp_targetILNS1_3genE9ELNS1_11target_archE1100ELNS1_3gpuE3ELNS1_3repE0EEENS1_30default_config_static_selectorELNS0_4arch9wavefront6targetE0EEEvSP_,@function
_ZN7rocprim17ROCPRIM_400000_NS6detail17trampoline_kernelINS0_14default_configENS1_32segmented_reduce_config_selectorIdEEZNS1_21segmented_reduce_implIS3_PKdPdPKldN6hipcub16HIPCUB_304000_NS6detail27convert_result_type_wrapperIS8_S9_N2at6native12_GLOBAL__N_19CustomMinEEEEE10hipError_tPvRmT0_T1_jT2_SQ_T4_T3_P12ihipStream_tbEUlT_E_NS1_11comp_targetILNS1_3genE9ELNS1_11target_archE1100ELNS1_3gpuE3ELNS1_3repE0EEENS1_30default_config_static_selectorELNS0_4arch9wavefront6targetE0EEEvSP_: ; @_ZN7rocprim17ROCPRIM_400000_NS6detail17trampoline_kernelINS0_14default_configENS1_32segmented_reduce_config_selectorIdEEZNS1_21segmented_reduce_implIS3_PKdPdPKldN6hipcub16HIPCUB_304000_NS6detail27convert_result_type_wrapperIS8_S9_N2at6native12_GLOBAL__N_19CustomMinEEEEE10hipError_tPvRmT0_T1_jT2_SQ_T4_T3_P12ihipStream_tbEUlT_E_NS1_11comp_targetILNS1_3genE9ELNS1_11target_archE1100ELNS1_3gpuE3ELNS1_3repE0EEENS1_30default_config_static_selectorELNS0_4arch9wavefront6targetE0EEEvSP_
; %bb.0:
	.section	.rodata,"a",@progbits
	.p2align	6, 0x0
	.amdhsa_kernel _ZN7rocprim17ROCPRIM_400000_NS6detail17trampoline_kernelINS0_14default_configENS1_32segmented_reduce_config_selectorIdEEZNS1_21segmented_reduce_implIS3_PKdPdPKldN6hipcub16HIPCUB_304000_NS6detail27convert_result_type_wrapperIS8_S9_N2at6native12_GLOBAL__N_19CustomMinEEEEE10hipError_tPvRmT0_T1_jT2_SQ_T4_T3_P12ihipStream_tbEUlT_E_NS1_11comp_targetILNS1_3genE9ELNS1_11target_archE1100ELNS1_3gpuE3ELNS1_3repE0EEENS1_30default_config_static_selectorELNS0_4arch9wavefront6targetE0EEEvSP_
		.amdhsa_group_segment_fixed_size 0
		.amdhsa_private_segment_fixed_size 0
		.amdhsa_kernarg_size 56
		.amdhsa_user_sgpr_count 6
		.amdhsa_user_sgpr_private_segment_buffer 1
		.amdhsa_user_sgpr_dispatch_ptr 0
		.amdhsa_user_sgpr_queue_ptr 0
		.amdhsa_user_sgpr_kernarg_segment_ptr 1
		.amdhsa_user_sgpr_dispatch_id 0
		.amdhsa_user_sgpr_flat_scratch_init 0
		.amdhsa_user_sgpr_private_segment_size 0
		.amdhsa_wavefront_size32 1
		.amdhsa_uses_dynamic_stack 0
		.amdhsa_system_sgpr_private_segment_wavefront_offset 0
		.amdhsa_system_sgpr_workgroup_id_x 1
		.amdhsa_system_sgpr_workgroup_id_y 0
		.amdhsa_system_sgpr_workgroup_id_z 0
		.amdhsa_system_sgpr_workgroup_info 0
		.amdhsa_system_vgpr_workitem_id 0
		.amdhsa_next_free_vgpr 1
		.amdhsa_next_free_sgpr 1
		.amdhsa_reserve_vcc 0
		.amdhsa_reserve_flat_scratch 0
		.amdhsa_float_round_mode_32 0
		.amdhsa_float_round_mode_16_64 0
		.amdhsa_float_denorm_mode_32 3
		.amdhsa_float_denorm_mode_16_64 3
		.amdhsa_dx10_clamp 1
		.amdhsa_ieee_mode 1
		.amdhsa_fp16_overflow 0
		.amdhsa_workgroup_processor_mode 1
		.amdhsa_memory_ordered 1
		.amdhsa_forward_progress 1
		.amdhsa_shared_vgpr_count 0
		.amdhsa_exception_fp_ieee_invalid_op 0
		.amdhsa_exception_fp_denorm_src 0
		.amdhsa_exception_fp_ieee_div_zero 0
		.amdhsa_exception_fp_ieee_overflow 0
		.amdhsa_exception_fp_ieee_underflow 0
		.amdhsa_exception_fp_ieee_inexact 0
		.amdhsa_exception_int_div_zero 0
	.end_amdhsa_kernel
	.section	.text._ZN7rocprim17ROCPRIM_400000_NS6detail17trampoline_kernelINS0_14default_configENS1_32segmented_reduce_config_selectorIdEEZNS1_21segmented_reduce_implIS3_PKdPdPKldN6hipcub16HIPCUB_304000_NS6detail27convert_result_type_wrapperIS8_S9_N2at6native12_GLOBAL__N_19CustomMinEEEEE10hipError_tPvRmT0_T1_jT2_SQ_T4_T3_P12ihipStream_tbEUlT_E_NS1_11comp_targetILNS1_3genE9ELNS1_11target_archE1100ELNS1_3gpuE3ELNS1_3repE0EEENS1_30default_config_static_selectorELNS0_4arch9wavefront6targetE0EEEvSP_,"axG",@progbits,_ZN7rocprim17ROCPRIM_400000_NS6detail17trampoline_kernelINS0_14default_configENS1_32segmented_reduce_config_selectorIdEEZNS1_21segmented_reduce_implIS3_PKdPdPKldN6hipcub16HIPCUB_304000_NS6detail27convert_result_type_wrapperIS8_S9_N2at6native12_GLOBAL__N_19CustomMinEEEEE10hipError_tPvRmT0_T1_jT2_SQ_T4_T3_P12ihipStream_tbEUlT_E_NS1_11comp_targetILNS1_3genE9ELNS1_11target_archE1100ELNS1_3gpuE3ELNS1_3repE0EEENS1_30default_config_static_selectorELNS0_4arch9wavefront6targetE0EEEvSP_,comdat
.Lfunc_end168:
	.size	_ZN7rocprim17ROCPRIM_400000_NS6detail17trampoline_kernelINS0_14default_configENS1_32segmented_reduce_config_selectorIdEEZNS1_21segmented_reduce_implIS3_PKdPdPKldN6hipcub16HIPCUB_304000_NS6detail27convert_result_type_wrapperIS8_S9_N2at6native12_GLOBAL__N_19CustomMinEEEEE10hipError_tPvRmT0_T1_jT2_SQ_T4_T3_P12ihipStream_tbEUlT_E_NS1_11comp_targetILNS1_3genE9ELNS1_11target_archE1100ELNS1_3gpuE3ELNS1_3repE0EEENS1_30default_config_static_selectorELNS0_4arch9wavefront6targetE0EEEvSP_, .Lfunc_end168-_ZN7rocprim17ROCPRIM_400000_NS6detail17trampoline_kernelINS0_14default_configENS1_32segmented_reduce_config_selectorIdEEZNS1_21segmented_reduce_implIS3_PKdPdPKldN6hipcub16HIPCUB_304000_NS6detail27convert_result_type_wrapperIS8_S9_N2at6native12_GLOBAL__N_19CustomMinEEEEE10hipError_tPvRmT0_T1_jT2_SQ_T4_T3_P12ihipStream_tbEUlT_E_NS1_11comp_targetILNS1_3genE9ELNS1_11target_archE1100ELNS1_3gpuE3ELNS1_3repE0EEENS1_30default_config_static_selectorELNS0_4arch9wavefront6targetE0EEEvSP_
                                        ; -- End function
	.set _ZN7rocprim17ROCPRIM_400000_NS6detail17trampoline_kernelINS0_14default_configENS1_32segmented_reduce_config_selectorIdEEZNS1_21segmented_reduce_implIS3_PKdPdPKldN6hipcub16HIPCUB_304000_NS6detail27convert_result_type_wrapperIS8_S9_N2at6native12_GLOBAL__N_19CustomMinEEEEE10hipError_tPvRmT0_T1_jT2_SQ_T4_T3_P12ihipStream_tbEUlT_E_NS1_11comp_targetILNS1_3genE9ELNS1_11target_archE1100ELNS1_3gpuE3ELNS1_3repE0EEENS1_30default_config_static_selectorELNS0_4arch9wavefront6targetE0EEEvSP_.num_vgpr, 0
	.set _ZN7rocprim17ROCPRIM_400000_NS6detail17trampoline_kernelINS0_14default_configENS1_32segmented_reduce_config_selectorIdEEZNS1_21segmented_reduce_implIS3_PKdPdPKldN6hipcub16HIPCUB_304000_NS6detail27convert_result_type_wrapperIS8_S9_N2at6native12_GLOBAL__N_19CustomMinEEEEE10hipError_tPvRmT0_T1_jT2_SQ_T4_T3_P12ihipStream_tbEUlT_E_NS1_11comp_targetILNS1_3genE9ELNS1_11target_archE1100ELNS1_3gpuE3ELNS1_3repE0EEENS1_30default_config_static_selectorELNS0_4arch9wavefront6targetE0EEEvSP_.num_agpr, 0
	.set _ZN7rocprim17ROCPRIM_400000_NS6detail17trampoline_kernelINS0_14default_configENS1_32segmented_reduce_config_selectorIdEEZNS1_21segmented_reduce_implIS3_PKdPdPKldN6hipcub16HIPCUB_304000_NS6detail27convert_result_type_wrapperIS8_S9_N2at6native12_GLOBAL__N_19CustomMinEEEEE10hipError_tPvRmT0_T1_jT2_SQ_T4_T3_P12ihipStream_tbEUlT_E_NS1_11comp_targetILNS1_3genE9ELNS1_11target_archE1100ELNS1_3gpuE3ELNS1_3repE0EEENS1_30default_config_static_selectorELNS0_4arch9wavefront6targetE0EEEvSP_.numbered_sgpr, 0
	.set _ZN7rocprim17ROCPRIM_400000_NS6detail17trampoline_kernelINS0_14default_configENS1_32segmented_reduce_config_selectorIdEEZNS1_21segmented_reduce_implIS3_PKdPdPKldN6hipcub16HIPCUB_304000_NS6detail27convert_result_type_wrapperIS8_S9_N2at6native12_GLOBAL__N_19CustomMinEEEEE10hipError_tPvRmT0_T1_jT2_SQ_T4_T3_P12ihipStream_tbEUlT_E_NS1_11comp_targetILNS1_3genE9ELNS1_11target_archE1100ELNS1_3gpuE3ELNS1_3repE0EEENS1_30default_config_static_selectorELNS0_4arch9wavefront6targetE0EEEvSP_.num_named_barrier, 0
	.set _ZN7rocprim17ROCPRIM_400000_NS6detail17trampoline_kernelINS0_14default_configENS1_32segmented_reduce_config_selectorIdEEZNS1_21segmented_reduce_implIS3_PKdPdPKldN6hipcub16HIPCUB_304000_NS6detail27convert_result_type_wrapperIS8_S9_N2at6native12_GLOBAL__N_19CustomMinEEEEE10hipError_tPvRmT0_T1_jT2_SQ_T4_T3_P12ihipStream_tbEUlT_E_NS1_11comp_targetILNS1_3genE9ELNS1_11target_archE1100ELNS1_3gpuE3ELNS1_3repE0EEENS1_30default_config_static_selectorELNS0_4arch9wavefront6targetE0EEEvSP_.private_seg_size, 0
	.set _ZN7rocprim17ROCPRIM_400000_NS6detail17trampoline_kernelINS0_14default_configENS1_32segmented_reduce_config_selectorIdEEZNS1_21segmented_reduce_implIS3_PKdPdPKldN6hipcub16HIPCUB_304000_NS6detail27convert_result_type_wrapperIS8_S9_N2at6native12_GLOBAL__N_19CustomMinEEEEE10hipError_tPvRmT0_T1_jT2_SQ_T4_T3_P12ihipStream_tbEUlT_E_NS1_11comp_targetILNS1_3genE9ELNS1_11target_archE1100ELNS1_3gpuE3ELNS1_3repE0EEENS1_30default_config_static_selectorELNS0_4arch9wavefront6targetE0EEEvSP_.uses_vcc, 0
	.set _ZN7rocprim17ROCPRIM_400000_NS6detail17trampoline_kernelINS0_14default_configENS1_32segmented_reduce_config_selectorIdEEZNS1_21segmented_reduce_implIS3_PKdPdPKldN6hipcub16HIPCUB_304000_NS6detail27convert_result_type_wrapperIS8_S9_N2at6native12_GLOBAL__N_19CustomMinEEEEE10hipError_tPvRmT0_T1_jT2_SQ_T4_T3_P12ihipStream_tbEUlT_E_NS1_11comp_targetILNS1_3genE9ELNS1_11target_archE1100ELNS1_3gpuE3ELNS1_3repE0EEENS1_30default_config_static_selectorELNS0_4arch9wavefront6targetE0EEEvSP_.uses_flat_scratch, 0
	.set _ZN7rocprim17ROCPRIM_400000_NS6detail17trampoline_kernelINS0_14default_configENS1_32segmented_reduce_config_selectorIdEEZNS1_21segmented_reduce_implIS3_PKdPdPKldN6hipcub16HIPCUB_304000_NS6detail27convert_result_type_wrapperIS8_S9_N2at6native12_GLOBAL__N_19CustomMinEEEEE10hipError_tPvRmT0_T1_jT2_SQ_T4_T3_P12ihipStream_tbEUlT_E_NS1_11comp_targetILNS1_3genE9ELNS1_11target_archE1100ELNS1_3gpuE3ELNS1_3repE0EEENS1_30default_config_static_selectorELNS0_4arch9wavefront6targetE0EEEvSP_.has_dyn_sized_stack, 0
	.set _ZN7rocprim17ROCPRIM_400000_NS6detail17trampoline_kernelINS0_14default_configENS1_32segmented_reduce_config_selectorIdEEZNS1_21segmented_reduce_implIS3_PKdPdPKldN6hipcub16HIPCUB_304000_NS6detail27convert_result_type_wrapperIS8_S9_N2at6native12_GLOBAL__N_19CustomMinEEEEE10hipError_tPvRmT0_T1_jT2_SQ_T4_T3_P12ihipStream_tbEUlT_E_NS1_11comp_targetILNS1_3genE9ELNS1_11target_archE1100ELNS1_3gpuE3ELNS1_3repE0EEENS1_30default_config_static_selectorELNS0_4arch9wavefront6targetE0EEEvSP_.has_recursion, 0
	.set _ZN7rocprim17ROCPRIM_400000_NS6detail17trampoline_kernelINS0_14default_configENS1_32segmented_reduce_config_selectorIdEEZNS1_21segmented_reduce_implIS3_PKdPdPKldN6hipcub16HIPCUB_304000_NS6detail27convert_result_type_wrapperIS8_S9_N2at6native12_GLOBAL__N_19CustomMinEEEEE10hipError_tPvRmT0_T1_jT2_SQ_T4_T3_P12ihipStream_tbEUlT_E_NS1_11comp_targetILNS1_3genE9ELNS1_11target_archE1100ELNS1_3gpuE3ELNS1_3repE0EEENS1_30default_config_static_selectorELNS0_4arch9wavefront6targetE0EEEvSP_.has_indirect_call, 0
	.section	.AMDGPU.csdata,"",@progbits
; Kernel info:
; codeLenInByte = 0
; TotalNumSgprs: 0
; NumVgprs: 0
; ScratchSize: 0
; MemoryBound: 0
; FloatMode: 240
; IeeeMode: 1
; LDSByteSize: 0 bytes/workgroup (compile time only)
; SGPRBlocks: 0
; VGPRBlocks: 0
; NumSGPRsForWavesPerEU: 1
; NumVGPRsForWavesPerEU: 1
; Occupancy: 16
; WaveLimiterHint : 0
; COMPUTE_PGM_RSRC2:SCRATCH_EN: 0
; COMPUTE_PGM_RSRC2:USER_SGPR: 6
; COMPUTE_PGM_RSRC2:TRAP_HANDLER: 0
; COMPUTE_PGM_RSRC2:TGID_X_EN: 1
; COMPUTE_PGM_RSRC2:TGID_Y_EN: 0
; COMPUTE_PGM_RSRC2:TGID_Z_EN: 0
; COMPUTE_PGM_RSRC2:TIDIG_COMP_CNT: 0
	.section	.text._ZN7rocprim17ROCPRIM_400000_NS6detail17trampoline_kernelINS0_14default_configENS1_32segmented_reduce_config_selectorIdEEZNS1_21segmented_reduce_implIS3_PKdPdPKldN6hipcub16HIPCUB_304000_NS6detail27convert_result_type_wrapperIS8_S9_N2at6native12_GLOBAL__N_19CustomMinEEEEE10hipError_tPvRmT0_T1_jT2_SQ_T4_T3_P12ihipStream_tbEUlT_E_NS1_11comp_targetILNS1_3genE8ELNS1_11target_archE1030ELNS1_3gpuE2ELNS1_3repE0EEENS1_30default_config_static_selectorELNS0_4arch9wavefront6targetE0EEEvSP_,"axG",@progbits,_ZN7rocprim17ROCPRIM_400000_NS6detail17trampoline_kernelINS0_14default_configENS1_32segmented_reduce_config_selectorIdEEZNS1_21segmented_reduce_implIS3_PKdPdPKldN6hipcub16HIPCUB_304000_NS6detail27convert_result_type_wrapperIS8_S9_N2at6native12_GLOBAL__N_19CustomMinEEEEE10hipError_tPvRmT0_T1_jT2_SQ_T4_T3_P12ihipStream_tbEUlT_E_NS1_11comp_targetILNS1_3genE8ELNS1_11target_archE1030ELNS1_3gpuE2ELNS1_3repE0EEENS1_30default_config_static_selectorELNS0_4arch9wavefront6targetE0EEEvSP_,comdat
	.globl	_ZN7rocprim17ROCPRIM_400000_NS6detail17trampoline_kernelINS0_14default_configENS1_32segmented_reduce_config_selectorIdEEZNS1_21segmented_reduce_implIS3_PKdPdPKldN6hipcub16HIPCUB_304000_NS6detail27convert_result_type_wrapperIS8_S9_N2at6native12_GLOBAL__N_19CustomMinEEEEE10hipError_tPvRmT0_T1_jT2_SQ_T4_T3_P12ihipStream_tbEUlT_E_NS1_11comp_targetILNS1_3genE8ELNS1_11target_archE1030ELNS1_3gpuE2ELNS1_3repE0EEENS1_30default_config_static_selectorELNS0_4arch9wavefront6targetE0EEEvSP_ ; -- Begin function _ZN7rocprim17ROCPRIM_400000_NS6detail17trampoline_kernelINS0_14default_configENS1_32segmented_reduce_config_selectorIdEEZNS1_21segmented_reduce_implIS3_PKdPdPKldN6hipcub16HIPCUB_304000_NS6detail27convert_result_type_wrapperIS8_S9_N2at6native12_GLOBAL__N_19CustomMinEEEEE10hipError_tPvRmT0_T1_jT2_SQ_T4_T3_P12ihipStream_tbEUlT_E_NS1_11comp_targetILNS1_3genE8ELNS1_11target_archE1030ELNS1_3gpuE2ELNS1_3repE0EEENS1_30default_config_static_selectorELNS0_4arch9wavefront6targetE0EEEvSP_
	.p2align	8
	.type	_ZN7rocprim17ROCPRIM_400000_NS6detail17trampoline_kernelINS0_14default_configENS1_32segmented_reduce_config_selectorIdEEZNS1_21segmented_reduce_implIS3_PKdPdPKldN6hipcub16HIPCUB_304000_NS6detail27convert_result_type_wrapperIS8_S9_N2at6native12_GLOBAL__N_19CustomMinEEEEE10hipError_tPvRmT0_T1_jT2_SQ_T4_T3_P12ihipStream_tbEUlT_E_NS1_11comp_targetILNS1_3genE8ELNS1_11target_archE1030ELNS1_3gpuE2ELNS1_3repE0EEENS1_30default_config_static_selectorELNS0_4arch9wavefront6targetE0EEEvSP_,@function
_ZN7rocprim17ROCPRIM_400000_NS6detail17trampoline_kernelINS0_14default_configENS1_32segmented_reduce_config_selectorIdEEZNS1_21segmented_reduce_implIS3_PKdPdPKldN6hipcub16HIPCUB_304000_NS6detail27convert_result_type_wrapperIS8_S9_N2at6native12_GLOBAL__N_19CustomMinEEEEE10hipError_tPvRmT0_T1_jT2_SQ_T4_T3_P12ihipStream_tbEUlT_E_NS1_11comp_targetILNS1_3genE8ELNS1_11target_archE1030ELNS1_3gpuE2ELNS1_3repE0EEENS1_30default_config_static_selectorELNS0_4arch9wavefront6targetE0EEEvSP_: ; @_ZN7rocprim17ROCPRIM_400000_NS6detail17trampoline_kernelINS0_14default_configENS1_32segmented_reduce_config_selectorIdEEZNS1_21segmented_reduce_implIS3_PKdPdPKldN6hipcub16HIPCUB_304000_NS6detail27convert_result_type_wrapperIS8_S9_N2at6native12_GLOBAL__N_19CustomMinEEEEE10hipError_tPvRmT0_T1_jT2_SQ_T4_T3_P12ihipStream_tbEUlT_E_NS1_11comp_targetILNS1_3genE8ELNS1_11target_archE1030ELNS1_3gpuE2ELNS1_3repE0EEENS1_30default_config_static_selectorELNS0_4arch9wavefront6targetE0EEEvSP_
; %bb.0:
	s_clause 0x1
	s_load_dwordx8 s[8:15], s[4:5], 0x0
	s_load_dwordx2 s[0:1], s[4:5], 0x20
	s_mov_b32 s7, 0
	s_waitcnt lgkmcnt(0)
	s_lshl_b64 s[2:3], s[12:13], 3
	s_load_dwordx2 s[12:13], s[4:5], 0x30
	s_add_u32 s14, s14, s2
	s_addc_u32 s15, s15, s3
	s_add_u32 s16, s0, s2
	s_addc_u32 s17, s1, s3
	s_lshl_b64 s[4:5], s[6:7], 3
	s_add_u32 s0, s14, s4
	s_addc_u32 s1, s15, s5
	s_add_u32 s14, s16, s4
	s_addc_u32 s15, s17, s5
	s_load_dwordx2 s[16:17], s[0:1], 0x0
	s_load_dwordx2 s[14:15], s[14:15], 0x0
	s_mov_b32 s1, -1
	s_waitcnt lgkmcnt(0)
	v_cmp_gt_i64_e64 s0, s[14:15], s[16:17]
	s_and_b32 vcc_lo, exec_lo, s0
	v_cmp_eq_u32_e64 s0, 0, v0
	s_cbranch_vccnz .LBB169_2
; %bb.1:
	s_mov_b32 s1, 0
	s_and_b32 s7, s0, exec_lo
.LBB169_2:
	s_andn2_b32 vcc_lo, exec_lo, s1
	s_cbranch_vccnz .LBB169_132
; %bb.3:
	s_add_u32 s0, s16, 0x1000
	s_addc_u32 s1, s17, 0
	v_cmp_le_i64_e64 s6, s[0:1], s[14:15]
	s_and_b32 vcc_lo, exec_lo, s6
	s_cbranch_vccz .LBB169_133
; %bb.4:
	v_lshlrev_b32_e32 v39, 3, v0
	s_lshl_b64 s[18:19], s[16:17], 3
	s_add_u32 s20, s8, s18
	s_addc_u32 s21, s9, s19
	v_add_co_u32 v29, s6, s20, v39
	v_add_co_ci_u32_e64 v30, null, s21, 0, s6
	global_load_dwordx2 v[31:32], v39, s[20:21]
	v_add_co_u32 v1, vcc_lo, v29, 0x1000
	v_add_co_ci_u32_e64 v2, null, 0, v30, vcc_lo
	v_add_co_u32 v3, vcc_lo, v29, 0x2000
	v_add_co_ci_u32_e64 v4, null, 0, v30, vcc_lo
	;; [unrolled: 2-line block ×5, first 2 shown]
	s_clause 0x7
	global_load_dwordx2 v[27:28], v[3:4], off offset:-2048
	global_load_dwordx2 v[25:26], v[3:4], off
	global_load_dwordx2 v[23:24], v[5:6], off offset:-2048
	global_load_dwordx2 v[21:22], v[5:6], off
	;; [unrolled: 2-line block ×4, first 2 shown]
	v_add_co_u32 v3, vcc_lo, v29, 0x6000
	v_add_co_ci_u32_e64 v4, null, 0, v30, vcc_lo
	v_add_co_u32 v19, vcc_lo, v29, 0x7000
	v_add_co_ci_u32_e64 v20, null, 0, v30, vcc_lo
	;; [unrolled: 2-line block ×3, first 2 shown]
	s_clause 0x6
	global_load_dwordx2 v[9:10], v[3:4], off offset:-2048
	global_load_dwordx2 v[7:8], v[3:4], off
	global_load_dwordx2 v[5:6], v[19:20], off offset:-2048
	global_load_dwordx2 v[3:4], v[19:20], off
	;; [unrolled: 2-line block ×3, first 2 shown]
	global_load_dwordx2 v[1:2], v[35:36], off
	s_mov_b32 s6, exec_lo
	s_waitcnt vmcnt(15)
	v_mov_b32_e32 v19, v31
	v_mov_b32_e32 v20, v32
	v_cmpx_o_f64_e32 v[31:32], v[31:32]
	s_cbranch_execz .LBB169_8
; %bb.5:
	s_waitcnt vmcnt(2)
	v_mov_b32_e32 v19, v33
	v_mov_b32_e32 v20, v34
	s_mov_b32 s20, exec_lo
	v_cmpx_o_f64_e32 v[33:34], v[33:34]
; %bb.6:
	v_cmp_lt_f64_e32 vcc_lo, v[33:34], v[31:32]
	v_cndmask_b32_e32 v20, v32, v34, vcc_lo
	v_cndmask_b32_e32 v19, v31, v33, vcc_lo
; %bb.7:
	s_or_b32 exec_lo, exec_lo, s20
.LBB169_8:
	s_or_b32 exec_lo, exec_lo, s6
	s_mov_b32 s6, exec_lo
	v_cmpx_o_f64_e32 v[19:20], v[19:20]
	s_cbranch_execz .LBB169_12
; %bb.9:
	s_waitcnt vmcnt(1)
	v_mov_b32_e32 v36, v30
	v_mov_b32_e32 v35, v29
	s_mov_b32 s20, exec_lo
	v_cmpx_o_f64_e32 v[29:30], v[29:30]
; %bb.10:
	v_cmp_lt_f64_e32 vcc_lo, v[29:30], v[19:20]
	v_cndmask_b32_e32 v36, v20, v30, vcc_lo
	v_cndmask_b32_e32 v35, v19, v29, vcc_lo
; %bb.11:
	s_or_b32 exec_lo, exec_lo, s20
	v_mov_b32_e32 v19, v35
	v_mov_b32_e32 v20, v36
.LBB169_12:
	s_or_b32 exec_lo, exec_lo, s6
	s_mov_b32 s6, exec_lo
	v_cmpx_o_f64_e32 v[19:20], v[19:20]
	s_cbranch_execz .LBB169_16
; %bb.13:
	s_waitcnt vmcnt(14)
	v_mov_b32_e32 v36, v28
	v_mov_b32_e32 v35, v27
	s_mov_b32 s20, exec_lo
	v_cmpx_o_f64_e32 v[27:28], v[27:28]
; %bb.14:
	v_cmp_lt_f64_e32 vcc_lo, v[27:28], v[19:20]
	v_cndmask_b32_e32 v36, v20, v28, vcc_lo
	v_cndmask_b32_e32 v35, v19, v27, vcc_lo
; %bb.15:
	s_or_b32 exec_lo, exec_lo, s20
	v_mov_b32_e32 v19, v35
	v_mov_b32_e32 v20, v36
.LBB169_16:
	;; [unrolled: 19-line block ×14, first 2 shown]
	s_or_b32 exec_lo, exec_lo, s6
	s_add_u32 s20, s16, 0x2000
	s_addc_u32 s21, s17, 0
	v_cmp_ge_i64_e64 s6, s[20:21], s[14:15]
	s_and_b32 vcc_lo, exec_lo, s6
	s_cbranch_vccnz .LBB169_135
; %bb.65:
	s_add_u32 s6, s8, s18
	s_addc_u32 s18, s9, s19
	s_waitcnt vmcnt(0)
	v_add_co_u32 v1, s6, s6, v39
	v_add_co_ci_u32_e64 v2, null, s18, 0, s6
	v_add_co_u32 v35, vcc_lo, 0x8000, v1
	v_add_co_ci_u32_e64 v36, null, 0, v2, vcc_lo
.LBB169_66:                             ; =>This Inner Loop Header: Depth=1
	s_waitcnt vmcnt(0)
	v_add_co_u32 v1, vcc_lo, v35, 0x1000
	v_add_co_ci_u32_e64 v2, null, 0, v36, vcc_lo
	v_add_co_u32 v27, vcc_lo, v35, 0x2000
	v_add_co_ci_u32_e64 v28, null, 0, v36, vcc_lo
	;; [unrolled: 2-line block ×6, first 2 shown]
	s_clause 0x7
	global_load_dwordx2 v[25:26], v[27:28], off
	global_load_dwordx2 v[23:24], v[3:4], off offset:-2048
	global_load_dwordx2 v[21:22], v[3:4], off
	global_load_dwordx2 v[17:18], v[5:6], off offset:-2048
	;; [unrolled: 2-line block ×4, first 2 shown]
	v_add_co_u32 v3, vcc_lo, v35, 0x7000
	v_add_co_ci_u32_e64 v4, null, 0, v36, vcc_lo
	v_add_co_u32 v37, vcc_lo, 0x7800, v35
	v_add_co_ci_u32_e64 v38, null, 0, v36, vcc_lo
	s_clause 0x7
	global_load_dwordx2 v[31:32], v[35:36], off
	global_load_dwordx2 v[7:8], v[29:30], off
	global_load_dwordx2 v[5:6], v[3:4], off offset:-2048
	global_load_dwordx2 v[3:4], v[3:4], off
	global_load_dwordx2 v[33:34], v[1:2], off offset:-2048
	;; [unrolled: 2-line block ×3, first 2 shown]
	global_load_dwordx2 v[1:2], v[37:38], off
	s_mov_b32 s6, exec_lo
	v_cmpx_o_f64_e32 v[19:20], v[19:20]
	s_cbranch_execz .LBB169_70
; %bb.67:                               ;   in Loop: Header=BB169_66 Depth=1
	s_waitcnt vmcnt(7)
	v_mov_b32_e32 v38, v32
	v_mov_b32_e32 v37, v31
	s_mov_b32 s18, exec_lo
	v_cmpx_o_f64_e32 v[31:32], v[31:32]
; %bb.68:                               ;   in Loop: Header=BB169_66 Depth=1
	v_cmp_lt_f64_e32 vcc_lo, v[31:32], v[19:20]
	v_cndmask_b32_e32 v38, v20, v32, vcc_lo
	v_cndmask_b32_e32 v37, v19, v31, vcc_lo
; %bb.69:                               ;   in Loop: Header=BB169_66 Depth=1
	s_or_b32 exec_lo, exec_lo, s18
	v_mov_b32_e32 v19, v37
	v_mov_b32_e32 v20, v38
.LBB169_70:                             ;   in Loop: Header=BB169_66 Depth=1
	s_or_b32 exec_lo, exec_lo, s6
	s_mov_b32 s6, exec_lo
	v_cmpx_o_f64_e32 v[19:20], v[19:20]
	s_cbranch_execz .LBB169_74
; %bb.71:                               ;   in Loop: Header=BB169_66 Depth=1
	s_waitcnt vmcnt(3)
	v_mov_b32_e32 v38, v34
	v_mov_b32_e32 v37, v33
	s_mov_b32 s18, exec_lo
	v_cmpx_o_f64_e32 v[33:34], v[33:34]
; %bb.72:                               ;   in Loop: Header=BB169_66 Depth=1
	v_cmp_lt_f64_e32 vcc_lo, v[33:34], v[19:20]
	v_cndmask_b32_e32 v38, v20, v34, vcc_lo
	v_cndmask_b32_e32 v37, v19, v33, vcc_lo
; %bb.73:                               ;   in Loop: Header=BB169_66 Depth=1
	s_or_b32 exec_lo, exec_lo, s18
	v_mov_b32_e32 v19, v37
	v_mov_b32_e32 v20, v38
.LBB169_74:                             ;   in Loop: Header=BB169_66 Depth=1
	s_or_b32 exec_lo, exec_lo, s6
	;; [unrolled: 19-line block ×8, first 2 shown]
	s_mov_b32 s6, exec_lo
	v_cmpx_o_f64_e32 v[19:20], v[19:20]
	s_cbranch_execz .LBB169_102
; %bb.99:                               ;   in Loop: Header=BB169_66 Depth=1
	s_waitcnt vmcnt(11)
	v_mov_b32_e32 v38, v16
	v_mov_b32_e32 v37, v15
	s_mov_b32 s18, exec_lo
	v_cmpx_o_f64_e32 v[15:16], v[15:16]
; %bb.100:                              ;   in Loop: Header=BB169_66 Depth=1
	v_cmp_lt_f64_e32 vcc_lo, v[15:16], v[19:20]
	v_cndmask_b32_e32 v38, v20, v16, vcc_lo
	v_cndmask_b32_e32 v37, v19, v15, vcc_lo
; %bb.101:                              ;   in Loop: Header=BB169_66 Depth=1
	s_or_b32 exec_lo, exec_lo, s18
	v_mov_b32_e32 v19, v37
	v_mov_b32_e32 v20, v38
.LBB169_102:                            ;   in Loop: Header=BB169_66 Depth=1
	s_or_b32 exec_lo, exec_lo, s6
	s_mov_b32 s6, exec_lo
	v_cmpx_o_f64_e32 v[19:20], v[19:20]
	s_cbranch_execz .LBB169_106
; %bb.103:                              ;   in Loop: Header=BB169_66 Depth=1
	s_waitcnt vmcnt(10)
	v_mov_b32_e32 v38, v14
	v_mov_b32_e32 v37, v13
	s_mov_b32 s18, exec_lo
	v_cmpx_o_f64_e32 v[13:14], v[13:14]
; %bb.104:                              ;   in Loop: Header=BB169_66 Depth=1
	v_cmp_lt_f64_e32 vcc_lo, v[13:14], v[19:20]
	v_cndmask_b32_e32 v38, v20, v14, vcc_lo
	v_cndmask_b32_e32 v37, v19, v13, vcc_lo
; %bb.105:                              ;   in Loop: Header=BB169_66 Depth=1
	s_or_b32 exec_lo, exec_lo, s18
	v_mov_b32_e32 v19, v37
	v_mov_b32_e32 v20, v38
.LBB169_106:                            ;   in Loop: Header=BB169_66 Depth=1
	s_or_b32 exec_lo, exec_lo, s6
	s_mov_b32 s6, exec_lo
	v_cmpx_o_f64_e32 v[19:20], v[19:20]
	s_cbranch_execz .LBB169_110
; %bb.107:                              ;   in Loop: Header=BB169_66 Depth=1
	s_waitcnt vmcnt(9)
	v_mov_b32_e32 v38, v12
	v_mov_b32_e32 v37, v11
	s_mov_b32 s18, exec_lo
	v_cmpx_o_f64_e32 v[11:12], v[11:12]
; %bb.108:                              ;   in Loop: Header=BB169_66 Depth=1
	v_cmp_lt_f64_e32 vcc_lo, v[11:12], v[19:20]
	v_cndmask_b32_e32 v38, v20, v12, vcc_lo
	v_cndmask_b32_e32 v37, v19, v11, vcc_lo
; %bb.109:                              ;   in Loop: Header=BB169_66 Depth=1
	s_or_b32 exec_lo, exec_lo, s18
	v_mov_b32_e32 v19, v37
	v_mov_b32_e32 v20, v38
.LBB169_110:                            ;   in Loop: Header=BB169_66 Depth=1
	;; [unrolled: 19-line block ×7, first 2 shown]
	s_or_b32 exec_lo, exec_lo, s6
	s_add_u32 s18, s0, 0x1000
	s_addc_u32 s19, s1, 0
	s_add_u32 s0, s0, 0x2000
	s_addc_u32 s1, s1, 0
	v_add_co_u32 v35, vcc_lo, 0x8000, v35
	v_cmp_lt_i64_e64 s0, s[0:1], s[14:15]
	v_add_co_ci_u32_e64 v36, null, 0, v36, vcc_lo
	s_and_b32 vcc_lo, exec_lo, s0
	s_cbranch_vccz .LBB169_134
; %bb.131:                              ;   in Loop: Header=BB169_66 Depth=1
	s_mov_b64 s[0:1], s[18:19]
	s_branch .LBB169_66
.LBB169_132:
	v_mov_b32_e32 v3, s12
	v_mov_b32_e32 v4, s13
	s_and_saveexec_b32 s0, s7
	s_cbranch_execnz .LBB169_373
	s_branch .LBB169_374
.LBB169_133:
                                        ; implicit-def: $vgpr1_vgpr2
	s_cbranch_execnz .LBB169_268
	s_branch .LBB169_366
.LBB169_134:
	s_mov_b64 s[0:1], s[18:19]
.LBB169_135:
	s_sub_i32 s6, s14, s0
	s_lshl_b64 s[0:1], s[0:1], 3
	s_mov_b32 s18, exec_lo
	s_add_u32 s0, s8, s0
	s_addc_u32 s1, s9, s1
	v_cmpx_gt_u32_e64 s6, v0
	s_cbranch_execz .LBB169_137
; %bb.136:
	global_load_dwordx2 v[31:32], v39, s[0:1]
.LBB169_137:
	s_or_b32 exec_lo, exec_lo, s18
	v_or_b32_e32 v49, 0x100, v0
	s_mov_b32 s18, exec_lo
	v_cmpx_gt_u32_e64 s6, v49
	s_cbranch_execz .LBB169_139
; %bb.138:
	s_waitcnt vmcnt(2)
	v_lshlrev_b32_e32 v33, 3, v49
	global_load_dwordx2 v[33:34], v33, s[0:1]
.LBB169_139:
	s_or_b32 exec_lo, exec_lo, s18
	v_or_b32_e32 v48, 0x200, v0
	s_mov_b32 s18, exec_lo
	v_cmpx_gt_u32_e64 s6, v48
	s_cbranch_execz .LBB169_141
; %bb.140:
	s_waitcnt vmcnt(1)
	v_lshlrev_b32_e32 v29, 3, v48
	global_load_dwordx2 v[29:30], v29, s[0:1]
.LBB169_141:
	;; [unrolled: 10-line block ×15, first 2 shown]
	s_or_b32 exec_lo, exec_lo, s18
	v_cmp_o_f64_e32 vcc_lo, v[19:20], v[19:20]
	v_cmp_gt_u32_e64 s0, s6, v0
	s_and_b32 s1, s0, vcc_lo
	s_and_saveexec_b32 s0, s1
	s_cbranch_execz .LBB169_171
; %bb.168:
	s_mov_b32 s1, exec_lo
	s_waitcnt vmcnt(0)
	v_cmpx_o_f64_e32 v[31:32], v[31:32]
; %bb.169:
	v_cmp_lt_f64_e32 vcc_lo, v[31:32], v[19:20]
	v_cndmask_b32_e32 v32, v20, v32, vcc_lo
	v_cndmask_b32_e32 v31, v19, v31, vcc_lo
; %bb.170:
	s_or_b32 exec_lo, exec_lo, s1
	v_mov_b32_e32 v19, v31
	v_mov_b32_e32 v20, v32
.LBB169_171:
	s_or_b32 exec_lo, exec_lo, s0
	v_cmp_o_f64_e32 vcc_lo, v[19:20], v[19:20]
	v_cmp_gt_u32_e64 s0, s6, v49
	s_and_b32 s1, s0, vcc_lo
	s_and_saveexec_b32 s0, s1
	s_cbranch_execz .LBB169_175
; %bb.172:
	s_mov_b32 s1, exec_lo
	s_waitcnt vmcnt(0)
	v_cmpx_o_f64_e32 v[33:34], v[33:34]
; %bb.173:
	v_cmp_lt_f64_e32 vcc_lo, v[33:34], v[19:20]
	v_cndmask_b32_e32 v34, v20, v34, vcc_lo
	v_cndmask_b32_e32 v33, v19, v33, vcc_lo
; %bb.174:
	s_or_b32 exec_lo, exec_lo, s1
	v_mov_b32_e32 v19, v33
	v_mov_b32_e32 v20, v34
.LBB169_175:
	;; [unrolled: 19-line block ×16, first 2 shown]
	s_or_b32 exec_lo, exec_lo, s0
	s_waitcnt vmcnt(0)
	v_mov_b32_dpp v1, v19 quad_perm:[1,0,3,2] row_mask:0xf bank_mask:0xf
	v_mov_b32_dpp v2, v20 quad_perm:[1,0,3,2] row_mask:0xf bank_mask:0xf
	s_mov_b32 s0, exec_lo
	v_cmpx_o_f64_e32 v[1:2], v[1:2]
	s_xor_b32 s0, exec_lo, s0
	s_cbranch_execz .LBB169_235
; %bb.232:
	s_mov_b32 s1, exec_lo
	v_cmpx_o_f64_e32 v[19:20], v[19:20]
; %bb.233:
	v_cmp_lt_f64_e32 vcc_lo, v[19:20], v[1:2]
	v_cndmask_b32_e32 v20, v2, v20, vcc_lo
	v_cndmask_b32_e32 v19, v1, v19, vcc_lo
; %bb.234:
	s_or_b32 exec_lo, exec_lo, s1
	v_mov_b32_e32 v1, v19
	v_mov_b32_e32 v2, v20
.LBB169_235:
	s_or_b32 exec_lo, exec_lo, s0
	v_mov_b32_dpp v3, v1 quad_perm:[2,3,0,1] row_mask:0xf bank_mask:0xf
	v_mov_b32_dpp v4, v2 quad_perm:[2,3,0,1] row_mask:0xf bank_mask:0xf
	s_mov_b32 s0, exec_lo
	v_cmpx_o_f64_e32 v[3:4], v[3:4]
	s_cbranch_execz .LBB169_239
; %bb.236:
	s_mov_b32 s1, exec_lo
	v_cmpx_o_f64_e32 v[1:2], v[1:2]
; %bb.237:
	v_cmp_lt_f64_e32 vcc_lo, v[1:2], v[3:4]
	v_cndmask_b32_e32 v2, v4, v2, vcc_lo
	v_cndmask_b32_e32 v1, v3, v1, vcc_lo
; %bb.238:
	s_or_b32 exec_lo, exec_lo, s1
	v_mov_b32_e32 v4, v2
	v_mov_b32_e32 v3, v1
.LBB169_239:
	s_or_b32 exec_lo, exec_lo, s0
	v_mov_b32_dpp v1, v3 row_ror:4 row_mask:0xf bank_mask:0xf
	v_mov_b32_dpp v2, v4 row_ror:4 row_mask:0xf bank_mask:0xf
	s_mov_b32 s0, exec_lo
	v_cmpx_o_f64_e32 v[1:2], v[1:2]
	s_cbranch_execz .LBB169_243
; %bb.240:
	s_mov_b32 s1, exec_lo
	v_cmpx_o_f64_e32 v[3:4], v[3:4]
; %bb.241:
	v_cmp_lt_f64_e32 vcc_lo, v[3:4], v[1:2]
	v_cndmask_b32_e32 v4, v2, v4, vcc_lo
	v_cndmask_b32_e32 v3, v1, v3, vcc_lo
; %bb.242:
	s_or_b32 exec_lo, exec_lo, s1
	v_mov_b32_e32 v1, v3
	v_mov_b32_e32 v2, v4
.LBB169_243:
	s_or_b32 exec_lo, exec_lo, s0
	v_mov_b32_dpp v3, v1 row_ror:8 row_mask:0xf bank_mask:0xf
	v_mov_b32_dpp v4, v2 row_ror:8 row_mask:0xf bank_mask:0xf
	s_mov_b32 s0, exec_lo
	v_cmpx_o_f64_e32 v[3:4], v[3:4]
	s_cbranch_execz .LBB169_247
; %bb.244:
	s_mov_b32 s1, exec_lo
	v_cmpx_o_f64_e32 v[1:2], v[1:2]
; %bb.245:
	v_cmp_lt_f64_e32 vcc_lo, v[1:2], v[3:4]
	v_cndmask_b32_e32 v2, v4, v2, vcc_lo
	v_cndmask_b32_e32 v1, v3, v1, vcc_lo
; %bb.246:
	s_or_b32 exec_lo, exec_lo, s1
	v_mov_b32_e32 v4, v2
	v_mov_b32_e32 v3, v1
.LBB169_247:
	s_or_b32 exec_lo, exec_lo, s0
	ds_swizzle_b32 v1, v3 offset:swizzle(BROADCAST,32,15)
	ds_swizzle_b32 v2, v4 offset:swizzle(BROADCAST,32,15)
	s_mov_b32 s0, exec_lo
	s_waitcnt lgkmcnt(0)
	v_cmpx_o_f64_e32 v[1:2], v[1:2]
	s_cbranch_execz .LBB169_251
; %bb.248:
	s_mov_b32 s1, exec_lo
	v_cmpx_o_f64_e32 v[3:4], v[3:4]
; %bb.249:
	v_cmp_lt_f64_e32 vcc_lo, v[3:4], v[1:2]
	v_cndmask_b32_e32 v4, v2, v4, vcc_lo
	v_cndmask_b32_e32 v3, v1, v3, vcc_lo
; %bb.250:
	s_or_b32 exec_lo, exec_lo, s1
	v_mov_b32_e32 v1, v3
	v_mov_b32_e32 v2, v4
.LBB169_251:
	s_or_b32 exec_lo, exec_lo, s0
	v_mov_b32_e32 v3, 0
	v_mbcnt_lo_u32_b32 v5, -1, 0
	s_mov_b32 s0, exec_lo
	ds_bpermute_b32 v1, v3, v1 offset:124
	ds_bpermute_b32 v2, v3, v2 offset:124
	v_cmpx_eq_u32_e32 0, v5
	s_cbranch_execz .LBB169_253
; %bb.252:
	v_lshrrev_b32_e32 v3, 2, v0
	v_and_b32_e32 v3, 56, v3
	s_waitcnt lgkmcnt(0)
	ds_write_b64 v3, v[1:2]
.LBB169_253:
	s_or_b32 exec_lo, exec_lo, s0
	s_mov_b32 s0, exec_lo
	s_waitcnt lgkmcnt(0)
	s_barrier
	buffer_gl0_inv
	v_cmpx_gt_u32_e32 32, v0
	s_cbranch_execz .LBB169_267
; %bb.254:
	v_and_b32_e32 v6, 7, v5
	s_mov_b32 s1, exec_lo
	v_lshlrev_b32_e32 v1, 3, v6
	v_cmp_ne_u32_e32 vcc_lo, 7, v6
	ds_read_b64 v[1:2], v1
	v_add_co_ci_u32_e64 v3, null, 0, v5, vcc_lo
	v_lshlrev_b32_e32 v4, 2, v3
	s_waitcnt lgkmcnt(0)
	ds_bpermute_b32 v3, v4, v1
	ds_bpermute_b32 v4, v4, v2
	v_cmpx_o_f64_e32 v[1:2], v[1:2]
	s_cbranch_execz .LBB169_258
; %bb.255:
	s_mov_b32 s6, exec_lo
	s_waitcnt lgkmcnt(0)
	v_cmpx_o_f64_e32 v[3:4], v[3:4]
; %bb.256:
	v_cmp_gt_f64_e32 vcc_lo, v[1:2], v[3:4]
	v_cndmask_b32_e32 v4, v2, v4, vcc_lo
	v_cndmask_b32_e32 v3, v1, v3, vcc_lo
; %bb.257:
	s_or_b32 exec_lo, exec_lo, s6
	v_mov_b32_e32 v1, v3
	v_mov_b32_e32 v2, v4
.LBB169_258:
	s_or_b32 exec_lo, exec_lo, s1
	v_cmp_gt_u32_e32 vcc_lo, 6, v6
	s_mov_b32 s1, exec_lo
	s_waitcnt lgkmcnt(1)
	v_cndmask_b32_e64 v3, 0, 2, vcc_lo
	s_waitcnt lgkmcnt(0)
	v_add_lshl_u32 v4, v3, v5, 2
	v_lshlrev_b32_e32 v5, 2, v5
	ds_bpermute_b32 v3, v4, v1
	ds_bpermute_b32 v4, v4, v2
	v_cmpx_o_f64_e32 v[1:2], v[1:2]
	s_cbranch_execz .LBB169_262
; %bb.259:
	s_mov_b32 s6, exec_lo
	s_waitcnt lgkmcnt(0)
	v_cmpx_o_f64_e32 v[3:4], v[3:4]
; %bb.260:
	v_cmp_gt_f64_e32 vcc_lo, v[1:2], v[3:4]
	v_cndmask_b32_e32 v4, v2, v4, vcc_lo
	v_cndmask_b32_e32 v3, v1, v3, vcc_lo
; %bb.261:
	s_or_b32 exec_lo, exec_lo, s6
	v_mov_b32_e32 v1, v3
	v_mov_b32_e32 v2, v4
.LBB169_262:
	s_or_b32 exec_lo, exec_lo, s1
	s_waitcnt lgkmcnt(0)
	v_or_b32_e32 v4, 16, v5
	s_mov_b32 s1, exec_lo
	ds_bpermute_b32 v3, v4, v1
	ds_bpermute_b32 v4, v4, v2
	v_cmpx_o_f64_e32 v[1:2], v[1:2]
	s_cbranch_execz .LBB169_266
; %bb.263:
	s_mov_b32 s6, exec_lo
	s_waitcnt lgkmcnt(0)
	v_cmpx_o_f64_e32 v[3:4], v[3:4]
; %bb.264:
	v_cmp_gt_f64_e32 vcc_lo, v[1:2], v[3:4]
	v_cndmask_b32_e32 v4, v2, v4, vcc_lo
	v_cndmask_b32_e32 v3, v1, v3, vcc_lo
; %bb.265:
	s_or_b32 exec_lo, exec_lo, s6
	v_mov_b32_e32 v1, v3
	v_mov_b32_e32 v2, v4
.LBB169_266:
	s_or_b32 exec_lo, exec_lo, s1
.LBB169_267:
	s_or_b32 exec_lo, exec_lo, s0
	s_branch .LBB169_366
.LBB169_268:
	s_sub_i32 s1, s14, s16
	s_mov_b32 s6, exec_lo
                                        ; implicit-def: $vgpr3_vgpr4
	v_cmpx_gt_u32_e64 s1, v0
	s_cbranch_execz .LBB169_278
; %bb.269:
	v_add_co_u32 v1, s0, s16, v0
	v_add_co_ci_u32_e64 v2, null, s17, 0, s0
	s_waitcnt lgkmcnt(0)
	v_lshlrev_b64 v[3:4], 3, v[1:2]
	v_add_co_u32 v5, vcc_lo, s8, v3
	v_add_co_ci_u32_e64 v6, null, s9, v4, vcc_lo
	v_add_co_u32 v1, vcc_lo, 0x100, v1
	v_add_co_ci_u32_e64 v2, null, 0, v2, vcc_lo
	global_load_dwordx2 v[3:4], v[5:6], off
	s_mov_b32 s8, exec_lo
	v_cmpx_gt_i64_e64 s[14:15], v[1:2]
	s_cbranch_execz .LBB169_277
; %bb.270:
	v_add_co_u32 v5, vcc_lo, 0x800, v5
	v_add_co_ci_u32_e64 v6, null, 0, v6, vcc_lo
	s_mov_b32 s9, 0
	s_inst_prefetch 0x1
	s_branch .LBB169_273
	.p2align	6
.LBB169_271:                            ;   in Loop: Header=BB169_273 Depth=1
	s_or_b32 exec_lo, exec_lo, s16
	v_mov_b32_e32 v3, v7
	v_mov_b32_e32 v4, v8
.LBB169_272:                            ;   in Loop: Header=BB169_273 Depth=1
	s_or_b32 exec_lo, exec_lo, s0
	v_add_co_u32 v1, vcc_lo, 0x100, v1
	v_add_co_ci_u32_e64 v2, null, 0, v2, vcc_lo
	v_add_co_u32 v5, s0, 0x800, v5
	v_add_co_ci_u32_e64 v6, null, 0, v6, s0
	v_cmp_le_i64_e32 vcc_lo, s[14:15], v[1:2]
	s_or_b32 s9, vcc_lo, s9
	s_andn2_b32 exec_lo, exec_lo, s9
	s_cbranch_execz .LBB169_276
.LBB169_273:                            ; =>This Inner Loop Header: Depth=1
	s_mov_b32 s0, exec_lo
	s_waitcnt vmcnt(0)
	v_cmpx_o_f64_e32 v[3:4], v[3:4]
	s_cbranch_execz .LBB169_272
; %bb.274:                              ;   in Loop: Header=BB169_273 Depth=1
	global_load_dwordx2 v[7:8], v[5:6], off
	s_mov_b32 s16, exec_lo
	s_waitcnt vmcnt(0)
	v_cmpx_o_f64_e32 v[7:8], v[7:8]
	s_cbranch_execz .LBB169_271
; %bb.275:                              ;   in Loop: Header=BB169_273 Depth=1
	v_cmp_lt_f64_e32 vcc_lo, v[7:8], v[3:4]
	v_cndmask_b32_e32 v8, v4, v8, vcc_lo
	v_cndmask_b32_e32 v7, v3, v7, vcc_lo
	s_branch .LBB169_271
.LBB169_276:
	s_inst_prefetch 0x2
	s_or_b32 exec_lo, exec_lo, s9
.LBB169_277:
	s_or_b32 exec_lo, exec_lo, s8
.LBB169_278:
	s_or_b32 exec_lo, exec_lo, s6
	v_lshrrev_b32_e32 v10, 5, v0
	v_mbcnt_lo_u32_b32 v9, -1, 0
	s_cmpk_lt_u32 s1, 0x100
	s_mov_b32 s0, -1
                                        ; implicit-def: $vgpr1_vgpr2
	s_cbranch_scc0 .LBB169_328
; %bb.279:
	v_cmp_ne_u32_e32 vcc_lo, 31, v9
	s_waitcnt vmcnt(0) lgkmcnt(1)
	v_mov_b32_e32 v5, v3
	s_waitcnt lgkmcnt(0)
	v_mov_b32_e32 v6, v4
	v_add_co_ci_u32_e64 v1, null, 0, v9, vcc_lo
	v_lshlrev_b32_e32 v1, 2, v1
	ds_bpermute_b32 v7, v1, v3
	ds_bpermute_b32 v8, v1, v4
	v_and_b32_e32 v1, 0xe0, v0
	v_sub_nc_u32_e64 v11, s1, v1 clamp
	v_add_nc_u32_e32 v1, 1, v9
	v_cmp_lt_u32_e32 vcc_lo, v1, v11
	v_mov_b32_e32 v1, v3
	v_mov_b32_e32 v2, v4
	s_and_saveexec_b32 s0, vcc_lo
	s_cbranch_execz .LBB169_285
; %bb.280:
	v_mov_b32_e32 v6, v4
	v_mov_b32_e32 v5, v3
	s_mov_b32 s6, exec_lo
	v_cmpx_o_f64_e32 v[3:4], v[3:4]
	s_cbranch_execz .LBB169_284
; %bb.281:
	s_mov_b32 s8, exec_lo
	s_waitcnt lgkmcnt(0)
	v_cmpx_o_f64_e32 v[7:8], v[7:8]
; %bb.282:
	v_cmp_gt_f64_e32 vcc_lo, v[3:4], v[7:8]
	v_cndmask_b32_e32 v8, v4, v8, vcc_lo
	v_cndmask_b32_e32 v7, v3, v7, vcc_lo
; %bb.283:
	s_or_b32 exec_lo, exec_lo, s8
	v_mov_b32_e32 v5, v7
	v_mov_b32_e32 v6, v8
.LBB169_284:
	s_or_b32 exec_lo, exec_lo, s6
	v_mov_b32_e32 v1, v5
	v_mov_b32_e32 v2, v6
.LBB169_285:
	s_or_b32 exec_lo, exec_lo, s0
	v_cmp_gt_u32_e32 vcc_lo, 30, v9
	v_add_nc_u32_e32 v12, 2, v9
	s_mov_b32 s0, exec_lo
	s_waitcnt lgkmcnt(1)
	v_cndmask_b32_e64 v7, 0, 2, vcc_lo
	s_waitcnt lgkmcnt(0)
	v_add_lshl_u32 v8, v7, v9, 2
	ds_bpermute_b32 v7, v8, v5
	ds_bpermute_b32 v8, v8, v6
	v_cmpx_lt_u32_e64 v12, v11
	s_cbranch_execz .LBB169_291
; %bb.286:
	s_mov_b32 s6, exec_lo
	v_cmpx_o_f64_e32 v[1:2], v[1:2]
	s_cbranch_execz .LBB169_290
; %bb.287:
	s_mov_b32 s8, exec_lo
	s_waitcnt lgkmcnt(0)
	v_cmpx_o_f64_e32 v[7:8], v[7:8]
; %bb.288:
	v_cmp_gt_f64_e32 vcc_lo, v[1:2], v[7:8]
	v_cndmask_b32_e32 v8, v2, v8, vcc_lo
	v_cndmask_b32_e32 v7, v1, v7, vcc_lo
; %bb.289:
	s_or_b32 exec_lo, exec_lo, s8
	v_mov_b32_e32 v1, v7
	v_mov_b32_e32 v2, v8
.LBB169_290:
	s_or_b32 exec_lo, exec_lo, s6
	v_mov_b32_e32 v5, v1
	v_mov_b32_e32 v6, v2
.LBB169_291:
	s_or_b32 exec_lo, exec_lo, s0
	v_cmp_gt_u32_e32 vcc_lo, 28, v9
	v_add_nc_u32_e32 v12, 4, v9
	s_mov_b32 s0, exec_lo
	s_waitcnt lgkmcnt(1)
	v_cndmask_b32_e64 v7, 0, 4, vcc_lo
	s_waitcnt lgkmcnt(0)
	v_add_lshl_u32 v8, v7, v9, 2
	ds_bpermute_b32 v7, v8, v5
	ds_bpermute_b32 v8, v8, v6
	v_cmpx_lt_u32_e64 v12, v11
	s_cbranch_execz .LBB169_297
; %bb.292:
	s_mov_b32 s6, exec_lo
	v_cmpx_o_f64_e32 v[1:2], v[1:2]
	s_cbranch_execz .LBB169_296
; %bb.293:
	s_mov_b32 s8, exec_lo
	s_waitcnt lgkmcnt(0)
	v_cmpx_o_f64_e32 v[7:8], v[7:8]
; %bb.294:
	v_cmp_gt_f64_e32 vcc_lo, v[1:2], v[7:8]
	v_cndmask_b32_e32 v8, v2, v8, vcc_lo
	v_cndmask_b32_e32 v7, v1, v7, vcc_lo
; %bb.295:
	s_or_b32 exec_lo, exec_lo, s8
	v_mov_b32_e32 v1, v7
	v_mov_b32_e32 v2, v8
.LBB169_296:
	s_or_b32 exec_lo, exec_lo, s6
	v_mov_b32_e32 v5, v1
	v_mov_b32_e32 v6, v2
.LBB169_297:
	;; [unrolled: 33-line block ×3, first 2 shown]
	s_or_b32 exec_lo, exec_lo, s0
	s_waitcnt lgkmcnt(1)
	v_lshlrev_b32_e32 v7, 2, v9
	v_cmp_o_f64_e32 vcc_lo, v[1:2], v[1:2]
	s_waitcnt lgkmcnt(0)
	v_or_b32_e32 v8, 64, v7
	ds_bpermute_b32 v5, v8, v5
	ds_bpermute_b32 v6, v8, v6
	v_add_nc_u32_e32 v8, 16, v9
	v_cmp_lt_u32_e64 s0, v8, v11
	s_and_b32 s6, s0, vcc_lo
	s_and_saveexec_b32 s0, s6
	s_cbranch_execz .LBB169_307
; %bb.304:
	s_mov_b32 s6, exec_lo
	s_waitcnt lgkmcnt(0)
	v_cmpx_o_f64_e32 v[5:6], v[5:6]
; %bb.305:
	v_cmp_gt_f64_e32 vcc_lo, v[1:2], v[5:6]
	v_cndmask_b32_e32 v6, v2, v6, vcc_lo
	v_cndmask_b32_e32 v5, v1, v5, vcc_lo
; %bb.306:
	s_or_b32 exec_lo, exec_lo, s6
	v_mov_b32_e32 v1, v5
	v_mov_b32_e32 v2, v6
.LBB169_307:
	s_or_b32 exec_lo, exec_lo, s0
	s_mov_b32 s0, exec_lo
	v_cmpx_eq_u32_e32 0, v9
	s_cbranch_execz .LBB169_309
; %bb.308:
	s_waitcnt lgkmcnt(1)
	v_lshlrev_b32_e32 v5, 3, v10
	ds_write_b64 v5, v[1:2]
.LBB169_309:
	s_or_b32 exec_lo, exec_lo, s0
	s_mov_b32 s6, exec_lo
	s_waitcnt lgkmcnt(0)
	s_barrier
	buffer_gl0_inv
	v_cmpx_gt_u32_e32 8, v0
	s_cbranch_execz .LBB169_327
; %bb.310:
	v_lshlrev_b32_e32 v1, 3, v9
	v_and_b32_e32 v8, 7, v9
	s_add_i32 s1, s1, 31
	s_lshr_b32 s0, s1, 5
	ds_read_b64 v[1:2], v1
	v_cmp_ne_u32_e32 vcc_lo, 7, v8
	v_add_nc_u32_e32 v11, 1, v8
	s_mov_b32 s1, exec_lo
	v_add_co_ci_u32_e64 v5, null, 0, v9, vcc_lo
	v_lshlrev_b32_e32 v6, 2, v5
	s_waitcnt lgkmcnt(0)
	ds_bpermute_b32 v5, v6, v1
	ds_bpermute_b32 v6, v6, v2
	v_cmpx_gt_u32_e64 s0, v11
	s_cbranch_execz .LBB169_316
; %bb.311:
	s_mov_b32 s8, exec_lo
	v_cmpx_o_f64_e32 v[1:2], v[1:2]
	s_cbranch_execz .LBB169_315
; %bb.312:
	s_mov_b32 s9, exec_lo
	s_waitcnt lgkmcnt(0)
	v_cmpx_o_f64_e32 v[5:6], v[5:6]
; %bb.313:
	v_cmp_gt_f64_e32 vcc_lo, v[1:2], v[5:6]
	v_cndmask_b32_e32 v6, v2, v6, vcc_lo
	v_cndmask_b32_e32 v5, v1, v5, vcc_lo
; %bb.314:
	s_or_b32 exec_lo, exec_lo, s9
	v_mov_b32_e32 v1, v5
	v_mov_b32_e32 v2, v6
.LBB169_315:
	s_or_b32 exec_lo, exec_lo, s8
.LBB169_316:
	s_or_b32 exec_lo, exec_lo, s1
	v_cmp_gt_u32_e32 vcc_lo, 6, v8
	v_add_nc_u32_e32 v11, 2, v8
	s_mov_b32 s1, exec_lo
	s_waitcnt lgkmcnt(1)
	v_cndmask_b32_e64 v5, 0, 2, vcc_lo
	s_waitcnt lgkmcnt(0)
	v_add_lshl_u32 v6, v5, v9, 2
	ds_bpermute_b32 v5, v6, v1
	ds_bpermute_b32 v6, v6, v2
	v_cmpx_gt_u32_e64 s0, v11
	s_cbranch_execz .LBB169_322
; %bb.317:
	s_mov_b32 s8, exec_lo
	v_cmpx_o_f64_e32 v[1:2], v[1:2]
	s_cbranch_execz .LBB169_321
; %bb.318:
	s_mov_b32 s9, exec_lo
	s_waitcnt lgkmcnt(0)
	v_cmpx_o_f64_e32 v[5:6], v[5:6]
; %bb.319:
	v_cmp_gt_f64_e32 vcc_lo, v[1:2], v[5:6]
	v_cndmask_b32_e32 v6, v2, v6, vcc_lo
	v_cndmask_b32_e32 v5, v1, v5, vcc_lo
; %bb.320:
	s_or_b32 exec_lo, exec_lo, s9
	v_mov_b32_e32 v1, v5
	v_mov_b32_e32 v2, v6
.LBB169_321:
	s_or_b32 exec_lo, exec_lo, s8
.LBB169_322:
	s_or_b32 exec_lo, exec_lo, s1
	s_waitcnt lgkmcnt(0)
	v_or_b32_e32 v6, 16, v7
	v_cmp_o_f64_e32 vcc_lo, v[1:2], v[1:2]
	v_add_nc_u32_e32 v7, 4, v8
	ds_bpermute_b32 v5, v6, v1
	ds_bpermute_b32 v6, v6, v2
	v_cmp_gt_u32_e64 s0, s0, v7
	s_and_b32 s1, s0, vcc_lo
	s_and_saveexec_b32 s0, s1
	s_cbranch_execz .LBB169_326
; %bb.323:
	s_mov_b32 s1, exec_lo
	s_waitcnt lgkmcnt(0)
	v_cmpx_o_f64_e32 v[5:6], v[5:6]
; %bb.324:
	v_cmp_gt_f64_e32 vcc_lo, v[1:2], v[5:6]
	v_cndmask_b32_e32 v6, v2, v6, vcc_lo
	v_cndmask_b32_e32 v5, v1, v5, vcc_lo
; %bb.325:
	s_or_b32 exec_lo, exec_lo, s1
	v_mov_b32_e32 v1, v5
	v_mov_b32_e32 v2, v6
.LBB169_326:
	s_or_b32 exec_lo, exec_lo, s0
.LBB169_327:
	s_or_b32 exec_lo, exec_lo, s6
	s_mov_b32 s0, 0
.LBB169_328:
	s_and_b32 vcc_lo, exec_lo, s0
	s_cbranch_vccz .LBB169_366
; %bb.329:
	s_waitcnt vmcnt(0) lgkmcnt(1)
	v_mov_b32_dpp v1, v3 quad_perm:[1,0,3,2] row_mask:0xf bank_mask:0xf
	s_waitcnt lgkmcnt(0)
	v_mov_b32_dpp v2, v4 quad_perm:[1,0,3,2] row_mask:0xf bank_mask:0xf
	s_mov_b32 s0, exec_lo
	v_cmpx_o_f64_e32 v[1:2], v[1:2]
	s_cbranch_execz .LBB169_333
; %bb.330:
	s_mov_b32 s1, exec_lo
	v_cmpx_o_f64_e32 v[3:4], v[3:4]
; %bb.331:
	v_cmp_lt_f64_e32 vcc_lo, v[3:4], v[1:2]
	v_cndmask_b32_e32 v4, v2, v4, vcc_lo
	v_cndmask_b32_e32 v3, v1, v3, vcc_lo
; %bb.332:
	s_or_b32 exec_lo, exec_lo, s1
	v_mov_b32_e32 v1, v3
	v_mov_b32_e32 v2, v4
.LBB169_333:
	s_or_b32 exec_lo, exec_lo, s0
	v_mov_b32_dpp v3, v1 quad_perm:[2,3,0,1] row_mask:0xf bank_mask:0xf
	v_mov_b32_dpp v4, v2 quad_perm:[2,3,0,1] row_mask:0xf bank_mask:0xf
	s_mov_b32 s0, exec_lo
	v_cmpx_o_f64_e32 v[3:4], v[3:4]
	s_cbranch_execz .LBB169_337
; %bb.334:
	s_mov_b32 s1, exec_lo
	v_cmpx_o_f64_e32 v[1:2], v[1:2]
; %bb.335:
	v_cmp_lt_f64_e32 vcc_lo, v[1:2], v[3:4]
	v_cndmask_b32_e32 v2, v4, v2, vcc_lo
	v_cndmask_b32_e32 v1, v3, v1, vcc_lo
; %bb.336:
	s_or_b32 exec_lo, exec_lo, s1
	v_mov_b32_e32 v4, v2
	v_mov_b32_e32 v3, v1
.LBB169_337:
	s_or_b32 exec_lo, exec_lo, s0
	v_mov_b32_dpp v1, v3 row_ror:4 row_mask:0xf bank_mask:0xf
	v_mov_b32_dpp v2, v4 row_ror:4 row_mask:0xf bank_mask:0xf
	s_mov_b32 s0, exec_lo
	v_cmpx_o_f64_e32 v[1:2], v[1:2]
	s_cbranch_execz .LBB169_341
; %bb.338:
	s_mov_b32 s1, exec_lo
	v_cmpx_o_f64_e32 v[3:4], v[3:4]
; %bb.339:
	v_cmp_lt_f64_e32 vcc_lo, v[3:4], v[1:2]
	v_cndmask_b32_e32 v4, v2, v4, vcc_lo
	v_cndmask_b32_e32 v3, v1, v3, vcc_lo
; %bb.340:
	s_or_b32 exec_lo, exec_lo, s1
	v_mov_b32_e32 v1, v3
	v_mov_b32_e32 v2, v4
.LBB169_341:
	s_or_b32 exec_lo, exec_lo, s0
	v_mov_b32_dpp v3, v1 row_ror:8 row_mask:0xf bank_mask:0xf
	v_mov_b32_dpp v4, v2 row_ror:8 row_mask:0xf bank_mask:0xf
	s_mov_b32 s0, exec_lo
	v_cmpx_o_f64_e32 v[3:4], v[3:4]
	s_cbranch_execz .LBB169_345
; %bb.342:
	s_mov_b32 s1, exec_lo
	v_cmpx_o_f64_e32 v[1:2], v[1:2]
; %bb.343:
	v_cmp_lt_f64_e32 vcc_lo, v[1:2], v[3:4]
	v_cndmask_b32_e32 v2, v4, v2, vcc_lo
	v_cndmask_b32_e32 v1, v3, v1, vcc_lo
; %bb.344:
	s_or_b32 exec_lo, exec_lo, s1
	v_mov_b32_e32 v4, v2
	v_mov_b32_e32 v3, v1
.LBB169_345:
	s_or_b32 exec_lo, exec_lo, s0
	ds_swizzle_b32 v1, v3 offset:swizzle(BROADCAST,32,15)
	ds_swizzle_b32 v2, v4 offset:swizzle(BROADCAST,32,15)
	s_mov_b32 s0, exec_lo
	s_waitcnt lgkmcnt(0)
	v_cmpx_o_f64_e32 v[1:2], v[1:2]
	s_cbranch_execz .LBB169_349
; %bb.346:
	s_mov_b32 s1, exec_lo
	v_cmpx_o_f64_e32 v[3:4], v[3:4]
; %bb.347:
	v_cmp_lt_f64_e32 vcc_lo, v[3:4], v[1:2]
	v_cndmask_b32_e32 v4, v2, v4, vcc_lo
	v_cndmask_b32_e32 v3, v1, v3, vcc_lo
; %bb.348:
	s_or_b32 exec_lo, exec_lo, s1
	v_mov_b32_e32 v1, v3
	v_mov_b32_e32 v2, v4
.LBB169_349:
	s_or_b32 exec_lo, exec_lo, s0
	v_mov_b32_e32 v3, 0
	s_mov_b32 s0, exec_lo
	ds_bpermute_b32 v1, v3, v1 offset:124
	ds_bpermute_b32 v2, v3, v2 offset:124
	v_cmpx_eq_u32_e32 0, v9
	s_cbranch_execz .LBB169_351
; %bb.350:
	v_lshlrev_b32_e32 v3, 3, v10
	s_waitcnt lgkmcnt(0)
	ds_write_b64 v3, v[1:2]
.LBB169_351:
	s_or_b32 exec_lo, exec_lo, s0
	s_mov_b32 s0, exec_lo
	s_waitcnt lgkmcnt(0)
	s_barrier
	buffer_gl0_inv
	v_cmpx_gt_u32_e32 32, v0
	s_cbranch_execz .LBB169_365
; %bb.352:
	v_and_b32_e32 v5, 7, v9
	s_mov_b32 s1, exec_lo
	v_lshlrev_b32_e32 v1, 3, v5
	v_cmp_ne_u32_e32 vcc_lo, 7, v5
	ds_read_b64 v[1:2], v1
	v_add_co_ci_u32_e64 v3, null, 0, v9, vcc_lo
	v_lshlrev_b32_e32 v4, 2, v3
	s_waitcnt lgkmcnt(0)
	ds_bpermute_b32 v3, v4, v1
	ds_bpermute_b32 v4, v4, v2
	v_cmpx_o_f64_e32 v[1:2], v[1:2]
	s_cbranch_execz .LBB169_356
; %bb.353:
	s_mov_b32 s6, exec_lo
	s_waitcnt lgkmcnt(0)
	v_cmpx_o_f64_e32 v[3:4], v[3:4]
; %bb.354:
	v_cmp_gt_f64_e32 vcc_lo, v[1:2], v[3:4]
	v_cndmask_b32_e32 v4, v2, v4, vcc_lo
	v_cndmask_b32_e32 v3, v1, v3, vcc_lo
; %bb.355:
	s_or_b32 exec_lo, exec_lo, s6
	v_mov_b32_e32 v1, v3
	v_mov_b32_e32 v2, v4
.LBB169_356:
	s_or_b32 exec_lo, exec_lo, s1
	v_cmp_gt_u32_e32 vcc_lo, 6, v5
	v_lshlrev_b32_e32 v5, 2, v9
	s_mov_b32 s1, exec_lo
	s_waitcnt lgkmcnt(1)
	v_cndmask_b32_e64 v3, 0, 2, vcc_lo
	s_waitcnt lgkmcnt(0)
	v_add_lshl_u32 v4, v3, v9, 2
	ds_bpermute_b32 v3, v4, v1
	ds_bpermute_b32 v4, v4, v2
	v_cmpx_o_f64_e32 v[1:2], v[1:2]
	s_cbranch_execz .LBB169_360
; %bb.357:
	s_mov_b32 s6, exec_lo
	s_waitcnt lgkmcnt(0)
	v_cmpx_o_f64_e32 v[3:4], v[3:4]
; %bb.358:
	v_cmp_gt_f64_e32 vcc_lo, v[1:2], v[3:4]
	v_cndmask_b32_e32 v4, v2, v4, vcc_lo
	v_cndmask_b32_e32 v3, v1, v3, vcc_lo
; %bb.359:
	s_or_b32 exec_lo, exec_lo, s6
	v_mov_b32_e32 v1, v3
	v_mov_b32_e32 v2, v4
.LBB169_360:
	s_or_b32 exec_lo, exec_lo, s1
	s_waitcnt lgkmcnt(0)
	v_or_b32_e32 v4, 16, v5
	s_mov_b32 s1, exec_lo
	ds_bpermute_b32 v3, v4, v1
	ds_bpermute_b32 v4, v4, v2
	v_cmpx_o_f64_e32 v[1:2], v[1:2]
	s_cbranch_execz .LBB169_364
; %bb.361:
	s_mov_b32 s6, exec_lo
	s_waitcnt lgkmcnt(0)
	v_cmpx_o_f64_e32 v[3:4], v[3:4]
; %bb.362:
	v_cmp_gt_f64_e32 vcc_lo, v[1:2], v[3:4]
	v_cndmask_b32_e32 v4, v2, v4, vcc_lo
	v_cndmask_b32_e32 v3, v1, v3, vcc_lo
; %bb.363:
	s_or_b32 exec_lo, exec_lo, s6
	v_mov_b32_e32 v1, v3
	v_mov_b32_e32 v2, v4
.LBB169_364:
	s_or_b32 exec_lo, exec_lo, s1
.LBB169_365:
	s_or_b32 exec_lo, exec_lo, s0
.LBB169_366:
	s_mov_b32 s0, exec_lo
                                        ; implicit-def: $vgpr3_vgpr4
	v_cmpx_eq_u32_e32 0, v0
	s_cbranch_execz .LBB169_372
; %bb.367:
	v_cmp_u_f64_e64 s1, s[12:13], s[12:13]
	s_waitcnt vmcnt(0) lgkmcnt(0)
	v_mov_b32_e32 v3, s12
	v_mov_b32_e32 v4, s13
	s_and_b32 vcc_lo, exec_lo, s1
	s_cbranch_vccnz .LBB169_371
; %bb.368:
	s_mov_b32 s1, exec_lo
	v_cmpx_o_f64_e32 v[1:2], v[1:2]
; %bb.369:
	v_cmp_gt_f64_e32 vcc_lo, s[12:13], v[1:2]
	v_cndmask_b32_e32 v2, s13, v2, vcc_lo
	v_cndmask_b32_e32 v1, s12, v1, vcc_lo
; %bb.370:
	s_or_b32 exec_lo, exec_lo, s1
	v_mov_b32_e32 v4, v2
	v_mov_b32_e32 v3, v1
.LBB169_371:
	s_or_b32 s7, s7, exec_lo
.LBB169_372:
	s_or_b32 exec_lo, exec_lo, s0
	s_and_saveexec_b32 s0, s7
	s_cbranch_execz .LBB169_374
.LBB169_373:
	s_add_u32 s0, s10, s2
	v_mov_b32_e32 v0, 0
	s_addc_u32 s1, s11, s3
	s_add_u32 s0, s0, s4
	s_addc_u32 s1, s1, s5
	s_waitcnt vmcnt(0) lgkmcnt(0)
	global_store_dwordx2 v0, v[3:4], s[0:1]
.LBB169_374:
	s_endpgm
	.section	.rodata,"a",@progbits
	.p2align	6, 0x0
	.amdhsa_kernel _ZN7rocprim17ROCPRIM_400000_NS6detail17trampoline_kernelINS0_14default_configENS1_32segmented_reduce_config_selectorIdEEZNS1_21segmented_reduce_implIS3_PKdPdPKldN6hipcub16HIPCUB_304000_NS6detail27convert_result_type_wrapperIS8_S9_N2at6native12_GLOBAL__N_19CustomMinEEEEE10hipError_tPvRmT0_T1_jT2_SQ_T4_T3_P12ihipStream_tbEUlT_E_NS1_11comp_targetILNS1_3genE8ELNS1_11target_archE1030ELNS1_3gpuE2ELNS1_3repE0EEENS1_30default_config_static_selectorELNS0_4arch9wavefront6targetE0EEEvSP_
		.amdhsa_group_segment_fixed_size 64
		.amdhsa_private_segment_fixed_size 0
		.amdhsa_kernarg_size 56
		.amdhsa_user_sgpr_count 6
		.amdhsa_user_sgpr_private_segment_buffer 1
		.amdhsa_user_sgpr_dispatch_ptr 0
		.amdhsa_user_sgpr_queue_ptr 0
		.amdhsa_user_sgpr_kernarg_segment_ptr 1
		.amdhsa_user_sgpr_dispatch_id 0
		.amdhsa_user_sgpr_flat_scratch_init 0
		.amdhsa_user_sgpr_private_segment_size 0
		.amdhsa_wavefront_size32 1
		.amdhsa_uses_dynamic_stack 0
		.amdhsa_system_sgpr_private_segment_wavefront_offset 0
		.amdhsa_system_sgpr_workgroup_id_x 1
		.amdhsa_system_sgpr_workgroup_id_y 0
		.amdhsa_system_sgpr_workgroup_id_z 0
		.amdhsa_system_sgpr_workgroup_info 0
		.amdhsa_system_vgpr_workitem_id 0
		.amdhsa_next_free_vgpr 50
		.amdhsa_next_free_sgpr 22
		.amdhsa_reserve_vcc 1
		.amdhsa_reserve_flat_scratch 0
		.amdhsa_float_round_mode_32 0
		.amdhsa_float_round_mode_16_64 0
		.amdhsa_float_denorm_mode_32 3
		.amdhsa_float_denorm_mode_16_64 3
		.amdhsa_dx10_clamp 1
		.amdhsa_ieee_mode 1
		.amdhsa_fp16_overflow 0
		.amdhsa_workgroup_processor_mode 1
		.amdhsa_memory_ordered 1
		.amdhsa_forward_progress 1
		.amdhsa_shared_vgpr_count 0
		.amdhsa_exception_fp_ieee_invalid_op 0
		.amdhsa_exception_fp_denorm_src 0
		.amdhsa_exception_fp_ieee_div_zero 0
		.amdhsa_exception_fp_ieee_overflow 0
		.amdhsa_exception_fp_ieee_underflow 0
		.amdhsa_exception_fp_ieee_inexact 0
		.amdhsa_exception_int_div_zero 0
	.end_amdhsa_kernel
	.section	.text._ZN7rocprim17ROCPRIM_400000_NS6detail17trampoline_kernelINS0_14default_configENS1_32segmented_reduce_config_selectorIdEEZNS1_21segmented_reduce_implIS3_PKdPdPKldN6hipcub16HIPCUB_304000_NS6detail27convert_result_type_wrapperIS8_S9_N2at6native12_GLOBAL__N_19CustomMinEEEEE10hipError_tPvRmT0_T1_jT2_SQ_T4_T3_P12ihipStream_tbEUlT_E_NS1_11comp_targetILNS1_3genE8ELNS1_11target_archE1030ELNS1_3gpuE2ELNS1_3repE0EEENS1_30default_config_static_selectorELNS0_4arch9wavefront6targetE0EEEvSP_,"axG",@progbits,_ZN7rocprim17ROCPRIM_400000_NS6detail17trampoline_kernelINS0_14default_configENS1_32segmented_reduce_config_selectorIdEEZNS1_21segmented_reduce_implIS3_PKdPdPKldN6hipcub16HIPCUB_304000_NS6detail27convert_result_type_wrapperIS8_S9_N2at6native12_GLOBAL__N_19CustomMinEEEEE10hipError_tPvRmT0_T1_jT2_SQ_T4_T3_P12ihipStream_tbEUlT_E_NS1_11comp_targetILNS1_3genE8ELNS1_11target_archE1030ELNS1_3gpuE2ELNS1_3repE0EEENS1_30default_config_static_selectorELNS0_4arch9wavefront6targetE0EEEvSP_,comdat
.Lfunc_end169:
	.size	_ZN7rocprim17ROCPRIM_400000_NS6detail17trampoline_kernelINS0_14default_configENS1_32segmented_reduce_config_selectorIdEEZNS1_21segmented_reduce_implIS3_PKdPdPKldN6hipcub16HIPCUB_304000_NS6detail27convert_result_type_wrapperIS8_S9_N2at6native12_GLOBAL__N_19CustomMinEEEEE10hipError_tPvRmT0_T1_jT2_SQ_T4_T3_P12ihipStream_tbEUlT_E_NS1_11comp_targetILNS1_3genE8ELNS1_11target_archE1030ELNS1_3gpuE2ELNS1_3repE0EEENS1_30default_config_static_selectorELNS0_4arch9wavefront6targetE0EEEvSP_, .Lfunc_end169-_ZN7rocprim17ROCPRIM_400000_NS6detail17trampoline_kernelINS0_14default_configENS1_32segmented_reduce_config_selectorIdEEZNS1_21segmented_reduce_implIS3_PKdPdPKldN6hipcub16HIPCUB_304000_NS6detail27convert_result_type_wrapperIS8_S9_N2at6native12_GLOBAL__N_19CustomMinEEEEE10hipError_tPvRmT0_T1_jT2_SQ_T4_T3_P12ihipStream_tbEUlT_E_NS1_11comp_targetILNS1_3genE8ELNS1_11target_archE1030ELNS1_3gpuE2ELNS1_3repE0EEENS1_30default_config_static_selectorELNS0_4arch9wavefront6targetE0EEEvSP_
                                        ; -- End function
	.set _ZN7rocprim17ROCPRIM_400000_NS6detail17trampoline_kernelINS0_14default_configENS1_32segmented_reduce_config_selectorIdEEZNS1_21segmented_reduce_implIS3_PKdPdPKldN6hipcub16HIPCUB_304000_NS6detail27convert_result_type_wrapperIS8_S9_N2at6native12_GLOBAL__N_19CustomMinEEEEE10hipError_tPvRmT0_T1_jT2_SQ_T4_T3_P12ihipStream_tbEUlT_E_NS1_11comp_targetILNS1_3genE8ELNS1_11target_archE1030ELNS1_3gpuE2ELNS1_3repE0EEENS1_30default_config_static_selectorELNS0_4arch9wavefront6targetE0EEEvSP_.num_vgpr, 50
	.set _ZN7rocprim17ROCPRIM_400000_NS6detail17trampoline_kernelINS0_14default_configENS1_32segmented_reduce_config_selectorIdEEZNS1_21segmented_reduce_implIS3_PKdPdPKldN6hipcub16HIPCUB_304000_NS6detail27convert_result_type_wrapperIS8_S9_N2at6native12_GLOBAL__N_19CustomMinEEEEE10hipError_tPvRmT0_T1_jT2_SQ_T4_T3_P12ihipStream_tbEUlT_E_NS1_11comp_targetILNS1_3genE8ELNS1_11target_archE1030ELNS1_3gpuE2ELNS1_3repE0EEENS1_30default_config_static_selectorELNS0_4arch9wavefront6targetE0EEEvSP_.num_agpr, 0
	.set _ZN7rocprim17ROCPRIM_400000_NS6detail17trampoline_kernelINS0_14default_configENS1_32segmented_reduce_config_selectorIdEEZNS1_21segmented_reduce_implIS3_PKdPdPKldN6hipcub16HIPCUB_304000_NS6detail27convert_result_type_wrapperIS8_S9_N2at6native12_GLOBAL__N_19CustomMinEEEEE10hipError_tPvRmT0_T1_jT2_SQ_T4_T3_P12ihipStream_tbEUlT_E_NS1_11comp_targetILNS1_3genE8ELNS1_11target_archE1030ELNS1_3gpuE2ELNS1_3repE0EEENS1_30default_config_static_selectorELNS0_4arch9wavefront6targetE0EEEvSP_.numbered_sgpr, 22
	.set _ZN7rocprim17ROCPRIM_400000_NS6detail17trampoline_kernelINS0_14default_configENS1_32segmented_reduce_config_selectorIdEEZNS1_21segmented_reduce_implIS3_PKdPdPKldN6hipcub16HIPCUB_304000_NS6detail27convert_result_type_wrapperIS8_S9_N2at6native12_GLOBAL__N_19CustomMinEEEEE10hipError_tPvRmT0_T1_jT2_SQ_T4_T3_P12ihipStream_tbEUlT_E_NS1_11comp_targetILNS1_3genE8ELNS1_11target_archE1030ELNS1_3gpuE2ELNS1_3repE0EEENS1_30default_config_static_selectorELNS0_4arch9wavefront6targetE0EEEvSP_.num_named_barrier, 0
	.set _ZN7rocprim17ROCPRIM_400000_NS6detail17trampoline_kernelINS0_14default_configENS1_32segmented_reduce_config_selectorIdEEZNS1_21segmented_reduce_implIS3_PKdPdPKldN6hipcub16HIPCUB_304000_NS6detail27convert_result_type_wrapperIS8_S9_N2at6native12_GLOBAL__N_19CustomMinEEEEE10hipError_tPvRmT0_T1_jT2_SQ_T4_T3_P12ihipStream_tbEUlT_E_NS1_11comp_targetILNS1_3genE8ELNS1_11target_archE1030ELNS1_3gpuE2ELNS1_3repE0EEENS1_30default_config_static_selectorELNS0_4arch9wavefront6targetE0EEEvSP_.private_seg_size, 0
	.set _ZN7rocprim17ROCPRIM_400000_NS6detail17trampoline_kernelINS0_14default_configENS1_32segmented_reduce_config_selectorIdEEZNS1_21segmented_reduce_implIS3_PKdPdPKldN6hipcub16HIPCUB_304000_NS6detail27convert_result_type_wrapperIS8_S9_N2at6native12_GLOBAL__N_19CustomMinEEEEE10hipError_tPvRmT0_T1_jT2_SQ_T4_T3_P12ihipStream_tbEUlT_E_NS1_11comp_targetILNS1_3genE8ELNS1_11target_archE1030ELNS1_3gpuE2ELNS1_3repE0EEENS1_30default_config_static_selectorELNS0_4arch9wavefront6targetE0EEEvSP_.uses_vcc, 1
	.set _ZN7rocprim17ROCPRIM_400000_NS6detail17trampoline_kernelINS0_14default_configENS1_32segmented_reduce_config_selectorIdEEZNS1_21segmented_reduce_implIS3_PKdPdPKldN6hipcub16HIPCUB_304000_NS6detail27convert_result_type_wrapperIS8_S9_N2at6native12_GLOBAL__N_19CustomMinEEEEE10hipError_tPvRmT0_T1_jT2_SQ_T4_T3_P12ihipStream_tbEUlT_E_NS1_11comp_targetILNS1_3genE8ELNS1_11target_archE1030ELNS1_3gpuE2ELNS1_3repE0EEENS1_30default_config_static_selectorELNS0_4arch9wavefront6targetE0EEEvSP_.uses_flat_scratch, 0
	.set _ZN7rocprim17ROCPRIM_400000_NS6detail17trampoline_kernelINS0_14default_configENS1_32segmented_reduce_config_selectorIdEEZNS1_21segmented_reduce_implIS3_PKdPdPKldN6hipcub16HIPCUB_304000_NS6detail27convert_result_type_wrapperIS8_S9_N2at6native12_GLOBAL__N_19CustomMinEEEEE10hipError_tPvRmT0_T1_jT2_SQ_T4_T3_P12ihipStream_tbEUlT_E_NS1_11comp_targetILNS1_3genE8ELNS1_11target_archE1030ELNS1_3gpuE2ELNS1_3repE0EEENS1_30default_config_static_selectorELNS0_4arch9wavefront6targetE0EEEvSP_.has_dyn_sized_stack, 0
	.set _ZN7rocprim17ROCPRIM_400000_NS6detail17trampoline_kernelINS0_14default_configENS1_32segmented_reduce_config_selectorIdEEZNS1_21segmented_reduce_implIS3_PKdPdPKldN6hipcub16HIPCUB_304000_NS6detail27convert_result_type_wrapperIS8_S9_N2at6native12_GLOBAL__N_19CustomMinEEEEE10hipError_tPvRmT0_T1_jT2_SQ_T4_T3_P12ihipStream_tbEUlT_E_NS1_11comp_targetILNS1_3genE8ELNS1_11target_archE1030ELNS1_3gpuE2ELNS1_3repE0EEENS1_30default_config_static_selectorELNS0_4arch9wavefront6targetE0EEEvSP_.has_recursion, 0
	.set _ZN7rocprim17ROCPRIM_400000_NS6detail17trampoline_kernelINS0_14default_configENS1_32segmented_reduce_config_selectorIdEEZNS1_21segmented_reduce_implIS3_PKdPdPKldN6hipcub16HIPCUB_304000_NS6detail27convert_result_type_wrapperIS8_S9_N2at6native12_GLOBAL__N_19CustomMinEEEEE10hipError_tPvRmT0_T1_jT2_SQ_T4_T3_P12ihipStream_tbEUlT_E_NS1_11comp_targetILNS1_3genE8ELNS1_11target_archE1030ELNS1_3gpuE2ELNS1_3repE0EEENS1_30default_config_static_selectorELNS0_4arch9wavefront6targetE0EEEvSP_.has_indirect_call, 0
	.section	.AMDGPU.csdata,"",@progbits
; Kernel info:
; codeLenInByte = 7496
; TotalNumSgprs: 24
; NumVgprs: 50
; ScratchSize: 0
; MemoryBound: 1
; FloatMode: 240
; IeeeMode: 1
; LDSByteSize: 64 bytes/workgroup (compile time only)
; SGPRBlocks: 0
; VGPRBlocks: 6
; NumSGPRsForWavesPerEU: 24
; NumVGPRsForWavesPerEU: 50
; Occupancy: 16
; WaveLimiterHint : 1
; COMPUTE_PGM_RSRC2:SCRATCH_EN: 0
; COMPUTE_PGM_RSRC2:USER_SGPR: 6
; COMPUTE_PGM_RSRC2:TRAP_HANDLER: 0
; COMPUTE_PGM_RSRC2:TGID_X_EN: 1
; COMPUTE_PGM_RSRC2:TGID_Y_EN: 0
; COMPUTE_PGM_RSRC2:TGID_Z_EN: 0
; COMPUTE_PGM_RSRC2:TIDIG_COMP_CNT: 0
	.section	.text._ZN7rocprim17ROCPRIM_400000_NS6detail17trampoline_kernelINS0_14default_configENS1_32segmented_reduce_config_selectorIdEEZNS1_21segmented_reduce_implIS3_PKdPdPKldN6hipcub16HIPCUB_304000_NS6detail27convert_result_type_wrapperIS8_S9_N2at6native12_GLOBAL__N_110CustomProdEEEEE10hipError_tPvRmT0_T1_jT2_SQ_T4_T3_P12ihipStream_tbEUlT_E_NS1_11comp_targetILNS1_3genE0ELNS1_11target_archE4294967295ELNS1_3gpuE0ELNS1_3repE0EEENS1_30default_config_static_selectorELNS0_4arch9wavefront6targetE0EEEvSP_,"axG",@progbits,_ZN7rocprim17ROCPRIM_400000_NS6detail17trampoline_kernelINS0_14default_configENS1_32segmented_reduce_config_selectorIdEEZNS1_21segmented_reduce_implIS3_PKdPdPKldN6hipcub16HIPCUB_304000_NS6detail27convert_result_type_wrapperIS8_S9_N2at6native12_GLOBAL__N_110CustomProdEEEEE10hipError_tPvRmT0_T1_jT2_SQ_T4_T3_P12ihipStream_tbEUlT_E_NS1_11comp_targetILNS1_3genE0ELNS1_11target_archE4294967295ELNS1_3gpuE0ELNS1_3repE0EEENS1_30default_config_static_selectorELNS0_4arch9wavefront6targetE0EEEvSP_,comdat
	.globl	_ZN7rocprim17ROCPRIM_400000_NS6detail17trampoline_kernelINS0_14default_configENS1_32segmented_reduce_config_selectorIdEEZNS1_21segmented_reduce_implIS3_PKdPdPKldN6hipcub16HIPCUB_304000_NS6detail27convert_result_type_wrapperIS8_S9_N2at6native12_GLOBAL__N_110CustomProdEEEEE10hipError_tPvRmT0_T1_jT2_SQ_T4_T3_P12ihipStream_tbEUlT_E_NS1_11comp_targetILNS1_3genE0ELNS1_11target_archE4294967295ELNS1_3gpuE0ELNS1_3repE0EEENS1_30default_config_static_selectorELNS0_4arch9wavefront6targetE0EEEvSP_ ; -- Begin function _ZN7rocprim17ROCPRIM_400000_NS6detail17trampoline_kernelINS0_14default_configENS1_32segmented_reduce_config_selectorIdEEZNS1_21segmented_reduce_implIS3_PKdPdPKldN6hipcub16HIPCUB_304000_NS6detail27convert_result_type_wrapperIS8_S9_N2at6native12_GLOBAL__N_110CustomProdEEEEE10hipError_tPvRmT0_T1_jT2_SQ_T4_T3_P12ihipStream_tbEUlT_E_NS1_11comp_targetILNS1_3genE0ELNS1_11target_archE4294967295ELNS1_3gpuE0ELNS1_3repE0EEENS1_30default_config_static_selectorELNS0_4arch9wavefront6targetE0EEEvSP_
	.p2align	8
	.type	_ZN7rocprim17ROCPRIM_400000_NS6detail17trampoline_kernelINS0_14default_configENS1_32segmented_reduce_config_selectorIdEEZNS1_21segmented_reduce_implIS3_PKdPdPKldN6hipcub16HIPCUB_304000_NS6detail27convert_result_type_wrapperIS8_S9_N2at6native12_GLOBAL__N_110CustomProdEEEEE10hipError_tPvRmT0_T1_jT2_SQ_T4_T3_P12ihipStream_tbEUlT_E_NS1_11comp_targetILNS1_3genE0ELNS1_11target_archE4294967295ELNS1_3gpuE0ELNS1_3repE0EEENS1_30default_config_static_selectorELNS0_4arch9wavefront6targetE0EEEvSP_,@function
_ZN7rocprim17ROCPRIM_400000_NS6detail17trampoline_kernelINS0_14default_configENS1_32segmented_reduce_config_selectorIdEEZNS1_21segmented_reduce_implIS3_PKdPdPKldN6hipcub16HIPCUB_304000_NS6detail27convert_result_type_wrapperIS8_S9_N2at6native12_GLOBAL__N_110CustomProdEEEEE10hipError_tPvRmT0_T1_jT2_SQ_T4_T3_P12ihipStream_tbEUlT_E_NS1_11comp_targetILNS1_3genE0ELNS1_11target_archE4294967295ELNS1_3gpuE0ELNS1_3repE0EEENS1_30default_config_static_selectorELNS0_4arch9wavefront6targetE0EEEvSP_: ; @_ZN7rocprim17ROCPRIM_400000_NS6detail17trampoline_kernelINS0_14default_configENS1_32segmented_reduce_config_selectorIdEEZNS1_21segmented_reduce_implIS3_PKdPdPKldN6hipcub16HIPCUB_304000_NS6detail27convert_result_type_wrapperIS8_S9_N2at6native12_GLOBAL__N_110CustomProdEEEEE10hipError_tPvRmT0_T1_jT2_SQ_T4_T3_P12ihipStream_tbEUlT_E_NS1_11comp_targetILNS1_3genE0ELNS1_11target_archE4294967295ELNS1_3gpuE0ELNS1_3repE0EEENS1_30default_config_static_selectorELNS0_4arch9wavefront6targetE0EEEvSP_
; %bb.0:
	.section	.rodata,"a",@progbits
	.p2align	6, 0x0
	.amdhsa_kernel _ZN7rocprim17ROCPRIM_400000_NS6detail17trampoline_kernelINS0_14default_configENS1_32segmented_reduce_config_selectorIdEEZNS1_21segmented_reduce_implIS3_PKdPdPKldN6hipcub16HIPCUB_304000_NS6detail27convert_result_type_wrapperIS8_S9_N2at6native12_GLOBAL__N_110CustomProdEEEEE10hipError_tPvRmT0_T1_jT2_SQ_T4_T3_P12ihipStream_tbEUlT_E_NS1_11comp_targetILNS1_3genE0ELNS1_11target_archE4294967295ELNS1_3gpuE0ELNS1_3repE0EEENS1_30default_config_static_selectorELNS0_4arch9wavefront6targetE0EEEvSP_
		.amdhsa_group_segment_fixed_size 0
		.amdhsa_private_segment_fixed_size 0
		.amdhsa_kernarg_size 56
		.amdhsa_user_sgpr_count 6
		.amdhsa_user_sgpr_private_segment_buffer 1
		.amdhsa_user_sgpr_dispatch_ptr 0
		.amdhsa_user_sgpr_queue_ptr 0
		.amdhsa_user_sgpr_kernarg_segment_ptr 1
		.amdhsa_user_sgpr_dispatch_id 0
		.amdhsa_user_sgpr_flat_scratch_init 0
		.amdhsa_user_sgpr_private_segment_size 0
		.amdhsa_wavefront_size32 1
		.amdhsa_uses_dynamic_stack 0
		.amdhsa_system_sgpr_private_segment_wavefront_offset 0
		.amdhsa_system_sgpr_workgroup_id_x 1
		.amdhsa_system_sgpr_workgroup_id_y 0
		.amdhsa_system_sgpr_workgroup_id_z 0
		.amdhsa_system_sgpr_workgroup_info 0
		.amdhsa_system_vgpr_workitem_id 0
		.amdhsa_next_free_vgpr 1
		.amdhsa_next_free_sgpr 1
		.amdhsa_reserve_vcc 0
		.amdhsa_reserve_flat_scratch 0
		.amdhsa_float_round_mode_32 0
		.amdhsa_float_round_mode_16_64 0
		.amdhsa_float_denorm_mode_32 3
		.amdhsa_float_denorm_mode_16_64 3
		.amdhsa_dx10_clamp 1
		.amdhsa_ieee_mode 1
		.amdhsa_fp16_overflow 0
		.amdhsa_workgroup_processor_mode 1
		.amdhsa_memory_ordered 1
		.amdhsa_forward_progress 1
		.amdhsa_shared_vgpr_count 0
		.amdhsa_exception_fp_ieee_invalid_op 0
		.amdhsa_exception_fp_denorm_src 0
		.amdhsa_exception_fp_ieee_div_zero 0
		.amdhsa_exception_fp_ieee_overflow 0
		.amdhsa_exception_fp_ieee_underflow 0
		.amdhsa_exception_fp_ieee_inexact 0
		.amdhsa_exception_int_div_zero 0
	.end_amdhsa_kernel
	.section	.text._ZN7rocprim17ROCPRIM_400000_NS6detail17trampoline_kernelINS0_14default_configENS1_32segmented_reduce_config_selectorIdEEZNS1_21segmented_reduce_implIS3_PKdPdPKldN6hipcub16HIPCUB_304000_NS6detail27convert_result_type_wrapperIS8_S9_N2at6native12_GLOBAL__N_110CustomProdEEEEE10hipError_tPvRmT0_T1_jT2_SQ_T4_T3_P12ihipStream_tbEUlT_E_NS1_11comp_targetILNS1_3genE0ELNS1_11target_archE4294967295ELNS1_3gpuE0ELNS1_3repE0EEENS1_30default_config_static_selectorELNS0_4arch9wavefront6targetE0EEEvSP_,"axG",@progbits,_ZN7rocprim17ROCPRIM_400000_NS6detail17trampoline_kernelINS0_14default_configENS1_32segmented_reduce_config_selectorIdEEZNS1_21segmented_reduce_implIS3_PKdPdPKldN6hipcub16HIPCUB_304000_NS6detail27convert_result_type_wrapperIS8_S9_N2at6native12_GLOBAL__N_110CustomProdEEEEE10hipError_tPvRmT0_T1_jT2_SQ_T4_T3_P12ihipStream_tbEUlT_E_NS1_11comp_targetILNS1_3genE0ELNS1_11target_archE4294967295ELNS1_3gpuE0ELNS1_3repE0EEENS1_30default_config_static_selectorELNS0_4arch9wavefront6targetE0EEEvSP_,comdat
.Lfunc_end170:
	.size	_ZN7rocprim17ROCPRIM_400000_NS6detail17trampoline_kernelINS0_14default_configENS1_32segmented_reduce_config_selectorIdEEZNS1_21segmented_reduce_implIS3_PKdPdPKldN6hipcub16HIPCUB_304000_NS6detail27convert_result_type_wrapperIS8_S9_N2at6native12_GLOBAL__N_110CustomProdEEEEE10hipError_tPvRmT0_T1_jT2_SQ_T4_T3_P12ihipStream_tbEUlT_E_NS1_11comp_targetILNS1_3genE0ELNS1_11target_archE4294967295ELNS1_3gpuE0ELNS1_3repE0EEENS1_30default_config_static_selectorELNS0_4arch9wavefront6targetE0EEEvSP_, .Lfunc_end170-_ZN7rocprim17ROCPRIM_400000_NS6detail17trampoline_kernelINS0_14default_configENS1_32segmented_reduce_config_selectorIdEEZNS1_21segmented_reduce_implIS3_PKdPdPKldN6hipcub16HIPCUB_304000_NS6detail27convert_result_type_wrapperIS8_S9_N2at6native12_GLOBAL__N_110CustomProdEEEEE10hipError_tPvRmT0_T1_jT2_SQ_T4_T3_P12ihipStream_tbEUlT_E_NS1_11comp_targetILNS1_3genE0ELNS1_11target_archE4294967295ELNS1_3gpuE0ELNS1_3repE0EEENS1_30default_config_static_selectorELNS0_4arch9wavefront6targetE0EEEvSP_
                                        ; -- End function
	.set _ZN7rocprim17ROCPRIM_400000_NS6detail17trampoline_kernelINS0_14default_configENS1_32segmented_reduce_config_selectorIdEEZNS1_21segmented_reduce_implIS3_PKdPdPKldN6hipcub16HIPCUB_304000_NS6detail27convert_result_type_wrapperIS8_S9_N2at6native12_GLOBAL__N_110CustomProdEEEEE10hipError_tPvRmT0_T1_jT2_SQ_T4_T3_P12ihipStream_tbEUlT_E_NS1_11comp_targetILNS1_3genE0ELNS1_11target_archE4294967295ELNS1_3gpuE0ELNS1_3repE0EEENS1_30default_config_static_selectorELNS0_4arch9wavefront6targetE0EEEvSP_.num_vgpr, 0
	.set _ZN7rocprim17ROCPRIM_400000_NS6detail17trampoline_kernelINS0_14default_configENS1_32segmented_reduce_config_selectorIdEEZNS1_21segmented_reduce_implIS3_PKdPdPKldN6hipcub16HIPCUB_304000_NS6detail27convert_result_type_wrapperIS8_S9_N2at6native12_GLOBAL__N_110CustomProdEEEEE10hipError_tPvRmT0_T1_jT2_SQ_T4_T3_P12ihipStream_tbEUlT_E_NS1_11comp_targetILNS1_3genE0ELNS1_11target_archE4294967295ELNS1_3gpuE0ELNS1_3repE0EEENS1_30default_config_static_selectorELNS0_4arch9wavefront6targetE0EEEvSP_.num_agpr, 0
	.set _ZN7rocprim17ROCPRIM_400000_NS6detail17trampoline_kernelINS0_14default_configENS1_32segmented_reduce_config_selectorIdEEZNS1_21segmented_reduce_implIS3_PKdPdPKldN6hipcub16HIPCUB_304000_NS6detail27convert_result_type_wrapperIS8_S9_N2at6native12_GLOBAL__N_110CustomProdEEEEE10hipError_tPvRmT0_T1_jT2_SQ_T4_T3_P12ihipStream_tbEUlT_E_NS1_11comp_targetILNS1_3genE0ELNS1_11target_archE4294967295ELNS1_3gpuE0ELNS1_3repE0EEENS1_30default_config_static_selectorELNS0_4arch9wavefront6targetE0EEEvSP_.numbered_sgpr, 0
	.set _ZN7rocprim17ROCPRIM_400000_NS6detail17trampoline_kernelINS0_14default_configENS1_32segmented_reduce_config_selectorIdEEZNS1_21segmented_reduce_implIS3_PKdPdPKldN6hipcub16HIPCUB_304000_NS6detail27convert_result_type_wrapperIS8_S9_N2at6native12_GLOBAL__N_110CustomProdEEEEE10hipError_tPvRmT0_T1_jT2_SQ_T4_T3_P12ihipStream_tbEUlT_E_NS1_11comp_targetILNS1_3genE0ELNS1_11target_archE4294967295ELNS1_3gpuE0ELNS1_3repE0EEENS1_30default_config_static_selectorELNS0_4arch9wavefront6targetE0EEEvSP_.num_named_barrier, 0
	.set _ZN7rocprim17ROCPRIM_400000_NS6detail17trampoline_kernelINS0_14default_configENS1_32segmented_reduce_config_selectorIdEEZNS1_21segmented_reduce_implIS3_PKdPdPKldN6hipcub16HIPCUB_304000_NS6detail27convert_result_type_wrapperIS8_S9_N2at6native12_GLOBAL__N_110CustomProdEEEEE10hipError_tPvRmT0_T1_jT2_SQ_T4_T3_P12ihipStream_tbEUlT_E_NS1_11comp_targetILNS1_3genE0ELNS1_11target_archE4294967295ELNS1_3gpuE0ELNS1_3repE0EEENS1_30default_config_static_selectorELNS0_4arch9wavefront6targetE0EEEvSP_.private_seg_size, 0
	.set _ZN7rocprim17ROCPRIM_400000_NS6detail17trampoline_kernelINS0_14default_configENS1_32segmented_reduce_config_selectorIdEEZNS1_21segmented_reduce_implIS3_PKdPdPKldN6hipcub16HIPCUB_304000_NS6detail27convert_result_type_wrapperIS8_S9_N2at6native12_GLOBAL__N_110CustomProdEEEEE10hipError_tPvRmT0_T1_jT2_SQ_T4_T3_P12ihipStream_tbEUlT_E_NS1_11comp_targetILNS1_3genE0ELNS1_11target_archE4294967295ELNS1_3gpuE0ELNS1_3repE0EEENS1_30default_config_static_selectorELNS0_4arch9wavefront6targetE0EEEvSP_.uses_vcc, 0
	.set _ZN7rocprim17ROCPRIM_400000_NS6detail17trampoline_kernelINS0_14default_configENS1_32segmented_reduce_config_selectorIdEEZNS1_21segmented_reduce_implIS3_PKdPdPKldN6hipcub16HIPCUB_304000_NS6detail27convert_result_type_wrapperIS8_S9_N2at6native12_GLOBAL__N_110CustomProdEEEEE10hipError_tPvRmT0_T1_jT2_SQ_T4_T3_P12ihipStream_tbEUlT_E_NS1_11comp_targetILNS1_3genE0ELNS1_11target_archE4294967295ELNS1_3gpuE0ELNS1_3repE0EEENS1_30default_config_static_selectorELNS0_4arch9wavefront6targetE0EEEvSP_.uses_flat_scratch, 0
	.set _ZN7rocprim17ROCPRIM_400000_NS6detail17trampoline_kernelINS0_14default_configENS1_32segmented_reduce_config_selectorIdEEZNS1_21segmented_reduce_implIS3_PKdPdPKldN6hipcub16HIPCUB_304000_NS6detail27convert_result_type_wrapperIS8_S9_N2at6native12_GLOBAL__N_110CustomProdEEEEE10hipError_tPvRmT0_T1_jT2_SQ_T4_T3_P12ihipStream_tbEUlT_E_NS1_11comp_targetILNS1_3genE0ELNS1_11target_archE4294967295ELNS1_3gpuE0ELNS1_3repE0EEENS1_30default_config_static_selectorELNS0_4arch9wavefront6targetE0EEEvSP_.has_dyn_sized_stack, 0
	.set _ZN7rocprim17ROCPRIM_400000_NS6detail17trampoline_kernelINS0_14default_configENS1_32segmented_reduce_config_selectorIdEEZNS1_21segmented_reduce_implIS3_PKdPdPKldN6hipcub16HIPCUB_304000_NS6detail27convert_result_type_wrapperIS8_S9_N2at6native12_GLOBAL__N_110CustomProdEEEEE10hipError_tPvRmT0_T1_jT2_SQ_T4_T3_P12ihipStream_tbEUlT_E_NS1_11comp_targetILNS1_3genE0ELNS1_11target_archE4294967295ELNS1_3gpuE0ELNS1_3repE0EEENS1_30default_config_static_selectorELNS0_4arch9wavefront6targetE0EEEvSP_.has_recursion, 0
	.set _ZN7rocprim17ROCPRIM_400000_NS6detail17trampoline_kernelINS0_14default_configENS1_32segmented_reduce_config_selectorIdEEZNS1_21segmented_reduce_implIS3_PKdPdPKldN6hipcub16HIPCUB_304000_NS6detail27convert_result_type_wrapperIS8_S9_N2at6native12_GLOBAL__N_110CustomProdEEEEE10hipError_tPvRmT0_T1_jT2_SQ_T4_T3_P12ihipStream_tbEUlT_E_NS1_11comp_targetILNS1_3genE0ELNS1_11target_archE4294967295ELNS1_3gpuE0ELNS1_3repE0EEENS1_30default_config_static_selectorELNS0_4arch9wavefront6targetE0EEEvSP_.has_indirect_call, 0
	.section	.AMDGPU.csdata,"",@progbits
; Kernel info:
; codeLenInByte = 0
; TotalNumSgprs: 0
; NumVgprs: 0
; ScratchSize: 0
; MemoryBound: 0
; FloatMode: 240
; IeeeMode: 1
; LDSByteSize: 0 bytes/workgroup (compile time only)
; SGPRBlocks: 0
; VGPRBlocks: 0
; NumSGPRsForWavesPerEU: 1
; NumVGPRsForWavesPerEU: 1
; Occupancy: 16
; WaveLimiterHint : 0
; COMPUTE_PGM_RSRC2:SCRATCH_EN: 0
; COMPUTE_PGM_RSRC2:USER_SGPR: 6
; COMPUTE_PGM_RSRC2:TRAP_HANDLER: 0
; COMPUTE_PGM_RSRC2:TGID_X_EN: 1
; COMPUTE_PGM_RSRC2:TGID_Y_EN: 0
; COMPUTE_PGM_RSRC2:TGID_Z_EN: 0
; COMPUTE_PGM_RSRC2:TIDIG_COMP_CNT: 0
	.section	.text._ZN7rocprim17ROCPRIM_400000_NS6detail17trampoline_kernelINS0_14default_configENS1_32segmented_reduce_config_selectorIdEEZNS1_21segmented_reduce_implIS3_PKdPdPKldN6hipcub16HIPCUB_304000_NS6detail27convert_result_type_wrapperIS8_S9_N2at6native12_GLOBAL__N_110CustomProdEEEEE10hipError_tPvRmT0_T1_jT2_SQ_T4_T3_P12ihipStream_tbEUlT_E_NS1_11comp_targetILNS1_3genE5ELNS1_11target_archE942ELNS1_3gpuE9ELNS1_3repE0EEENS1_30default_config_static_selectorELNS0_4arch9wavefront6targetE0EEEvSP_,"axG",@progbits,_ZN7rocprim17ROCPRIM_400000_NS6detail17trampoline_kernelINS0_14default_configENS1_32segmented_reduce_config_selectorIdEEZNS1_21segmented_reduce_implIS3_PKdPdPKldN6hipcub16HIPCUB_304000_NS6detail27convert_result_type_wrapperIS8_S9_N2at6native12_GLOBAL__N_110CustomProdEEEEE10hipError_tPvRmT0_T1_jT2_SQ_T4_T3_P12ihipStream_tbEUlT_E_NS1_11comp_targetILNS1_3genE5ELNS1_11target_archE942ELNS1_3gpuE9ELNS1_3repE0EEENS1_30default_config_static_selectorELNS0_4arch9wavefront6targetE0EEEvSP_,comdat
	.globl	_ZN7rocprim17ROCPRIM_400000_NS6detail17trampoline_kernelINS0_14default_configENS1_32segmented_reduce_config_selectorIdEEZNS1_21segmented_reduce_implIS3_PKdPdPKldN6hipcub16HIPCUB_304000_NS6detail27convert_result_type_wrapperIS8_S9_N2at6native12_GLOBAL__N_110CustomProdEEEEE10hipError_tPvRmT0_T1_jT2_SQ_T4_T3_P12ihipStream_tbEUlT_E_NS1_11comp_targetILNS1_3genE5ELNS1_11target_archE942ELNS1_3gpuE9ELNS1_3repE0EEENS1_30default_config_static_selectorELNS0_4arch9wavefront6targetE0EEEvSP_ ; -- Begin function _ZN7rocprim17ROCPRIM_400000_NS6detail17trampoline_kernelINS0_14default_configENS1_32segmented_reduce_config_selectorIdEEZNS1_21segmented_reduce_implIS3_PKdPdPKldN6hipcub16HIPCUB_304000_NS6detail27convert_result_type_wrapperIS8_S9_N2at6native12_GLOBAL__N_110CustomProdEEEEE10hipError_tPvRmT0_T1_jT2_SQ_T4_T3_P12ihipStream_tbEUlT_E_NS1_11comp_targetILNS1_3genE5ELNS1_11target_archE942ELNS1_3gpuE9ELNS1_3repE0EEENS1_30default_config_static_selectorELNS0_4arch9wavefront6targetE0EEEvSP_
	.p2align	8
	.type	_ZN7rocprim17ROCPRIM_400000_NS6detail17trampoline_kernelINS0_14default_configENS1_32segmented_reduce_config_selectorIdEEZNS1_21segmented_reduce_implIS3_PKdPdPKldN6hipcub16HIPCUB_304000_NS6detail27convert_result_type_wrapperIS8_S9_N2at6native12_GLOBAL__N_110CustomProdEEEEE10hipError_tPvRmT0_T1_jT2_SQ_T4_T3_P12ihipStream_tbEUlT_E_NS1_11comp_targetILNS1_3genE5ELNS1_11target_archE942ELNS1_3gpuE9ELNS1_3repE0EEENS1_30default_config_static_selectorELNS0_4arch9wavefront6targetE0EEEvSP_,@function
_ZN7rocprim17ROCPRIM_400000_NS6detail17trampoline_kernelINS0_14default_configENS1_32segmented_reduce_config_selectorIdEEZNS1_21segmented_reduce_implIS3_PKdPdPKldN6hipcub16HIPCUB_304000_NS6detail27convert_result_type_wrapperIS8_S9_N2at6native12_GLOBAL__N_110CustomProdEEEEE10hipError_tPvRmT0_T1_jT2_SQ_T4_T3_P12ihipStream_tbEUlT_E_NS1_11comp_targetILNS1_3genE5ELNS1_11target_archE942ELNS1_3gpuE9ELNS1_3repE0EEENS1_30default_config_static_selectorELNS0_4arch9wavefront6targetE0EEEvSP_: ; @_ZN7rocprim17ROCPRIM_400000_NS6detail17trampoline_kernelINS0_14default_configENS1_32segmented_reduce_config_selectorIdEEZNS1_21segmented_reduce_implIS3_PKdPdPKldN6hipcub16HIPCUB_304000_NS6detail27convert_result_type_wrapperIS8_S9_N2at6native12_GLOBAL__N_110CustomProdEEEEE10hipError_tPvRmT0_T1_jT2_SQ_T4_T3_P12ihipStream_tbEUlT_E_NS1_11comp_targetILNS1_3genE5ELNS1_11target_archE942ELNS1_3gpuE9ELNS1_3repE0EEENS1_30default_config_static_selectorELNS0_4arch9wavefront6targetE0EEEvSP_
; %bb.0:
	.section	.rodata,"a",@progbits
	.p2align	6, 0x0
	.amdhsa_kernel _ZN7rocprim17ROCPRIM_400000_NS6detail17trampoline_kernelINS0_14default_configENS1_32segmented_reduce_config_selectorIdEEZNS1_21segmented_reduce_implIS3_PKdPdPKldN6hipcub16HIPCUB_304000_NS6detail27convert_result_type_wrapperIS8_S9_N2at6native12_GLOBAL__N_110CustomProdEEEEE10hipError_tPvRmT0_T1_jT2_SQ_T4_T3_P12ihipStream_tbEUlT_E_NS1_11comp_targetILNS1_3genE5ELNS1_11target_archE942ELNS1_3gpuE9ELNS1_3repE0EEENS1_30default_config_static_selectorELNS0_4arch9wavefront6targetE0EEEvSP_
		.amdhsa_group_segment_fixed_size 0
		.amdhsa_private_segment_fixed_size 0
		.amdhsa_kernarg_size 56
		.amdhsa_user_sgpr_count 6
		.amdhsa_user_sgpr_private_segment_buffer 1
		.amdhsa_user_sgpr_dispatch_ptr 0
		.amdhsa_user_sgpr_queue_ptr 0
		.amdhsa_user_sgpr_kernarg_segment_ptr 1
		.amdhsa_user_sgpr_dispatch_id 0
		.amdhsa_user_sgpr_flat_scratch_init 0
		.amdhsa_user_sgpr_private_segment_size 0
		.amdhsa_wavefront_size32 1
		.amdhsa_uses_dynamic_stack 0
		.amdhsa_system_sgpr_private_segment_wavefront_offset 0
		.amdhsa_system_sgpr_workgroup_id_x 1
		.amdhsa_system_sgpr_workgroup_id_y 0
		.amdhsa_system_sgpr_workgroup_id_z 0
		.amdhsa_system_sgpr_workgroup_info 0
		.amdhsa_system_vgpr_workitem_id 0
		.amdhsa_next_free_vgpr 1
		.amdhsa_next_free_sgpr 1
		.amdhsa_reserve_vcc 0
		.amdhsa_reserve_flat_scratch 0
		.amdhsa_float_round_mode_32 0
		.amdhsa_float_round_mode_16_64 0
		.amdhsa_float_denorm_mode_32 3
		.amdhsa_float_denorm_mode_16_64 3
		.amdhsa_dx10_clamp 1
		.amdhsa_ieee_mode 1
		.amdhsa_fp16_overflow 0
		.amdhsa_workgroup_processor_mode 1
		.amdhsa_memory_ordered 1
		.amdhsa_forward_progress 1
		.amdhsa_shared_vgpr_count 0
		.amdhsa_exception_fp_ieee_invalid_op 0
		.amdhsa_exception_fp_denorm_src 0
		.amdhsa_exception_fp_ieee_div_zero 0
		.amdhsa_exception_fp_ieee_overflow 0
		.amdhsa_exception_fp_ieee_underflow 0
		.amdhsa_exception_fp_ieee_inexact 0
		.amdhsa_exception_int_div_zero 0
	.end_amdhsa_kernel
	.section	.text._ZN7rocprim17ROCPRIM_400000_NS6detail17trampoline_kernelINS0_14default_configENS1_32segmented_reduce_config_selectorIdEEZNS1_21segmented_reduce_implIS3_PKdPdPKldN6hipcub16HIPCUB_304000_NS6detail27convert_result_type_wrapperIS8_S9_N2at6native12_GLOBAL__N_110CustomProdEEEEE10hipError_tPvRmT0_T1_jT2_SQ_T4_T3_P12ihipStream_tbEUlT_E_NS1_11comp_targetILNS1_3genE5ELNS1_11target_archE942ELNS1_3gpuE9ELNS1_3repE0EEENS1_30default_config_static_selectorELNS0_4arch9wavefront6targetE0EEEvSP_,"axG",@progbits,_ZN7rocprim17ROCPRIM_400000_NS6detail17trampoline_kernelINS0_14default_configENS1_32segmented_reduce_config_selectorIdEEZNS1_21segmented_reduce_implIS3_PKdPdPKldN6hipcub16HIPCUB_304000_NS6detail27convert_result_type_wrapperIS8_S9_N2at6native12_GLOBAL__N_110CustomProdEEEEE10hipError_tPvRmT0_T1_jT2_SQ_T4_T3_P12ihipStream_tbEUlT_E_NS1_11comp_targetILNS1_3genE5ELNS1_11target_archE942ELNS1_3gpuE9ELNS1_3repE0EEENS1_30default_config_static_selectorELNS0_4arch9wavefront6targetE0EEEvSP_,comdat
.Lfunc_end171:
	.size	_ZN7rocprim17ROCPRIM_400000_NS6detail17trampoline_kernelINS0_14default_configENS1_32segmented_reduce_config_selectorIdEEZNS1_21segmented_reduce_implIS3_PKdPdPKldN6hipcub16HIPCUB_304000_NS6detail27convert_result_type_wrapperIS8_S9_N2at6native12_GLOBAL__N_110CustomProdEEEEE10hipError_tPvRmT0_T1_jT2_SQ_T4_T3_P12ihipStream_tbEUlT_E_NS1_11comp_targetILNS1_3genE5ELNS1_11target_archE942ELNS1_3gpuE9ELNS1_3repE0EEENS1_30default_config_static_selectorELNS0_4arch9wavefront6targetE0EEEvSP_, .Lfunc_end171-_ZN7rocprim17ROCPRIM_400000_NS6detail17trampoline_kernelINS0_14default_configENS1_32segmented_reduce_config_selectorIdEEZNS1_21segmented_reduce_implIS3_PKdPdPKldN6hipcub16HIPCUB_304000_NS6detail27convert_result_type_wrapperIS8_S9_N2at6native12_GLOBAL__N_110CustomProdEEEEE10hipError_tPvRmT0_T1_jT2_SQ_T4_T3_P12ihipStream_tbEUlT_E_NS1_11comp_targetILNS1_3genE5ELNS1_11target_archE942ELNS1_3gpuE9ELNS1_3repE0EEENS1_30default_config_static_selectorELNS0_4arch9wavefront6targetE0EEEvSP_
                                        ; -- End function
	.set _ZN7rocprim17ROCPRIM_400000_NS6detail17trampoline_kernelINS0_14default_configENS1_32segmented_reduce_config_selectorIdEEZNS1_21segmented_reduce_implIS3_PKdPdPKldN6hipcub16HIPCUB_304000_NS6detail27convert_result_type_wrapperIS8_S9_N2at6native12_GLOBAL__N_110CustomProdEEEEE10hipError_tPvRmT0_T1_jT2_SQ_T4_T3_P12ihipStream_tbEUlT_E_NS1_11comp_targetILNS1_3genE5ELNS1_11target_archE942ELNS1_3gpuE9ELNS1_3repE0EEENS1_30default_config_static_selectorELNS0_4arch9wavefront6targetE0EEEvSP_.num_vgpr, 0
	.set _ZN7rocprim17ROCPRIM_400000_NS6detail17trampoline_kernelINS0_14default_configENS1_32segmented_reduce_config_selectorIdEEZNS1_21segmented_reduce_implIS3_PKdPdPKldN6hipcub16HIPCUB_304000_NS6detail27convert_result_type_wrapperIS8_S9_N2at6native12_GLOBAL__N_110CustomProdEEEEE10hipError_tPvRmT0_T1_jT2_SQ_T4_T3_P12ihipStream_tbEUlT_E_NS1_11comp_targetILNS1_3genE5ELNS1_11target_archE942ELNS1_3gpuE9ELNS1_3repE0EEENS1_30default_config_static_selectorELNS0_4arch9wavefront6targetE0EEEvSP_.num_agpr, 0
	.set _ZN7rocprim17ROCPRIM_400000_NS6detail17trampoline_kernelINS0_14default_configENS1_32segmented_reduce_config_selectorIdEEZNS1_21segmented_reduce_implIS3_PKdPdPKldN6hipcub16HIPCUB_304000_NS6detail27convert_result_type_wrapperIS8_S9_N2at6native12_GLOBAL__N_110CustomProdEEEEE10hipError_tPvRmT0_T1_jT2_SQ_T4_T3_P12ihipStream_tbEUlT_E_NS1_11comp_targetILNS1_3genE5ELNS1_11target_archE942ELNS1_3gpuE9ELNS1_3repE0EEENS1_30default_config_static_selectorELNS0_4arch9wavefront6targetE0EEEvSP_.numbered_sgpr, 0
	.set _ZN7rocprim17ROCPRIM_400000_NS6detail17trampoline_kernelINS0_14default_configENS1_32segmented_reduce_config_selectorIdEEZNS1_21segmented_reduce_implIS3_PKdPdPKldN6hipcub16HIPCUB_304000_NS6detail27convert_result_type_wrapperIS8_S9_N2at6native12_GLOBAL__N_110CustomProdEEEEE10hipError_tPvRmT0_T1_jT2_SQ_T4_T3_P12ihipStream_tbEUlT_E_NS1_11comp_targetILNS1_3genE5ELNS1_11target_archE942ELNS1_3gpuE9ELNS1_3repE0EEENS1_30default_config_static_selectorELNS0_4arch9wavefront6targetE0EEEvSP_.num_named_barrier, 0
	.set _ZN7rocprim17ROCPRIM_400000_NS6detail17trampoline_kernelINS0_14default_configENS1_32segmented_reduce_config_selectorIdEEZNS1_21segmented_reduce_implIS3_PKdPdPKldN6hipcub16HIPCUB_304000_NS6detail27convert_result_type_wrapperIS8_S9_N2at6native12_GLOBAL__N_110CustomProdEEEEE10hipError_tPvRmT0_T1_jT2_SQ_T4_T3_P12ihipStream_tbEUlT_E_NS1_11comp_targetILNS1_3genE5ELNS1_11target_archE942ELNS1_3gpuE9ELNS1_3repE0EEENS1_30default_config_static_selectorELNS0_4arch9wavefront6targetE0EEEvSP_.private_seg_size, 0
	.set _ZN7rocprim17ROCPRIM_400000_NS6detail17trampoline_kernelINS0_14default_configENS1_32segmented_reduce_config_selectorIdEEZNS1_21segmented_reduce_implIS3_PKdPdPKldN6hipcub16HIPCUB_304000_NS6detail27convert_result_type_wrapperIS8_S9_N2at6native12_GLOBAL__N_110CustomProdEEEEE10hipError_tPvRmT0_T1_jT2_SQ_T4_T3_P12ihipStream_tbEUlT_E_NS1_11comp_targetILNS1_3genE5ELNS1_11target_archE942ELNS1_3gpuE9ELNS1_3repE0EEENS1_30default_config_static_selectorELNS0_4arch9wavefront6targetE0EEEvSP_.uses_vcc, 0
	.set _ZN7rocprim17ROCPRIM_400000_NS6detail17trampoline_kernelINS0_14default_configENS1_32segmented_reduce_config_selectorIdEEZNS1_21segmented_reduce_implIS3_PKdPdPKldN6hipcub16HIPCUB_304000_NS6detail27convert_result_type_wrapperIS8_S9_N2at6native12_GLOBAL__N_110CustomProdEEEEE10hipError_tPvRmT0_T1_jT2_SQ_T4_T3_P12ihipStream_tbEUlT_E_NS1_11comp_targetILNS1_3genE5ELNS1_11target_archE942ELNS1_3gpuE9ELNS1_3repE0EEENS1_30default_config_static_selectorELNS0_4arch9wavefront6targetE0EEEvSP_.uses_flat_scratch, 0
	.set _ZN7rocprim17ROCPRIM_400000_NS6detail17trampoline_kernelINS0_14default_configENS1_32segmented_reduce_config_selectorIdEEZNS1_21segmented_reduce_implIS3_PKdPdPKldN6hipcub16HIPCUB_304000_NS6detail27convert_result_type_wrapperIS8_S9_N2at6native12_GLOBAL__N_110CustomProdEEEEE10hipError_tPvRmT0_T1_jT2_SQ_T4_T3_P12ihipStream_tbEUlT_E_NS1_11comp_targetILNS1_3genE5ELNS1_11target_archE942ELNS1_3gpuE9ELNS1_3repE0EEENS1_30default_config_static_selectorELNS0_4arch9wavefront6targetE0EEEvSP_.has_dyn_sized_stack, 0
	.set _ZN7rocprim17ROCPRIM_400000_NS6detail17trampoline_kernelINS0_14default_configENS1_32segmented_reduce_config_selectorIdEEZNS1_21segmented_reduce_implIS3_PKdPdPKldN6hipcub16HIPCUB_304000_NS6detail27convert_result_type_wrapperIS8_S9_N2at6native12_GLOBAL__N_110CustomProdEEEEE10hipError_tPvRmT0_T1_jT2_SQ_T4_T3_P12ihipStream_tbEUlT_E_NS1_11comp_targetILNS1_3genE5ELNS1_11target_archE942ELNS1_3gpuE9ELNS1_3repE0EEENS1_30default_config_static_selectorELNS0_4arch9wavefront6targetE0EEEvSP_.has_recursion, 0
	.set _ZN7rocprim17ROCPRIM_400000_NS6detail17trampoline_kernelINS0_14default_configENS1_32segmented_reduce_config_selectorIdEEZNS1_21segmented_reduce_implIS3_PKdPdPKldN6hipcub16HIPCUB_304000_NS6detail27convert_result_type_wrapperIS8_S9_N2at6native12_GLOBAL__N_110CustomProdEEEEE10hipError_tPvRmT0_T1_jT2_SQ_T4_T3_P12ihipStream_tbEUlT_E_NS1_11comp_targetILNS1_3genE5ELNS1_11target_archE942ELNS1_3gpuE9ELNS1_3repE0EEENS1_30default_config_static_selectorELNS0_4arch9wavefront6targetE0EEEvSP_.has_indirect_call, 0
	.section	.AMDGPU.csdata,"",@progbits
; Kernel info:
; codeLenInByte = 0
; TotalNumSgprs: 0
; NumVgprs: 0
; ScratchSize: 0
; MemoryBound: 0
; FloatMode: 240
; IeeeMode: 1
; LDSByteSize: 0 bytes/workgroup (compile time only)
; SGPRBlocks: 0
; VGPRBlocks: 0
; NumSGPRsForWavesPerEU: 1
; NumVGPRsForWavesPerEU: 1
; Occupancy: 16
; WaveLimiterHint : 0
; COMPUTE_PGM_RSRC2:SCRATCH_EN: 0
; COMPUTE_PGM_RSRC2:USER_SGPR: 6
; COMPUTE_PGM_RSRC2:TRAP_HANDLER: 0
; COMPUTE_PGM_RSRC2:TGID_X_EN: 1
; COMPUTE_PGM_RSRC2:TGID_Y_EN: 0
; COMPUTE_PGM_RSRC2:TGID_Z_EN: 0
; COMPUTE_PGM_RSRC2:TIDIG_COMP_CNT: 0
	.section	.text._ZN7rocprim17ROCPRIM_400000_NS6detail17trampoline_kernelINS0_14default_configENS1_32segmented_reduce_config_selectorIdEEZNS1_21segmented_reduce_implIS3_PKdPdPKldN6hipcub16HIPCUB_304000_NS6detail27convert_result_type_wrapperIS8_S9_N2at6native12_GLOBAL__N_110CustomProdEEEEE10hipError_tPvRmT0_T1_jT2_SQ_T4_T3_P12ihipStream_tbEUlT_E_NS1_11comp_targetILNS1_3genE10ELNS1_11target_archE1201ELNS1_3gpuE5ELNS1_3repE0EEENS1_30default_config_static_selectorELNS0_4arch9wavefront6targetE0EEEvSP_,"axG",@progbits,_ZN7rocprim17ROCPRIM_400000_NS6detail17trampoline_kernelINS0_14default_configENS1_32segmented_reduce_config_selectorIdEEZNS1_21segmented_reduce_implIS3_PKdPdPKldN6hipcub16HIPCUB_304000_NS6detail27convert_result_type_wrapperIS8_S9_N2at6native12_GLOBAL__N_110CustomProdEEEEE10hipError_tPvRmT0_T1_jT2_SQ_T4_T3_P12ihipStream_tbEUlT_E_NS1_11comp_targetILNS1_3genE10ELNS1_11target_archE1201ELNS1_3gpuE5ELNS1_3repE0EEENS1_30default_config_static_selectorELNS0_4arch9wavefront6targetE0EEEvSP_,comdat
	.globl	_ZN7rocprim17ROCPRIM_400000_NS6detail17trampoline_kernelINS0_14default_configENS1_32segmented_reduce_config_selectorIdEEZNS1_21segmented_reduce_implIS3_PKdPdPKldN6hipcub16HIPCUB_304000_NS6detail27convert_result_type_wrapperIS8_S9_N2at6native12_GLOBAL__N_110CustomProdEEEEE10hipError_tPvRmT0_T1_jT2_SQ_T4_T3_P12ihipStream_tbEUlT_E_NS1_11comp_targetILNS1_3genE10ELNS1_11target_archE1201ELNS1_3gpuE5ELNS1_3repE0EEENS1_30default_config_static_selectorELNS0_4arch9wavefront6targetE0EEEvSP_ ; -- Begin function _ZN7rocprim17ROCPRIM_400000_NS6detail17trampoline_kernelINS0_14default_configENS1_32segmented_reduce_config_selectorIdEEZNS1_21segmented_reduce_implIS3_PKdPdPKldN6hipcub16HIPCUB_304000_NS6detail27convert_result_type_wrapperIS8_S9_N2at6native12_GLOBAL__N_110CustomProdEEEEE10hipError_tPvRmT0_T1_jT2_SQ_T4_T3_P12ihipStream_tbEUlT_E_NS1_11comp_targetILNS1_3genE10ELNS1_11target_archE1201ELNS1_3gpuE5ELNS1_3repE0EEENS1_30default_config_static_selectorELNS0_4arch9wavefront6targetE0EEEvSP_
	.p2align	8
	.type	_ZN7rocprim17ROCPRIM_400000_NS6detail17trampoline_kernelINS0_14default_configENS1_32segmented_reduce_config_selectorIdEEZNS1_21segmented_reduce_implIS3_PKdPdPKldN6hipcub16HIPCUB_304000_NS6detail27convert_result_type_wrapperIS8_S9_N2at6native12_GLOBAL__N_110CustomProdEEEEE10hipError_tPvRmT0_T1_jT2_SQ_T4_T3_P12ihipStream_tbEUlT_E_NS1_11comp_targetILNS1_3genE10ELNS1_11target_archE1201ELNS1_3gpuE5ELNS1_3repE0EEENS1_30default_config_static_selectorELNS0_4arch9wavefront6targetE0EEEvSP_,@function
_ZN7rocprim17ROCPRIM_400000_NS6detail17trampoline_kernelINS0_14default_configENS1_32segmented_reduce_config_selectorIdEEZNS1_21segmented_reduce_implIS3_PKdPdPKldN6hipcub16HIPCUB_304000_NS6detail27convert_result_type_wrapperIS8_S9_N2at6native12_GLOBAL__N_110CustomProdEEEEE10hipError_tPvRmT0_T1_jT2_SQ_T4_T3_P12ihipStream_tbEUlT_E_NS1_11comp_targetILNS1_3genE10ELNS1_11target_archE1201ELNS1_3gpuE5ELNS1_3repE0EEENS1_30default_config_static_selectorELNS0_4arch9wavefront6targetE0EEEvSP_: ; @_ZN7rocprim17ROCPRIM_400000_NS6detail17trampoline_kernelINS0_14default_configENS1_32segmented_reduce_config_selectorIdEEZNS1_21segmented_reduce_implIS3_PKdPdPKldN6hipcub16HIPCUB_304000_NS6detail27convert_result_type_wrapperIS8_S9_N2at6native12_GLOBAL__N_110CustomProdEEEEE10hipError_tPvRmT0_T1_jT2_SQ_T4_T3_P12ihipStream_tbEUlT_E_NS1_11comp_targetILNS1_3genE10ELNS1_11target_archE1201ELNS1_3gpuE5ELNS1_3repE0EEENS1_30default_config_static_selectorELNS0_4arch9wavefront6targetE0EEEvSP_
; %bb.0:
	.section	.rodata,"a",@progbits
	.p2align	6, 0x0
	.amdhsa_kernel _ZN7rocprim17ROCPRIM_400000_NS6detail17trampoline_kernelINS0_14default_configENS1_32segmented_reduce_config_selectorIdEEZNS1_21segmented_reduce_implIS3_PKdPdPKldN6hipcub16HIPCUB_304000_NS6detail27convert_result_type_wrapperIS8_S9_N2at6native12_GLOBAL__N_110CustomProdEEEEE10hipError_tPvRmT0_T1_jT2_SQ_T4_T3_P12ihipStream_tbEUlT_E_NS1_11comp_targetILNS1_3genE10ELNS1_11target_archE1201ELNS1_3gpuE5ELNS1_3repE0EEENS1_30default_config_static_selectorELNS0_4arch9wavefront6targetE0EEEvSP_
		.amdhsa_group_segment_fixed_size 0
		.amdhsa_private_segment_fixed_size 0
		.amdhsa_kernarg_size 56
		.amdhsa_user_sgpr_count 6
		.amdhsa_user_sgpr_private_segment_buffer 1
		.amdhsa_user_sgpr_dispatch_ptr 0
		.amdhsa_user_sgpr_queue_ptr 0
		.amdhsa_user_sgpr_kernarg_segment_ptr 1
		.amdhsa_user_sgpr_dispatch_id 0
		.amdhsa_user_sgpr_flat_scratch_init 0
		.amdhsa_user_sgpr_private_segment_size 0
		.amdhsa_wavefront_size32 1
		.amdhsa_uses_dynamic_stack 0
		.amdhsa_system_sgpr_private_segment_wavefront_offset 0
		.amdhsa_system_sgpr_workgroup_id_x 1
		.amdhsa_system_sgpr_workgroup_id_y 0
		.amdhsa_system_sgpr_workgroup_id_z 0
		.amdhsa_system_sgpr_workgroup_info 0
		.amdhsa_system_vgpr_workitem_id 0
		.amdhsa_next_free_vgpr 1
		.amdhsa_next_free_sgpr 1
		.amdhsa_reserve_vcc 0
		.amdhsa_reserve_flat_scratch 0
		.amdhsa_float_round_mode_32 0
		.amdhsa_float_round_mode_16_64 0
		.amdhsa_float_denorm_mode_32 3
		.amdhsa_float_denorm_mode_16_64 3
		.amdhsa_dx10_clamp 1
		.amdhsa_ieee_mode 1
		.amdhsa_fp16_overflow 0
		.amdhsa_workgroup_processor_mode 1
		.amdhsa_memory_ordered 1
		.amdhsa_forward_progress 1
		.amdhsa_shared_vgpr_count 0
		.amdhsa_exception_fp_ieee_invalid_op 0
		.amdhsa_exception_fp_denorm_src 0
		.amdhsa_exception_fp_ieee_div_zero 0
		.amdhsa_exception_fp_ieee_overflow 0
		.amdhsa_exception_fp_ieee_underflow 0
		.amdhsa_exception_fp_ieee_inexact 0
		.amdhsa_exception_int_div_zero 0
	.end_amdhsa_kernel
	.section	.text._ZN7rocprim17ROCPRIM_400000_NS6detail17trampoline_kernelINS0_14default_configENS1_32segmented_reduce_config_selectorIdEEZNS1_21segmented_reduce_implIS3_PKdPdPKldN6hipcub16HIPCUB_304000_NS6detail27convert_result_type_wrapperIS8_S9_N2at6native12_GLOBAL__N_110CustomProdEEEEE10hipError_tPvRmT0_T1_jT2_SQ_T4_T3_P12ihipStream_tbEUlT_E_NS1_11comp_targetILNS1_3genE10ELNS1_11target_archE1201ELNS1_3gpuE5ELNS1_3repE0EEENS1_30default_config_static_selectorELNS0_4arch9wavefront6targetE0EEEvSP_,"axG",@progbits,_ZN7rocprim17ROCPRIM_400000_NS6detail17trampoline_kernelINS0_14default_configENS1_32segmented_reduce_config_selectorIdEEZNS1_21segmented_reduce_implIS3_PKdPdPKldN6hipcub16HIPCUB_304000_NS6detail27convert_result_type_wrapperIS8_S9_N2at6native12_GLOBAL__N_110CustomProdEEEEE10hipError_tPvRmT0_T1_jT2_SQ_T4_T3_P12ihipStream_tbEUlT_E_NS1_11comp_targetILNS1_3genE10ELNS1_11target_archE1201ELNS1_3gpuE5ELNS1_3repE0EEENS1_30default_config_static_selectorELNS0_4arch9wavefront6targetE0EEEvSP_,comdat
.Lfunc_end172:
	.size	_ZN7rocprim17ROCPRIM_400000_NS6detail17trampoline_kernelINS0_14default_configENS1_32segmented_reduce_config_selectorIdEEZNS1_21segmented_reduce_implIS3_PKdPdPKldN6hipcub16HIPCUB_304000_NS6detail27convert_result_type_wrapperIS8_S9_N2at6native12_GLOBAL__N_110CustomProdEEEEE10hipError_tPvRmT0_T1_jT2_SQ_T4_T3_P12ihipStream_tbEUlT_E_NS1_11comp_targetILNS1_3genE10ELNS1_11target_archE1201ELNS1_3gpuE5ELNS1_3repE0EEENS1_30default_config_static_selectorELNS0_4arch9wavefront6targetE0EEEvSP_, .Lfunc_end172-_ZN7rocprim17ROCPRIM_400000_NS6detail17trampoline_kernelINS0_14default_configENS1_32segmented_reduce_config_selectorIdEEZNS1_21segmented_reduce_implIS3_PKdPdPKldN6hipcub16HIPCUB_304000_NS6detail27convert_result_type_wrapperIS8_S9_N2at6native12_GLOBAL__N_110CustomProdEEEEE10hipError_tPvRmT0_T1_jT2_SQ_T4_T3_P12ihipStream_tbEUlT_E_NS1_11comp_targetILNS1_3genE10ELNS1_11target_archE1201ELNS1_3gpuE5ELNS1_3repE0EEENS1_30default_config_static_selectorELNS0_4arch9wavefront6targetE0EEEvSP_
                                        ; -- End function
	.set _ZN7rocprim17ROCPRIM_400000_NS6detail17trampoline_kernelINS0_14default_configENS1_32segmented_reduce_config_selectorIdEEZNS1_21segmented_reduce_implIS3_PKdPdPKldN6hipcub16HIPCUB_304000_NS6detail27convert_result_type_wrapperIS8_S9_N2at6native12_GLOBAL__N_110CustomProdEEEEE10hipError_tPvRmT0_T1_jT2_SQ_T4_T3_P12ihipStream_tbEUlT_E_NS1_11comp_targetILNS1_3genE10ELNS1_11target_archE1201ELNS1_3gpuE5ELNS1_3repE0EEENS1_30default_config_static_selectorELNS0_4arch9wavefront6targetE0EEEvSP_.num_vgpr, 0
	.set _ZN7rocprim17ROCPRIM_400000_NS6detail17trampoline_kernelINS0_14default_configENS1_32segmented_reduce_config_selectorIdEEZNS1_21segmented_reduce_implIS3_PKdPdPKldN6hipcub16HIPCUB_304000_NS6detail27convert_result_type_wrapperIS8_S9_N2at6native12_GLOBAL__N_110CustomProdEEEEE10hipError_tPvRmT0_T1_jT2_SQ_T4_T3_P12ihipStream_tbEUlT_E_NS1_11comp_targetILNS1_3genE10ELNS1_11target_archE1201ELNS1_3gpuE5ELNS1_3repE0EEENS1_30default_config_static_selectorELNS0_4arch9wavefront6targetE0EEEvSP_.num_agpr, 0
	.set _ZN7rocprim17ROCPRIM_400000_NS6detail17trampoline_kernelINS0_14default_configENS1_32segmented_reduce_config_selectorIdEEZNS1_21segmented_reduce_implIS3_PKdPdPKldN6hipcub16HIPCUB_304000_NS6detail27convert_result_type_wrapperIS8_S9_N2at6native12_GLOBAL__N_110CustomProdEEEEE10hipError_tPvRmT0_T1_jT2_SQ_T4_T3_P12ihipStream_tbEUlT_E_NS1_11comp_targetILNS1_3genE10ELNS1_11target_archE1201ELNS1_3gpuE5ELNS1_3repE0EEENS1_30default_config_static_selectorELNS0_4arch9wavefront6targetE0EEEvSP_.numbered_sgpr, 0
	.set _ZN7rocprim17ROCPRIM_400000_NS6detail17trampoline_kernelINS0_14default_configENS1_32segmented_reduce_config_selectorIdEEZNS1_21segmented_reduce_implIS3_PKdPdPKldN6hipcub16HIPCUB_304000_NS6detail27convert_result_type_wrapperIS8_S9_N2at6native12_GLOBAL__N_110CustomProdEEEEE10hipError_tPvRmT0_T1_jT2_SQ_T4_T3_P12ihipStream_tbEUlT_E_NS1_11comp_targetILNS1_3genE10ELNS1_11target_archE1201ELNS1_3gpuE5ELNS1_3repE0EEENS1_30default_config_static_selectorELNS0_4arch9wavefront6targetE0EEEvSP_.num_named_barrier, 0
	.set _ZN7rocprim17ROCPRIM_400000_NS6detail17trampoline_kernelINS0_14default_configENS1_32segmented_reduce_config_selectorIdEEZNS1_21segmented_reduce_implIS3_PKdPdPKldN6hipcub16HIPCUB_304000_NS6detail27convert_result_type_wrapperIS8_S9_N2at6native12_GLOBAL__N_110CustomProdEEEEE10hipError_tPvRmT0_T1_jT2_SQ_T4_T3_P12ihipStream_tbEUlT_E_NS1_11comp_targetILNS1_3genE10ELNS1_11target_archE1201ELNS1_3gpuE5ELNS1_3repE0EEENS1_30default_config_static_selectorELNS0_4arch9wavefront6targetE0EEEvSP_.private_seg_size, 0
	.set _ZN7rocprim17ROCPRIM_400000_NS6detail17trampoline_kernelINS0_14default_configENS1_32segmented_reduce_config_selectorIdEEZNS1_21segmented_reduce_implIS3_PKdPdPKldN6hipcub16HIPCUB_304000_NS6detail27convert_result_type_wrapperIS8_S9_N2at6native12_GLOBAL__N_110CustomProdEEEEE10hipError_tPvRmT0_T1_jT2_SQ_T4_T3_P12ihipStream_tbEUlT_E_NS1_11comp_targetILNS1_3genE10ELNS1_11target_archE1201ELNS1_3gpuE5ELNS1_3repE0EEENS1_30default_config_static_selectorELNS0_4arch9wavefront6targetE0EEEvSP_.uses_vcc, 0
	.set _ZN7rocprim17ROCPRIM_400000_NS6detail17trampoline_kernelINS0_14default_configENS1_32segmented_reduce_config_selectorIdEEZNS1_21segmented_reduce_implIS3_PKdPdPKldN6hipcub16HIPCUB_304000_NS6detail27convert_result_type_wrapperIS8_S9_N2at6native12_GLOBAL__N_110CustomProdEEEEE10hipError_tPvRmT0_T1_jT2_SQ_T4_T3_P12ihipStream_tbEUlT_E_NS1_11comp_targetILNS1_3genE10ELNS1_11target_archE1201ELNS1_3gpuE5ELNS1_3repE0EEENS1_30default_config_static_selectorELNS0_4arch9wavefront6targetE0EEEvSP_.uses_flat_scratch, 0
	.set _ZN7rocprim17ROCPRIM_400000_NS6detail17trampoline_kernelINS0_14default_configENS1_32segmented_reduce_config_selectorIdEEZNS1_21segmented_reduce_implIS3_PKdPdPKldN6hipcub16HIPCUB_304000_NS6detail27convert_result_type_wrapperIS8_S9_N2at6native12_GLOBAL__N_110CustomProdEEEEE10hipError_tPvRmT0_T1_jT2_SQ_T4_T3_P12ihipStream_tbEUlT_E_NS1_11comp_targetILNS1_3genE10ELNS1_11target_archE1201ELNS1_3gpuE5ELNS1_3repE0EEENS1_30default_config_static_selectorELNS0_4arch9wavefront6targetE0EEEvSP_.has_dyn_sized_stack, 0
	.set _ZN7rocprim17ROCPRIM_400000_NS6detail17trampoline_kernelINS0_14default_configENS1_32segmented_reduce_config_selectorIdEEZNS1_21segmented_reduce_implIS3_PKdPdPKldN6hipcub16HIPCUB_304000_NS6detail27convert_result_type_wrapperIS8_S9_N2at6native12_GLOBAL__N_110CustomProdEEEEE10hipError_tPvRmT0_T1_jT2_SQ_T4_T3_P12ihipStream_tbEUlT_E_NS1_11comp_targetILNS1_3genE10ELNS1_11target_archE1201ELNS1_3gpuE5ELNS1_3repE0EEENS1_30default_config_static_selectorELNS0_4arch9wavefront6targetE0EEEvSP_.has_recursion, 0
	.set _ZN7rocprim17ROCPRIM_400000_NS6detail17trampoline_kernelINS0_14default_configENS1_32segmented_reduce_config_selectorIdEEZNS1_21segmented_reduce_implIS3_PKdPdPKldN6hipcub16HIPCUB_304000_NS6detail27convert_result_type_wrapperIS8_S9_N2at6native12_GLOBAL__N_110CustomProdEEEEE10hipError_tPvRmT0_T1_jT2_SQ_T4_T3_P12ihipStream_tbEUlT_E_NS1_11comp_targetILNS1_3genE10ELNS1_11target_archE1201ELNS1_3gpuE5ELNS1_3repE0EEENS1_30default_config_static_selectorELNS0_4arch9wavefront6targetE0EEEvSP_.has_indirect_call, 0
	.section	.AMDGPU.csdata,"",@progbits
; Kernel info:
; codeLenInByte = 0
; TotalNumSgprs: 0
; NumVgprs: 0
; ScratchSize: 0
; MemoryBound: 0
; FloatMode: 240
; IeeeMode: 1
; LDSByteSize: 0 bytes/workgroup (compile time only)
; SGPRBlocks: 0
; VGPRBlocks: 0
; NumSGPRsForWavesPerEU: 1
; NumVGPRsForWavesPerEU: 1
; Occupancy: 16
; WaveLimiterHint : 0
; COMPUTE_PGM_RSRC2:SCRATCH_EN: 0
; COMPUTE_PGM_RSRC2:USER_SGPR: 6
; COMPUTE_PGM_RSRC2:TRAP_HANDLER: 0
; COMPUTE_PGM_RSRC2:TGID_X_EN: 1
; COMPUTE_PGM_RSRC2:TGID_Y_EN: 0
; COMPUTE_PGM_RSRC2:TGID_Z_EN: 0
; COMPUTE_PGM_RSRC2:TIDIG_COMP_CNT: 0
	.section	.text._ZN7rocprim17ROCPRIM_400000_NS6detail17trampoline_kernelINS0_14default_configENS1_32segmented_reduce_config_selectorIdEEZNS1_21segmented_reduce_implIS3_PKdPdPKldN6hipcub16HIPCUB_304000_NS6detail27convert_result_type_wrapperIS8_S9_N2at6native12_GLOBAL__N_110CustomProdEEEEE10hipError_tPvRmT0_T1_jT2_SQ_T4_T3_P12ihipStream_tbEUlT_E_NS1_11comp_targetILNS1_3genE4ELNS1_11target_archE910ELNS1_3gpuE8ELNS1_3repE0EEENS1_30default_config_static_selectorELNS0_4arch9wavefront6targetE0EEEvSP_,"axG",@progbits,_ZN7rocprim17ROCPRIM_400000_NS6detail17trampoline_kernelINS0_14default_configENS1_32segmented_reduce_config_selectorIdEEZNS1_21segmented_reduce_implIS3_PKdPdPKldN6hipcub16HIPCUB_304000_NS6detail27convert_result_type_wrapperIS8_S9_N2at6native12_GLOBAL__N_110CustomProdEEEEE10hipError_tPvRmT0_T1_jT2_SQ_T4_T3_P12ihipStream_tbEUlT_E_NS1_11comp_targetILNS1_3genE4ELNS1_11target_archE910ELNS1_3gpuE8ELNS1_3repE0EEENS1_30default_config_static_selectorELNS0_4arch9wavefront6targetE0EEEvSP_,comdat
	.globl	_ZN7rocprim17ROCPRIM_400000_NS6detail17trampoline_kernelINS0_14default_configENS1_32segmented_reduce_config_selectorIdEEZNS1_21segmented_reduce_implIS3_PKdPdPKldN6hipcub16HIPCUB_304000_NS6detail27convert_result_type_wrapperIS8_S9_N2at6native12_GLOBAL__N_110CustomProdEEEEE10hipError_tPvRmT0_T1_jT2_SQ_T4_T3_P12ihipStream_tbEUlT_E_NS1_11comp_targetILNS1_3genE4ELNS1_11target_archE910ELNS1_3gpuE8ELNS1_3repE0EEENS1_30default_config_static_selectorELNS0_4arch9wavefront6targetE0EEEvSP_ ; -- Begin function _ZN7rocprim17ROCPRIM_400000_NS6detail17trampoline_kernelINS0_14default_configENS1_32segmented_reduce_config_selectorIdEEZNS1_21segmented_reduce_implIS3_PKdPdPKldN6hipcub16HIPCUB_304000_NS6detail27convert_result_type_wrapperIS8_S9_N2at6native12_GLOBAL__N_110CustomProdEEEEE10hipError_tPvRmT0_T1_jT2_SQ_T4_T3_P12ihipStream_tbEUlT_E_NS1_11comp_targetILNS1_3genE4ELNS1_11target_archE910ELNS1_3gpuE8ELNS1_3repE0EEENS1_30default_config_static_selectorELNS0_4arch9wavefront6targetE0EEEvSP_
	.p2align	8
	.type	_ZN7rocprim17ROCPRIM_400000_NS6detail17trampoline_kernelINS0_14default_configENS1_32segmented_reduce_config_selectorIdEEZNS1_21segmented_reduce_implIS3_PKdPdPKldN6hipcub16HIPCUB_304000_NS6detail27convert_result_type_wrapperIS8_S9_N2at6native12_GLOBAL__N_110CustomProdEEEEE10hipError_tPvRmT0_T1_jT2_SQ_T4_T3_P12ihipStream_tbEUlT_E_NS1_11comp_targetILNS1_3genE4ELNS1_11target_archE910ELNS1_3gpuE8ELNS1_3repE0EEENS1_30default_config_static_selectorELNS0_4arch9wavefront6targetE0EEEvSP_,@function
_ZN7rocprim17ROCPRIM_400000_NS6detail17trampoline_kernelINS0_14default_configENS1_32segmented_reduce_config_selectorIdEEZNS1_21segmented_reduce_implIS3_PKdPdPKldN6hipcub16HIPCUB_304000_NS6detail27convert_result_type_wrapperIS8_S9_N2at6native12_GLOBAL__N_110CustomProdEEEEE10hipError_tPvRmT0_T1_jT2_SQ_T4_T3_P12ihipStream_tbEUlT_E_NS1_11comp_targetILNS1_3genE4ELNS1_11target_archE910ELNS1_3gpuE8ELNS1_3repE0EEENS1_30default_config_static_selectorELNS0_4arch9wavefront6targetE0EEEvSP_: ; @_ZN7rocprim17ROCPRIM_400000_NS6detail17trampoline_kernelINS0_14default_configENS1_32segmented_reduce_config_selectorIdEEZNS1_21segmented_reduce_implIS3_PKdPdPKldN6hipcub16HIPCUB_304000_NS6detail27convert_result_type_wrapperIS8_S9_N2at6native12_GLOBAL__N_110CustomProdEEEEE10hipError_tPvRmT0_T1_jT2_SQ_T4_T3_P12ihipStream_tbEUlT_E_NS1_11comp_targetILNS1_3genE4ELNS1_11target_archE910ELNS1_3gpuE8ELNS1_3repE0EEENS1_30default_config_static_selectorELNS0_4arch9wavefront6targetE0EEEvSP_
; %bb.0:
	.section	.rodata,"a",@progbits
	.p2align	6, 0x0
	.amdhsa_kernel _ZN7rocprim17ROCPRIM_400000_NS6detail17trampoline_kernelINS0_14default_configENS1_32segmented_reduce_config_selectorIdEEZNS1_21segmented_reduce_implIS3_PKdPdPKldN6hipcub16HIPCUB_304000_NS6detail27convert_result_type_wrapperIS8_S9_N2at6native12_GLOBAL__N_110CustomProdEEEEE10hipError_tPvRmT0_T1_jT2_SQ_T4_T3_P12ihipStream_tbEUlT_E_NS1_11comp_targetILNS1_3genE4ELNS1_11target_archE910ELNS1_3gpuE8ELNS1_3repE0EEENS1_30default_config_static_selectorELNS0_4arch9wavefront6targetE0EEEvSP_
		.amdhsa_group_segment_fixed_size 0
		.amdhsa_private_segment_fixed_size 0
		.amdhsa_kernarg_size 56
		.amdhsa_user_sgpr_count 6
		.amdhsa_user_sgpr_private_segment_buffer 1
		.amdhsa_user_sgpr_dispatch_ptr 0
		.amdhsa_user_sgpr_queue_ptr 0
		.amdhsa_user_sgpr_kernarg_segment_ptr 1
		.amdhsa_user_sgpr_dispatch_id 0
		.amdhsa_user_sgpr_flat_scratch_init 0
		.amdhsa_user_sgpr_private_segment_size 0
		.amdhsa_wavefront_size32 1
		.amdhsa_uses_dynamic_stack 0
		.amdhsa_system_sgpr_private_segment_wavefront_offset 0
		.amdhsa_system_sgpr_workgroup_id_x 1
		.amdhsa_system_sgpr_workgroup_id_y 0
		.amdhsa_system_sgpr_workgroup_id_z 0
		.amdhsa_system_sgpr_workgroup_info 0
		.amdhsa_system_vgpr_workitem_id 0
		.amdhsa_next_free_vgpr 1
		.amdhsa_next_free_sgpr 1
		.amdhsa_reserve_vcc 0
		.amdhsa_reserve_flat_scratch 0
		.amdhsa_float_round_mode_32 0
		.amdhsa_float_round_mode_16_64 0
		.amdhsa_float_denorm_mode_32 3
		.amdhsa_float_denorm_mode_16_64 3
		.amdhsa_dx10_clamp 1
		.amdhsa_ieee_mode 1
		.amdhsa_fp16_overflow 0
		.amdhsa_workgroup_processor_mode 1
		.amdhsa_memory_ordered 1
		.amdhsa_forward_progress 1
		.amdhsa_shared_vgpr_count 0
		.amdhsa_exception_fp_ieee_invalid_op 0
		.amdhsa_exception_fp_denorm_src 0
		.amdhsa_exception_fp_ieee_div_zero 0
		.amdhsa_exception_fp_ieee_overflow 0
		.amdhsa_exception_fp_ieee_underflow 0
		.amdhsa_exception_fp_ieee_inexact 0
		.amdhsa_exception_int_div_zero 0
	.end_amdhsa_kernel
	.section	.text._ZN7rocprim17ROCPRIM_400000_NS6detail17trampoline_kernelINS0_14default_configENS1_32segmented_reduce_config_selectorIdEEZNS1_21segmented_reduce_implIS3_PKdPdPKldN6hipcub16HIPCUB_304000_NS6detail27convert_result_type_wrapperIS8_S9_N2at6native12_GLOBAL__N_110CustomProdEEEEE10hipError_tPvRmT0_T1_jT2_SQ_T4_T3_P12ihipStream_tbEUlT_E_NS1_11comp_targetILNS1_3genE4ELNS1_11target_archE910ELNS1_3gpuE8ELNS1_3repE0EEENS1_30default_config_static_selectorELNS0_4arch9wavefront6targetE0EEEvSP_,"axG",@progbits,_ZN7rocprim17ROCPRIM_400000_NS6detail17trampoline_kernelINS0_14default_configENS1_32segmented_reduce_config_selectorIdEEZNS1_21segmented_reduce_implIS3_PKdPdPKldN6hipcub16HIPCUB_304000_NS6detail27convert_result_type_wrapperIS8_S9_N2at6native12_GLOBAL__N_110CustomProdEEEEE10hipError_tPvRmT0_T1_jT2_SQ_T4_T3_P12ihipStream_tbEUlT_E_NS1_11comp_targetILNS1_3genE4ELNS1_11target_archE910ELNS1_3gpuE8ELNS1_3repE0EEENS1_30default_config_static_selectorELNS0_4arch9wavefront6targetE0EEEvSP_,comdat
.Lfunc_end173:
	.size	_ZN7rocprim17ROCPRIM_400000_NS6detail17trampoline_kernelINS0_14default_configENS1_32segmented_reduce_config_selectorIdEEZNS1_21segmented_reduce_implIS3_PKdPdPKldN6hipcub16HIPCUB_304000_NS6detail27convert_result_type_wrapperIS8_S9_N2at6native12_GLOBAL__N_110CustomProdEEEEE10hipError_tPvRmT0_T1_jT2_SQ_T4_T3_P12ihipStream_tbEUlT_E_NS1_11comp_targetILNS1_3genE4ELNS1_11target_archE910ELNS1_3gpuE8ELNS1_3repE0EEENS1_30default_config_static_selectorELNS0_4arch9wavefront6targetE0EEEvSP_, .Lfunc_end173-_ZN7rocprim17ROCPRIM_400000_NS6detail17trampoline_kernelINS0_14default_configENS1_32segmented_reduce_config_selectorIdEEZNS1_21segmented_reduce_implIS3_PKdPdPKldN6hipcub16HIPCUB_304000_NS6detail27convert_result_type_wrapperIS8_S9_N2at6native12_GLOBAL__N_110CustomProdEEEEE10hipError_tPvRmT0_T1_jT2_SQ_T4_T3_P12ihipStream_tbEUlT_E_NS1_11comp_targetILNS1_3genE4ELNS1_11target_archE910ELNS1_3gpuE8ELNS1_3repE0EEENS1_30default_config_static_selectorELNS0_4arch9wavefront6targetE0EEEvSP_
                                        ; -- End function
	.set _ZN7rocprim17ROCPRIM_400000_NS6detail17trampoline_kernelINS0_14default_configENS1_32segmented_reduce_config_selectorIdEEZNS1_21segmented_reduce_implIS3_PKdPdPKldN6hipcub16HIPCUB_304000_NS6detail27convert_result_type_wrapperIS8_S9_N2at6native12_GLOBAL__N_110CustomProdEEEEE10hipError_tPvRmT0_T1_jT2_SQ_T4_T3_P12ihipStream_tbEUlT_E_NS1_11comp_targetILNS1_3genE4ELNS1_11target_archE910ELNS1_3gpuE8ELNS1_3repE0EEENS1_30default_config_static_selectorELNS0_4arch9wavefront6targetE0EEEvSP_.num_vgpr, 0
	.set _ZN7rocprim17ROCPRIM_400000_NS6detail17trampoline_kernelINS0_14default_configENS1_32segmented_reduce_config_selectorIdEEZNS1_21segmented_reduce_implIS3_PKdPdPKldN6hipcub16HIPCUB_304000_NS6detail27convert_result_type_wrapperIS8_S9_N2at6native12_GLOBAL__N_110CustomProdEEEEE10hipError_tPvRmT0_T1_jT2_SQ_T4_T3_P12ihipStream_tbEUlT_E_NS1_11comp_targetILNS1_3genE4ELNS1_11target_archE910ELNS1_3gpuE8ELNS1_3repE0EEENS1_30default_config_static_selectorELNS0_4arch9wavefront6targetE0EEEvSP_.num_agpr, 0
	.set _ZN7rocprim17ROCPRIM_400000_NS6detail17trampoline_kernelINS0_14default_configENS1_32segmented_reduce_config_selectorIdEEZNS1_21segmented_reduce_implIS3_PKdPdPKldN6hipcub16HIPCUB_304000_NS6detail27convert_result_type_wrapperIS8_S9_N2at6native12_GLOBAL__N_110CustomProdEEEEE10hipError_tPvRmT0_T1_jT2_SQ_T4_T3_P12ihipStream_tbEUlT_E_NS1_11comp_targetILNS1_3genE4ELNS1_11target_archE910ELNS1_3gpuE8ELNS1_3repE0EEENS1_30default_config_static_selectorELNS0_4arch9wavefront6targetE0EEEvSP_.numbered_sgpr, 0
	.set _ZN7rocprim17ROCPRIM_400000_NS6detail17trampoline_kernelINS0_14default_configENS1_32segmented_reduce_config_selectorIdEEZNS1_21segmented_reduce_implIS3_PKdPdPKldN6hipcub16HIPCUB_304000_NS6detail27convert_result_type_wrapperIS8_S9_N2at6native12_GLOBAL__N_110CustomProdEEEEE10hipError_tPvRmT0_T1_jT2_SQ_T4_T3_P12ihipStream_tbEUlT_E_NS1_11comp_targetILNS1_3genE4ELNS1_11target_archE910ELNS1_3gpuE8ELNS1_3repE0EEENS1_30default_config_static_selectorELNS0_4arch9wavefront6targetE0EEEvSP_.num_named_barrier, 0
	.set _ZN7rocprim17ROCPRIM_400000_NS6detail17trampoline_kernelINS0_14default_configENS1_32segmented_reduce_config_selectorIdEEZNS1_21segmented_reduce_implIS3_PKdPdPKldN6hipcub16HIPCUB_304000_NS6detail27convert_result_type_wrapperIS8_S9_N2at6native12_GLOBAL__N_110CustomProdEEEEE10hipError_tPvRmT0_T1_jT2_SQ_T4_T3_P12ihipStream_tbEUlT_E_NS1_11comp_targetILNS1_3genE4ELNS1_11target_archE910ELNS1_3gpuE8ELNS1_3repE0EEENS1_30default_config_static_selectorELNS0_4arch9wavefront6targetE0EEEvSP_.private_seg_size, 0
	.set _ZN7rocprim17ROCPRIM_400000_NS6detail17trampoline_kernelINS0_14default_configENS1_32segmented_reduce_config_selectorIdEEZNS1_21segmented_reduce_implIS3_PKdPdPKldN6hipcub16HIPCUB_304000_NS6detail27convert_result_type_wrapperIS8_S9_N2at6native12_GLOBAL__N_110CustomProdEEEEE10hipError_tPvRmT0_T1_jT2_SQ_T4_T3_P12ihipStream_tbEUlT_E_NS1_11comp_targetILNS1_3genE4ELNS1_11target_archE910ELNS1_3gpuE8ELNS1_3repE0EEENS1_30default_config_static_selectorELNS0_4arch9wavefront6targetE0EEEvSP_.uses_vcc, 0
	.set _ZN7rocprim17ROCPRIM_400000_NS6detail17trampoline_kernelINS0_14default_configENS1_32segmented_reduce_config_selectorIdEEZNS1_21segmented_reduce_implIS3_PKdPdPKldN6hipcub16HIPCUB_304000_NS6detail27convert_result_type_wrapperIS8_S9_N2at6native12_GLOBAL__N_110CustomProdEEEEE10hipError_tPvRmT0_T1_jT2_SQ_T4_T3_P12ihipStream_tbEUlT_E_NS1_11comp_targetILNS1_3genE4ELNS1_11target_archE910ELNS1_3gpuE8ELNS1_3repE0EEENS1_30default_config_static_selectorELNS0_4arch9wavefront6targetE0EEEvSP_.uses_flat_scratch, 0
	.set _ZN7rocprim17ROCPRIM_400000_NS6detail17trampoline_kernelINS0_14default_configENS1_32segmented_reduce_config_selectorIdEEZNS1_21segmented_reduce_implIS3_PKdPdPKldN6hipcub16HIPCUB_304000_NS6detail27convert_result_type_wrapperIS8_S9_N2at6native12_GLOBAL__N_110CustomProdEEEEE10hipError_tPvRmT0_T1_jT2_SQ_T4_T3_P12ihipStream_tbEUlT_E_NS1_11comp_targetILNS1_3genE4ELNS1_11target_archE910ELNS1_3gpuE8ELNS1_3repE0EEENS1_30default_config_static_selectorELNS0_4arch9wavefront6targetE0EEEvSP_.has_dyn_sized_stack, 0
	.set _ZN7rocprim17ROCPRIM_400000_NS6detail17trampoline_kernelINS0_14default_configENS1_32segmented_reduce_config_selectorIdEEZNS1_21segmented_reduce_implIS3_PKdPdPKldN6hipcub16HIPCUB_304000_NS6detail27convert_result_type_wrapperIS8_S9_N2at6native12_GLOBAL__N_110CustomProdEEEEE10hipError_tPvRmT0_T1_jT2_SQ_T4_T3_P12ihipStream_tbEUlT_E_NS1_11comp_targetILNS1_3genE4ELNS1_11target_archE910ELNS1_3gpuE8ELNS1_3repE0EEENS1_30default_config_static_selectorELNS0_4arch9wavefront6targetE0EEEvSP_.has_recursion, 0
	.set _ZN7rocprim17ROCPRIM_400000_NS6detail17trampoline_kernelINS0_14default_configENS1_32segmented_reduce_config_selectorIdEEZNS1_21segmented_reduce_implIS3_PKdPdPKldN6hipcub16HIPCUB_304000_NS6detail27convert_result_type_wrapperIS8_S9_N2at6native12_GLOBAL__N_110CustomProdEEEEE10hipError_tPvRmT0_T1_jT2_SQ_T4_T3_P12ihipStream_tbEUlT_E_NS1_11comp_targetILNS1_3genE4ELNS1_11target_archE910ELNS1_3gpuE8ELNS1_3repE0EEENS1_30default_config_static_selectorELNS0_4arch9wavefront6targetE0EEEvSP_.has_indirect_call, 0
	.section	.AMDGPU.csdata,"",@progbits
; Kernel info:
; codeLenInByte = 0
; TotalNumSgprs: 0
; NumVgprs: 0
; ScratchSize: 0
; MemoryBound: 0
; FloatMode: 240
; IeeeMode: 1
; LDSByteSize: 0 bytes/workgroup (compile time only)
; SGPRBlocks: 0
; VGPRBlocks: 0
; NumSGPRsForWavesPerEU: 1
; NumVGPRsForWavesPerEU: 1
; Occupancy: 16
; WaveLimiterHint : 0
; COMPUTE_PGM_RSRC2:SCRATCH_EN: 0
; COMPUTE_PGM_RSRC2:USER_SGPR: 6
; COMPUTE_PGM_RSRC2:TRAP_HANDLER: 0
; COMPUTE_PGM_RSRC2:TGID_X_EN: 1
; COMPUTE_PGM_RSRC2:TGID_Y_EN: 0
; COMPUTE_PGM_RSRC2:TGID_Z_EN: 0
; COMPUTE_PGM_RSRC2:TIDIG_COMP_CNT: 0
	.section	.text._ZN7rocprim17ROCPRIM_400000_NS6detail17trampoline_kernelINS0_14default_configENS1_32segmented_reduce_config_selectorIdEEZNS1_21segmented_reduce_implIS3_PKdPdPKldN6hipcub16HIPCUB_304000_NS6detail27convert_result_type_wrapperIS8_S9_N2at6native12_GLOBAL__N_110CustomProdEEEEE10hipError_tPvRmT0_T1_jT2_SQ_T4_T3_P12ihipStream_tbEUlT_E_NS1_11comp_targetILNS1_3genE3ELNS1_11target_archE908ELNS1_3gpuE7ELNS1_3repE0EEENS1_30default_config_static_selectorELNS0_4arch9wavefront6targetE0EEEvSP_,"axG",@progbits,_ZN7rocprim17ROCPRIM_400000_NS6detail17trampoline_kernelINS0_14default_configENS1_32segmented_reduce_config_selectorIdEEZNS1_21segmented_reduce_implIS3_PKdPdPKldN6hipcub16HIPCUB_304000_NS6detail27convert_result_type_wrapperIS8_S9_N2at6native12_GLOBAL__N_110CustomProdEEEEE10hipError_tPvRmT0_T1_jT2_SQ_T4_T3_P12ihipStream_tbEUlT_E_NS1_11comp_targetILNS1_3genE3ELNS1_11target_archE908ELNS1_3gpuE7ELNS1_3repE0EEENS1_30default_config_static_selectorELNS0_4arch9wavefront6targetE0EEEvSP_,comdat
	.globl	_ZN7rocprim17ROCPRIM_400000_NS6detail17trampoline_kernelINS0_14default_configENS1_32segmented_reduce_config_selectorIdEEZNS1_21segmented_reduce_implIS3_PKdPdPKldN6hipcub16HIPCUB_304000_NS6detail27convert_result_type_wrapperIS8_S9_N2at6native12_GLOBAL__N_110CustomProdEEEEE10hipError_tPvRmT0_T1_jT2_SQ_T4_T3_P12ihipStream_tbEUlT_E_NS1_11comp_targetILNS1_3genE3ELNS1_11target_archE908ELNS1_3gpuE7ELNS1_3repE0EEENS1_30default_config_static_selectorELNS0_4arch9wavefront6targetE0EEEvSP_ ; -- Begin function _ZN7rocprim17ROCPRIM_400000_NS6detail17trampoline_kernelINS0_14default_configENS1_32segmented_reduce_config_selectorIdEEZNS1_21segmented_reduce_implIS3_PKdPdPKldN6hipcub16HIPCUB_304000_NS6detail27convert_result_type_wrapperIS8_S9_N2at6native12_GLOBAL__N_110CustomProdEEEEE10hipError_tPvRmT0_T1_jT2_SQ_T4_T3_P12ihipStream_tbEUlT_E_NS1_11comp_targetILNS1_3genE3ELNS1_11target_archE908ELNS1_3gpuE7ELNS1_3repE0EEENS1_30default_config_static_selectorELNS0_4arch9wavefront6targetE0EEEvSP_
	.p2align	8
	.type	_ZN7rocprim17ROCPRIM_400000_NS6detail17trampoline_kernelINS0_14default_configENS1_32segmented_reduce_config_selectorIdEEZNS1_21segmented_reduce_implIS3_PKdPdPKldN6hipcub16HIPCUB_304000_NS6detail27convert_result_type_wrapperIS8_S9_N2at6native12_GLOBAL__N_110CustomProdEEEEE10hipError_tPvRmT0_T1_jT2_SQ_T4_T3_P12ihipStream_tbEUlT_E_NS1_11comp_targetILNS1_3genE3ELNS1_11target_archE908ELNS1_3gpuE7ELNS1_3repE0EEENS1_30default_config_static_selectorELNS0_4arch9wavefront6targetE0EEEvSP_,@function
_ZN7rocprim17ROCPRIM_400000_NS6detail17trampoline_kernelINS0_14default_configENS1_32segmented_reduce_config_selectorIdEEZNS1_21segmented_reduce_implIS3_PKdPdPKldN6hipcub16HIPCUB_304000_NS6detail27convert_result_type_wrapperIS8_S9_N2at6native12_GLOBAL__N_110CustomProdEEEEE10hipError_tPvRmT0_T1_jT2_SQ_T4_T3_P12ihipStream_tbEUlT_E_NS1_11comp_targetILNS1_3genE3ELNS1_11target_archE908ELNS1_3gpuE7ELNS1_3repE0EEENS1_30default_config_static_selectorELNS0_4arch9wavefront6targetE0EEEvSP_: ; @_ZN7rocprim17ROCPRIM_400000_NS6detail17trampoline_kernelINS0_14default_configENS1_32segmented_reduce_config_selectorIdEEZNS1_21segmented_reduce_implIS3_PKdPdPKldN6hipcub16HIPCUB_304000_NS6detail27convert_result_type_wrapperIS8_S9_N2at6native12_GLOBAL__N_110CustomProdEEEEE10hipError_tPvRmT0_T1_jT2_SQ_T4_T3_P12ihipStream_tbEUlT_E_NS1_11comp_targetILNS1_3genE3ELNS1_11target_archE908ELNS1_3gpuE7ELNS1_3repE0EEENS1_30default_config_static_selectorELNS0_4arch9wavefront6targetE0EEEvSP_
; %bb.0:
	.section	.rodata,"a",@progbits
	.p2align	6, 0x0
	.amdhsa_kernel _ZN7rocprim17ROCPRIM_400000_NS6detail17trampoline_kernelINS0_14default_configENS1_32segmented_reduce_config_selectorIdEEZNS1_21segmented_reduce_implIS3_PKdPdPKldN6hipcub16HIPCUB_304000_NS6detail27convert_result_type_wrapperIS8_S9_N2at6native12_GLOBAL__N_110CustomProdEEEEE10hipError_tPvRmT0_T1_jT2_SQ_T4_T3_P12ihipStream_tbEUlT_E_NS1_11comp_targetILNS1_3genE3ELNS1_11target_archE908ELNS1_3gpuE7ELNS1_3repE0EEENS1_30default_config_static_selectorELNS0_4arch9wavefront6targetE0EEEvSP_
		.amdhsa_group_segment_fixed_size 0
		.amdhsa_private_segment_fixed_size 0
		.amdhsa_kernarg_size 56
		.amdhsa_user_sgpr_count 6
		.amdhsa_user_sgpr_private_segment_buffer 1
		.amdhsa_user_sgpr_dispatch_ptr 0
		.amdhsa_user_sgpr_queue_ptr 0
		.amdhsa_user_sgpr_kernarg_segment_ptr 1
		.amdhsa_user_sgpr_dispatch_id 0
		.amdhsa_user_sgpr_flat_scratch_init 0
		.amdhsa_user_sgpr_private_segment_size 0
		.amdhsa_wavefront_size32 1
		.amdhsa_uses_dynamic_stack 0
		.amdhsa_system_sgpr_private_segment_wavefront_offset 0
		.amdhsa_system_sgpr_workgroup_id_x 1
		.amdhsa_system_sgpr_workgroup_id_y 0
		.amdhsa_system_sgpr_workgroup_id_z 0
		.amdhsa_system_sgpr_workgroup_info 0
		.amdhsa_system_vgpr_workitem_id 0
		.amdhsa_next_free_vgpr 1
		.amdhsa_next_free_sgpr 1
		.amdhsa_reserve_vcc 0
		.amdhsa_reserve_flat_scratch 0
		.amdhsa_float_round_mode_32 0
		.amdhsa_float_round_mode_16_64 0
		.amdhsa_float_denorm_mode_32 3
		.amdhsa_float_denorm_mode_16_64 3
		.amdhsa_dx10_clamp 1
		.amdhsa_ieee_mode 1
		.amdhsa_fp16_overflow 0
		.amdhsa_workgroup_processor_mode 1
		.amdhsa_memory_ordered 1
		.amdhsa_forward_progress 1
		.amdhsa_shared_vgpr_count 0
		.amdhsa_exception_fp_ieee_invalid_op 0
		.amdhsa_exception_fp_denorm_src 0
		.amdhsa_exception_fp_ieee_div_zero 0
		.amdhsa_exception_fp_ieee_overflow 0
		.amdhsa_exception_fp_ieee_underflow 0
		.amdhsa_exception_fp_ieee_inexact 0
		.amdhsa_exception_int_div_zero 0
	.end_amdhsa_kernel
	.section	.text._ZN7rocprim17ROCPRIM_400000_NS6detail17trampoline_kernelINS0_14default_configENS1_32segmented_reduce_config_selectorIdEEZNS1_21segmented_reduce_implIS3_PKdPdPKldN6hipcub16HIPCUB_304000_NS6detail27convert_result_type_wrapperIS8_S9_N2at6native12_GLOBAL__N_110CustomProdEEEEE10hipError_tPvRmT0_T1_jT2_SQ_T4_T3_P12ihipStream_tbEUlT_E_NS1_11comp_targetILNS1_3genE3ELNS1_11target_archE908ELNS1_3gpuE7ELNS1_3repE0EEENS1_30default_config_static_selectorELNS0_4arch9wavefront6targetE0EEEvSP_,"axG",@progbits,_ZN7rocprim17ROCPRIM_400000_NS6detail17trampoline_kernelINS0_14default_configENS1_32segmented_reduce_config_selectorIdEEZNS1_21segmented_reduce_implIS3_PKdPdPKldN6hipcub16HIPCUB_304000_NS6detail27convert_result_type_wrapperIS8_S9_N2at6native12_GLOBAL__N_110CustomProdEEEEE10hipError_tPvRmT0_T1_jT2_SQ_T4_T3_P12ihipStream_tbEUlT_E_NS1_11comp_targetILNS1_3genE3ELNS1_11target_archE908ELNS1_3gpuE7ELNS1_3repE0EEENS1_30default_config_static_selectorELNS0_4arch9wavefront6targetE0EEEvSP_,comdat
.Lfunc_end174:
	.size	_ZN7rocprim17ROCPRIM_400000_NS6detail17trampoline_kernelINS0_14default_configENS1_32segmented_reduce_config_selectorIdEEZNS1_21segmented_reduce_implIS3_PKdPdPKldN6hipcub16HIPCUB_304000_NS6detail27convert_result_type_wrapperIS8_S9_N2at6native12_GLOBAL__N_110CustomProdEEEEE10hipError_tPvRmT0_T1_jT2_SQ_T4_T3_P12ihipStream_tbEUlT_E_NS1_11comp_targetILNS1_3genE3ELNS1_11target_archE908ELNS1_3gpuE7ELNS1_3repE0EEENS1_30default_config_static_selectorELNS0_4arch9wavefront6targetE0EEEvSP_, .Lfunc_end174-_ZN7rocprim17ROCPRIM_400000_NS6detail17trampoline_kernelINS0_14default_configENS1_32segmented_reduce_config_selectorIdEEZNS1_21segmented_reduce_implIS3_PKdPdPKldN6hipcub16HIPCUB_304000_NS6detail27convert_result_type_wrapperIS8_S9_N2at6native12_GLOBAL__N_110CustomProdEEEEE10hipError_tPvRmT0_T1_jT2_SQ_T4_T3_P12ihipStream_tbEUlT_E_NS1_11comp_targetILNS1_3genE3ELNS1_11target_archE908ELNS1_3gpuE7ELNS1_3repE0EEENS1_30default_config_static_selectorELNS0_4arch9wavefront6targetE0EEEvSP_
                                        ; -- End function
	.set _ZN7rocprim17ROCPRIM_400000_NS6detail17trampoline_kernelINS0_14default_configENS1_32segmented_reduce_config_selectorIdEEZNS1_21segmented_reduce_implIS3_PKdPdPKldN6hipcub16HIPCUB_304000_NS6detail27convert_result_type_wrapperIS8_S9_N2at6native12_GLOBAL__N_110CustomProdEEEEE10hipError_tPvRmT0_T1_jT2_SQ_T4_T3_P12ihipStream_tbEUlT_E_NS1_11comp_targetILNS1_3genE3ELNS1_11target_archE908ELNS1_3gpuE7ELNS1_3repE0EEENS1_30default_config_static_selectorELNS0_4arch9wavefront6targetE0EEEvSP_.num_vgpr, 0
	.set _ZN7rocprim17ROCPRIM_400000_NS6detail17trampoline_kernelINS0_14default_configENS1_32segmented_reduce_config_selectorIdEEZNS1_21segmented_reduce_implIS3_PKdPdPKldN6hipcub16HIPCUB_304000_NS6detail27convert_result_type_wrapperIS8_S9_N2at6native12_GLOBAL__N_110CustomProdEEEEE10hipError_tPvRmT0_T1_jT2_SQ_T4_T3_P12ihipStream_tbEUlT_E_NS1_11comp_targetILNS1_3genE3ELNS1_11target_archE908ELNS1_3gpuE7ELNS1_3repE0EEENS1_30default_config_static_selectorELNS0_4arch9wavefront6targetE0EEEvSP_.num_agpr, 0
	.set _ZN7rocprim17ROCPRIM_400000_NS6detail17trampoline_kernelINS0_14default_configENS1_32segmented_reduce_config_selectorIdEEZNS1_21segmented_reduce_implIS3_PKdPdPKldN6hipcub16HIPCUB_304000_NS6detail27convert_result_type_wrapperIS8_S9_N2at6native12_GLOBAL__N_110CustomProdEEEEE10hipError_tPvRmT0_T1_jT2_SQ_T4_T3_P12ihipStream_tbEUlT_E_NS1_11comp_targetILNS1_3genE3ELNS1_11target_archE908ELNS1_3gpuE7ELNS1_3repE0EEENS1_30default_config_static_selectorELNS0_4arch9wavefront6targetE0EEEvSP_.numbered_sgpr, 0
	.set _ZN7rocprim17ROCPRIM_400000_NS6detail17trampoline_kernelINS0_14default_configENS1_32segmented_reduce_config_selectorIdEEZNS1_21segmented_reduce_implIS3_PKdPdPKldN6hipcub16HIPCUB_304000_NS6detail27convert_result_type_wrapperIS8_S9_N2at6native12_GLOBAL__N_110CustomProdEEEEE10hipError_tPvRmT0_T1_jT2_SQ_T4_T3_P12ihipStream_tbEUlT_E_NS1_11comp_targetILNS1_3genE3ELNS1_11target_archE908ELNS1_3gpuE7ELNS1_3repE0EEENS1_30default_config_static_selectorELNS0_4arch9wavefront6targetE0EEEvSP_.num_named_barrier, 0
	.set _ZN7rocprim17ROCPRIM_400000_NS6detail17trampoline_kernelINS0_14default_configENS1_32segmented_reduce_config_selectorIdEEZNS1_21segmented_reduce_implIS3_PKdPdPKldN6hipcub16HIPCUB_304000_NS6detail27convert_result_type_wrapperIS8_S9_N2at6native12_GLOBAL__N_110CustomProdEEEEE10hipError_tPvRmT0_T1_jT2_SQ_T4_T3_P12ihipStream_tbEUlT_E_NS1_11comp_targetILNS1_3genE3ELNS1_11target_archE908ELNS1_3gpuE7ELNS1_3repE0EEENS1_30default_config_static_selectorELNS0_4arch9wavefront6targetE0EEEvSP_.private_seg_size, 0
	.set _ZN7rocprim17ROCPRIM_400000_NS6detail17trampoline_kernelINS0_14default_configENS1_32segmented_reduce_config_selectorIdEEZNS1_21segmented_reduce_implIS3_PKdPdPKldN6hipcub16HIPCUB_304000_NS6detail27convert_result_type_wrapperIS8_S9_N2at6native12_GLOBAL__N_110CustomProdEEEEE10hipError_tPvRmT0_T1_jT2_SQ_T4_T3_P12ihipStream_tbEUlT_E_NS1_11comp_targetILNS1_3genE3ELNS1_11target_archE908ELNS1_3gpuE7ELNS1_3repE0EEENS1_30default_config_static_selectorELNS0_4arch9wavefront6targetE0EEEvSP_.uses_vcc, 0
	.set _ZN7rocprim17ROCPRIM_400000_NS6detail17trampoline_kernelINS0_14default_configENS1_32segmented_reduce_config_selectorIdEEZNS1_21segmented_reduce_implIS3_PKdPdPKldN6hipcub16HIPCUB_304000_NS6detail27convert_result_type_wrapperIS8_S9_N2at6native12_GLOBAL__N_110CustomProdEEEEE10hipError_tPvRmT0_T1_jT2_SQ_T4_T3_P12ihipStream_tbEUlT_E_NS1_11comp_targetILNS1_3genE3ELNS1_11target_archE908ELNS1_3gpuE7ELNS1_3repE0EEENS1_30default_config_static_selectorELNS0_4arch9wavefront6targetE0EEEvSP_.uses_flat_scratch, 0
	.set _ZN7rocprim17ROCPRIM_400000_NS6detail17trampoline_kernelINS0_14default_configENS1_32segmented_reduce_config_selectorIdEEZNS1_21segmented_reduce_implIS3_PKdPdPKldN6hipcub16HIPCUB_304000_NS6detail27convert_result_type_wrapperIS8_S9_N2at6native12_GLOBAL__N_110CustomProdEEEEE10hipError_tPvRmT0_T1_jT2_SQ_T4_T3_P12ihipStream_tbEUlT_E_NS1_11comp_targetILNS1_3genE3ELNS1_11target_archE908ELNS1_3gpuE7ELNS1_3repE0EEENS1_30default_config_static_selectorELNS0_4arch9wavefront6targetE0EEEvSP_.has_dyn_sized_stack, 0
	.set _ZN7rocprim17ROCPRIM_400000_NS6detail17trampoline_kernelINS0_14default_configENS1_32segmented_reduce_config_selectorIdEEZNS1_21segmented_reduce_implIS3_PKdPdPKldN6hipcub16HIPCUB_304000_NS6detail27convert_result_type_wrapperIS8_S9_N2at6native12_GLOBAL__N_110CustomProdEEEEE10hipError_tPvRmT0_T1_jT2_SQ_T4_T3_P12ihipStream_tbEUlT_E_NS1_11comp_targetILNS1_3genE3ELNS1_11target_archE908ELNS1_3gpuE7ELNS1_3repE0EEENS1_30default_config_static_selectorELNS0_4arch9wavefront6targetE0EEEvSP_.has_recursion, 0
	.set _ZN7rocprim17ROCPRIM_400000_NS6detail17trampoline_kernelINS0_14default_configENS1_32segmented_reduce_config_selectorIdEEZNS1_21segmented_reduce_implIS3_PKdPdPKldN6hipcub16HIPCUB_304000_NS6detail27convert_result_type_wrapperIS8_S9_N2at6native12_GLOBAL__N_110CustomProdEEEEE10hipError_tPvRmT0_T1_jT2_SQ_T4_T3_P12ihipStream_tbEUlT_E_NS1_11comp_targetILNS1_3genE3ELNS1_11target_archE908ELNS1_3gpuE7ELNS1_3repE0EEENS1_30default_config_static_selectorELNS0_4arch9wavefront6targetE0EEEvSP_.has_indirect_call, 0
	.section	.AMDGPU.csdata,"",@progbits
; Kernel info:
; codeLenInByte = 0
; TotalNumSgprs: 0
; NumVgprs: 0
; ScratchSize: 0
; MemoryBound: 0
; FloatMode: 240
; IeeeMode: 1
; LDSByteSize: 0 bytes/workgroup (compile time only)
; SGPRBlocks: 0
; VGPRBlocks: 0
; NumSGPRsForWavesPerEU: 1
; NumVGPRsForWavesPerEU: 1
; Occupancy: 16
; WaveLimiterHint : 0
; COMPUTE_PGM_RSRC2:SCRATCH_EN: 0
; COMPUTE_PGM_RSRC2:USER_SGPR: 6
; COMPUTE_PGM_RSRC2:TRAP_HANDLER: 0
; COMPUTE_PGM_RSRC2:TGID_X_EN: 1
; COMPUTE_PGM_RSRC2:TGID_Y_EN: 0
; COMPUTE_PGM_RSRC2:TGID_Z_EN: 0
; COMPUTE_PGM_RSRC2:TIDIG_COMP_CNT: 0
	.section	.text._ZN7rocprim17ROCPRIM_400000_NS6detail17trampoline_kernelINS0_14default_configENS1_32segmented_reduce_config_selectorIdEEZNS1_21segmented_reduce_implIS3_PKdPdPKldN6hipcub16HIPCUB_304000_NS6detail27convert_result_type_wrapperIS8_S9_N2at6native12_GLOBAL__N_110CustomProdEEEEE10hipError_tPvRmT0_T1_jT2_SQ_T4_T3_P12ihipStream_tbEUlT_E_NS1_11comp_targetILNS1_3genE2ELNS1_11target_archE906ELNS1_3gpuE6ELNS1_3repE0EEENS1_30default_config_static_selectorELNS0_4arch9wavefront6targetE0EEEvSP_,"axG",@progbits,_ZN7rocprim17ROCPRIM_400000_NS6detail17trampoline_kernelINS0_14default_configENS1_32segmented_reduce_config_selectorIdEEZNS1_21segmented_reduce_implIS3_PKdPdPKldN6hipcub16HIPCUB_304000_NS6detail27convert_result_type_wrapperIS8_S9_N2at6native12_GLOBAL__N_110CustomProdEEEEE10hipError_tPvRmT0_T1_jT2_SQ_T4_T3_P12ihipStream_tbEUlT_E_NS1_11comp_targetILNS1_3genE2ELNS1_11target_archE906ELNS1_3gpuE6ELNS1_3repE0EEENS1_30default_config_static_selectorELNS0_4arch9wavefront6targetE0EEEvSP_,comdat
	.globl	_ZN7rocprim17ROCPRIM_400000_NS6detail17trampoline_kernelINS0_14default_configENS1_32segmented_reduce_config_selectorIdEEZNS1_21segmented_reduce_implIS3_PKdPdPKldN6hipcub16HIPCUB_304000_NS6detail27convert_result_type_wrapperIS8_S9_N2at6native12_GLOBAL__N_110CustomProdEEEEE10hipError_tPvRmT0_T1_jT2_SQ_T4_T3_P12ihipStream_tbEUlT_E_NS1_11comp_targetILNS1_3genE2ELNS1_11target_archE906ELNS1_3gpuE6ELNS1_3repE0EEENS1_30default_config_static_selectorELNS0_4arch9wavefront6targetE0EEEvSP_ ; -- Begin function _ZN7rocprim17ROCPRIM_400000_NS6detail17trampoline_kernelINS0_14default_configENS1_32segmented_reduce_config_selectorIdEEZNS1_21segmented_reduce_implIS3_PKdPdPKldN6hipcub16HIPCUB_304000_NS6detail27convert_result_type_wrapperIS8_S9_N2at6native12_GLOBAL__N_110CustomProdEEEEE10hipError_tPvRmT0_T1_jT2_SQ_T4_T3_P12ihipStream_tbEUlT_E_NS1_11comp_targetILNS1_3genE2ELNS1_11target_archE906ELNS1_3gpuE6ELNS1_3repE0EEENS1_30default_config_static_selectorELNS0_4arch9wavefront6targetE0EEEvSP_
	.p2align	8
	.type	_ZN7rocprim17ROCPRIM_400000_NS6detail17trampoline_kernelINS0_14default_configENS1_32segmented_reduce_config_selectorIdEEZNS1_21segmented_reduce_implIS3_PKdPdPKldN6hipcub16HIPCUB_304000_NS6detail27convert_result_type_wrapperIS8_S9_N2at6native12_GLOBAL__N_110CustomProdEEEEE10hipError_tPvRmT0_T1_jT2_SQ_T4_T3_P12ihipStream_tbEUlT_E_NS1_11comp_targetILNS1_3genE2ELNS1_11target_archE906ELNS1_3gpuE6ELNS1_3repE0EEENS1_30default_config_static_selectorELNS0_4arch9wavefront6targetE0EEEvSP_,@function
_ZN7rocprim17ROCPRIM_400000_NS6detail17trampoline_kernelINS0_14default_configENS1_32segmented_reduce_config_selectorIdEEZNS1_21segmented_reduce_implIS3_PKdPdPKldN6hipcub16HIPCUB_304000_NS6detail27convert_result_type_wrapperIS8_S9_N2at6native12_GLOBAL__N_110CustomProdEEEEE10hipError_tPvRmT0_T1_jT2_SQ_T4_T3_P12ihipStream_tbEUlT_E_NS1_11comp_targetILNS1_3genE2ELNS1_11target_archE906ELNS1_3gpuE6ELNS1_3repE0EEENS1_30default_config_static_selectorELNS0_4arch9wavefront6targetE0EEEvSP_: ; @_ZN7rocprim17ROCPRIM_400000_NS6detail17trampoline_kernelINS0_14default_configENS1_32segmented_reduce_config_selectorIdEEZNS1_21segmented_reduce_implIS3_PKdPdPKldN6hipcub16HIPCUB_304000_NS6detail27convert_result_type_wrapperIS8_S9_N2at6native12_GLOBAL__N_110CustomProdEEEEE10hipError_tPvRmT0_T1_jT2_SQ_T4_T3_P12ihipStream_tbEUlT_E_NS1_11comp_targetILNS1_3genE2ELNS1_11target_archE906ELNS1_3gpuE6ELNS1_3repE0EEENS1_30default_config_static_selectorELNS0_4arch9wavefront6targetE0EEEvSP_
; %bb.0:
	.section	.rodata,"a",@progbits
	.p2align	6, 0x0
	.amdhsa_kernel _ZN7rocprim17ROCPRIM_400000_NS6detail17trampoline_kernelINS0_14default_configENS1_32segmented_reduce_config_selectorIdEEZNS1_21segmented_reduce_implIS3_PKdPdPKldN6hipcub16HIPCUB_304000_NS6detail27convert_result_type_wrapperIS8_S9_N2at6native12_GLOBAL__N_110CustomProdEEEEE10hipError_tPvRmT0_T1_jT2_SQ_T4_T3_P12ihipStream_tbEUlT_E_NS1_11comp_targetILNS1_3genE2ELNS1_11target_archE906ELNS1_3gpuE6ELNS1_3repE0EEENS1_30default_config_static_selectorELNS0_4arch9wavefront6targetE0EEEvSP_
		.amdhsa_group_segment_fixed_size 0
		.amdhsa_private_segment_fixed_size 0
		.amdhsa_kernarg_size 56
		.amdhsa_user_sgpr_count 6
		.amdhsa_user_sgpr_private_segment_buffer 1
		.amdhsa_user_sgpr_dispatch_ptr 0
		.amdhsa_user_sgpr_queue_ptr 0
		.amdhsa_user_sgpr_kernarg_segment_ptr 1
		.amdhsa_user_sgpr_dispatch_id 0
		.amdhsa_user_sgpr_flat_scratch_init 0
		.amdhsa_user_sgpr_private_segment_size 0
		.amdhsa_wavefront_size32 1
		.amdhsa_uses_dynamic_stack 0
		.amdhsa_system_sgpr_private_segment_wavefront_offset 0
		.amdhsa_system_sgpr_workgroup_id_x 1
		.amdhsa_system_sgpr_workgroup_id_y 0
		.amdhsa_system_sgpr_workgroup_id_z 0
		.amdhsa_system_sgpr_workgroup_info 0
		.amdhsa_system_vgpr_workitem_id 0
		.amdhsa_next_free_vgpr 1
		.amdhsa_next_free_sgpr 1
		.amdhsa_reserve_vcc 0
		.amdhsa_reserve_flat_scratch 0
		.amdhsa_float_round_mode_32 0
		.amdhsa_float_round_mode_16_64 0
		.amdhsa_float_denorm_mode_32 3
		.amdhsa_float_denorm_mode_16_64 3
		.amdhsa_dx10_clamp 1
		.amdhsa_ieee_mode 1
		.amdhsa_fp16_overflow 0
		.amdhsa_workgroup_processor_mode 1
		.amdhsa_memory_ordered 1
		.amdhsa_forward_progress 1
		.amdhsa_shared_vgpr_count 0
		.amdhsa_exception_fp_ieee_invalid_op 0
		.amdhsa_exception_fp_denorm_src 0
		.amdhsa_exception_fp_ieee_div_zero 0
		.amdhsa_exception_fp_ieee_overflow 0
		.amdhsa_exception_fp_ieee_underflow 0
		.amdhsa_exception_fp_ieee_inexact 0
		.amdhsa_exception_int_div_zero 0
	.end_amdhsa_kernel
	.section	.text._ZN7rocprim17ROCPRIM_400000_NS6detail17trampoline_kernelINS0_14default_configENS1_32segmented_reduce_config_selectorIdEEZNS1_21segmented_reduce_implIS3_PKdPdPKldN6hipcub16HIPCUB_304000_NS6detail27convert_result_type_wrapperIS8_S9_N2at6native12_GLOBAL__N_110CustomProdEEEEE10hipError_tPvRmT0_T1_jT2_SQ_T4_T3_P12ihipStream_tbEUlT_E_NS1_11comp_targetILNS1_3genE2ELNS1_11target_archE906ELNS1_3gpuE6ELNS1_3repE0EEENS1_30default_config_static_selectorELNS0_4arch9wavefront6targetE0EEEvSP_,"axG",@progbits,_ZN7rocprim17ROCPRIM_400000_NS6detail17trampoline_kernelINS0_14default_configENS1_32segmented_reduce_config_selectorIdEEZNS1_21segmented_reduce_implIS3_PKdPdPKldN6hipcub16HIPCUB_304000_NS6detail27convert_result_type_wrapperIS8_S9_N2at6native12_GLOBAL__N_110CustomProdEEEEE10hipError_tPvRmT0_T1_jT2_SQ_T4_T3_P12ihipStream_tbEUlT_E_NS1_11comp_targetILNS1_3genE2ELNS1_11target_archE906ELNS1_3gpuE6ELNS1_3repE0EEENS1_30default_config_static_selectorELNS0_4arch9wavefront6targetE0EEEvSP_,comdat
.Lfunc_end175:
	.size	_ZN7rocprim17ROCPRIM_400000_NS6detail17trampoline_kernelINS0_14default_configENS1_32segmented_reduce_config_selectorIdEEZNS1_21segmented_reduce_implIS3_PKdPdPKldN6hipcub16HIPCUB_304000_NS6detail27convert_result_type_wrapperIS8_S9_N2at6native12_GLOBAL__N_110CustomProdEEEEE10hipError_tPvRmT0_T1_jT2_SQ_T4_T3_P12ihipStream_tbEUlT_E_NS1_11comp_targetILNS1_3genE2ELNS1_11target_archE906ELNS1_3gpuE6ELNS1_3repE0EEENS1_30default_config_static_selectorELNS0_4arch9wavefront6targetE0EEEvSP_, .Lfunc_end175-_ZN7rocprim17ROCPRIM_400000_NS6detail17trampoline_kernelINS0_14default_configENS1_32segmented_reduce_config_selectorIdEEZNS1_21segmented_reduce_implIS3_PKdPdPKldN6hipcub16HIPCUB_304000_NS6detail27convert_result_type_wrapperIS8_S9_N2at6native12_GLOBAL__N_110CustomProdEEEEE10hipError_tPvRmT0_T1_jT2_SQ_T4_T3_P12ihipStream_tbEUlT_E_NS1_11comp_targetILNS1_3genE2ELNS1_11target_archE906ELNS1_3gpuE6ELNS1_3repE0EEENS1_30default_config_static_selectorELNS0_4arch9wavefront6targetE0EEEvSP_
                                        ; -- End function
	.set _ZN7rocprim17ROCPRIM_400000_NS6detail17trampoline_kernelINS0_14default_configENS1_32segmented_reduce_config_selectorIdEEZNS1_21segmented_reduce_implIS3_PKdPdPKldN6hipcub16HIPCUB_304000_NS6detail27convert_result_type_wrapperIS8_S9_N2at6native12_GLOBAL__N_110CustomProdEEEEE10hipError_tPvRmT0_T1_jT2_SQ_T4_T3_P12ihipStream_tbEUlT_E_NS1_11comp_targetILNS1_3genE2ELNS1_11target_archE906ELNS1_3gpuE6ELNS1_3repE0EEENS1_30default_config_static_selectorELNS0_4arch9wavefront6targetE0EEEvSP_.num_vgpr, 0
	.set _ZN7rocprim17ROCPRIM_400000_NS6detail17trampoline_kernelINS0_14default_configENS1_32segmented_reduce_config_selectorIdEEZNS1_21segmented_reduce_implIS3_PKdPdPKldN6hipcub16HIPCUB_304000_NS6detail27convert_result_type_wrapperIS8_S9_N2at6native12_GLOBAL__N_110CustomProdEEEEE10hipError_tPvRmT0_T1_jT2_SQ_T4_T3_P12ihipStream_tbEUlT_E_NS1_11comp_targetILNS1_3genE2ELNS1_11target_archE906ELNS1_3gpuE6ELNS1_3repE0EEENS1_30default_config_static_selectorELNS0_4arch9wavefront6targetE0EEEvSP_.num_agpr, 0
	.set _ZN7rocprim17ROCPRIM_400000_NS6detail17trampoline_kernelINS0_14default_configENS1_32segmented_reduce_config_selectorIdEEZNS1_21segmented_reduce_implIS3_PKdPdPKldN6hipcub16HIPCUB_304000_NS6detail27convert_result_type_wrapperIS8_S9_N2at6native12_GLOBAL__N_110CustomProdEEEEE10hipError_tPvRmT0_T1_jT2_SQ_T4_T3_P12ihipStream_tbEUlT_E_NS1_11comp_targetILNS1_3genE2ELNS1_11target_archE906ELNS1_3gpuE6ELNS1_3repE0EEENS1_30default_config_static_selectorELNS0_4arch9wavefront6targetE0EEEvSP_.numbered_sgpr, 0
	.set _ZN7rocprim17ROCPRIM_400000_NS6detail17trampoline_kernelINS0_14default_configENS1_32segmented_reduce_config_selectorIdEEZNS1_21segmented_reduce_implIS3_PKdPdPKldN6hipcub16HIPCUB_304000_NS6detail27convert_result_type_wrapperIS8_S9_N2at6native12_GLOBAL__N_110CustomProdEEEEE10hipError_tPvRmT0_T1_jT2_SQ_T4_T3_P12ihipStream_tbEUlT_E_NS1_11comp_targetILNS1_3genE2ELNS1_11target_archE906ELNS1_3gpuE6ELNS1_3repE0EEENS1_30default_config_static_selectorELNS0_4arch9wavefront6targetE0EEEvSP_.num_named_barrier, 0
	.set _ZN7rocprim17ROCPRIM_400000_NS6detail17trampoline_kernelINS0_14default_configENS1_32segmented_reduce_config_selectorIdEEZNS1_21segmented_reduce_implIS3_PKdPdPKldN6hipcub16HIPCUB_304000_NS6detail27convert_result_type_wrapperIS8_S9_N2at6native12_GLOBAL__N_110CustomProdEEEEE10hipError_tPvRmT0_T1_jT2_SQ_T4_T3_P12ihipStream_tbEUlT_E_NS1_11comp_targetILNS1_3genE2ELNS1_11target_archE906ELNS1_3gpuE6ELNS1_3repE0EEENS1_30default_config_static_selectorELNS0_4arch9wavefront6targetE0EEEvSP_.private_seg_size, 0
	.set _ZN7rocprim17ROCPRIM_400000_NS6detail17trampoline_kernelINS0_14default_configENS1_32segmented_reduce_config_selectorIdEEZNS1_21segmented_reduce_implIS3_PKdPdPKldN6hipcub16HIPCUB_304000_NS6detail27convert_result_type_wrapperIS8_S9_N2at6native12_GLOBAL__N_110CustomProdEEEEE10hipError_tPvRmT0_T1_jT2_SQ_T4_T3_P12ihipStream_tbEUlT_E_NS1_11comp_targetILNS1_3genE2ELNS1_11target_archE906ELNS1_3gpuE6ELNS1_3repE0EEENS1_30default_config_static_selectorELNS0_4arch9wavefront6targetE0EEEvSP_.uses_vcc, 0
	.set _ZN7rocprim17ROCPRIM_400000_NS6detail17trampoline_kernelINS0_14default_configENS1_32segmented_reduce_config_selectorIdEEZNS1_21segmented_reduce_implIS3_PKdPdPKldN6hipcub16HIPCUB_304000_NS6detail27convert_result_type_wrapperIS8_S9_N2at6native12_GLOBAL__N_110CustomProdEEEEE10hipError_tPvRmT0_T1_jT2_SQ_T4_T3_P12ihipStream_tbEUlT_E_NS1_11comp_targetILNS1_3genE2ELNS1_11target_archE906ELNS1_3gpuE6ELNS1_3repE0EEENS1_30default_config_static_selectorELNS0_4arch9wavefront6targetE0EEEvSP_.uses_flat_scratch, 0
	.set _ZN7rocprim17ROCPRIM_400000_NS6detail17trampoline_kernelINS0_14default_configENS1_32segmented_reduce_config_selectorIdEEZNS1_21segmented_reduce_implIS3_PKdPdPKldN6hipcub16HIPCUB_304000_NS6detail27convert_result_type_wrapperIS8_S9_N2at6native12_GLOBAL__N_110CustomProdEEEEE10hipError_tPvRmT0_T1_jT2_SQ_T4_T3_P12ihipStream_tbEUlT_E_NS1_11comp_targetILNS1_3genE2ELNS1_11target_archE906ELNS1_3gpuE6ELNS1_3repE0EEENS1_30default_config_static_selectorELNS0_4arch9wavefront6targetE0EEEvSP_.has_dyn_sized_stack, 0
	.set _ZN7rocprim17ROCPRIM_400000_NS6detail17trampoline_kernelINS0_14default_configENS1_32segmented_reduce_config_selectorIdEEZNS1_21segmented_reduce_implIS3_PKdPdPKldN6hipcub16HIPCUB_304000_NS6detail27convert_result_type_wrapperIS8_S9_N2at6native12_GLOBAL__N_110CustomProdEEEEE10hipError_tPvRmT0_T1_jT2_SQ_T4_T3_P12ihipStream_tbEUlT_E_NS1_11comp_targetILNS1_3genE2ELNS1_11target_archE906ELNS1_3gpuE6ELNS1_3repE0EEENS1_30default_config_static_selectorELNS0_4arch9wavefront6targetE0EEEvSP_.has_recursion, 0
	.set _ZN7rocprim17ROCPRIM_400000_NS6detail17trampoline_kernelINS0_14default_configENS1_32segmented_reduce_config_selectorIdEEZNS1_21segmented_reduce_implIS3_PKdPdPKldN6hipcub16HIPCUB_304000_NS6detail27convert_result_type_wrapperIS8_S9_N2at6native12_GLOBAL__N_110CustomProdEEEEE10hipError_tPvRmT0_T1_jT2_SQ_T4_T3_P12ihipStream_tbEUlT_E_NS1_11comp_targetILNS1_3genE2ELNS1_11target_archE906ELNS1_3gpuE6ELNS1_3repE0EEENS1_30default_config_static_selectorELNS0_4arch9wavefront6targetE0EEEvSP_.has_indirect_call, 0
	.section	.AMDGPU.csdata,"",@progbits
; Kernel info:
; codeLenInByte = 0
; TotalNumSgprs: 0
; NumVgprs: 0
; ScratchSize: 0
; MemoryBound: 0
; FloatMode: 240
; IeeeMode: 1
; LDSByteSize: 0 bytes/workgroup (compile time only)
; SGPRBlocks: 0
; VGPRBlocks: 0
; NumSGPRsForWavesPerEU: 1
; NumVGPRsForWavesPerEU: 1
; Occupancy: 16
; WaveLimiterHint : 0
; COMPUTE_PGM_RSRC2:SCRATCH_EN: 0
; COMPUTE_PGM_RSRC2:USER_SGPR: 6
; COMPUTE_PGM_RSRC2:TRAP_HANDLER: 0
; COMPUTE_PGM_RSRC2:TGID_X_EN: 1
; COMPUTE_PGM_RSRC2:TGID_Y_EN: 0
; COMPUTE_PGM_RSRC2:TGID_Z_EN: 0
; COMPUTE_PGM_RSRC2:TIDIG_COMP_CNT: 0
	.section	.text._ZN7rocprim17ROCPRIM_400000_NS6detail17trampoline_kernelINS0_14default_configENS1_32segmented_reduce_config_selectorIdEEZNS1_21segmented_reduce_implIS3_PKdPdPKldN6hipcub16HIPCUB_304000_NS6detail27convert_result_type_wrapperIS8_S9_N2at6native12_GLOBAL__N_110CustomProdEEEEE10hipError_tPvRmT0_T1_jT2_SQ_T4_T3_P12ihipStream_tbEUlT_E_NS1_11comp_targetILNS1_3genE9ELNS1_11target_archE1100ELNS1_3gpuE3ELNS1_3repE0EEENS1_30default_config_static_selectorELNS0_4arch9wavefront6targetE0EEEvSP_,"axG",@progbits,_ZN7rocprim17ROCPRIM_400000_NS6detail17trampoline_kernelINS0_14default_configENS1_32segmented_reduce_config_selectorIdEEZNS1_21segmented_reduce_implIS3_PKdPdPKldN6hipcub16HIPCUB_304000_NS6detail27convert_result_type_wrapperIS8_S9_N2at6native12_GLOBAL__N_110CustomProdEEEEE10hipError_tPvRmT0_T1_jT2_SQ_T4_T3_P12ihipStream_tbEUlT_E_NS1_11comp_targetILNS1_3genE9ELNS1_11target_archE1100ELNS1_3gpuE3ELNS1_3repE0EEENS1_30default_config_static_selectorELNS0_4arch9wavefront6targetE0EEEvSP_,comdat
	.globl	_ZN7rocprim17ROCPRIM_400000_NS6detail17trampoline_kernelINS0_14default_configENS1_32segmented_reduce_config_selectorIdEEZNS1_21segmented_reduce_implIS3_PKdPdPKldN6hipcub16HIPCUB_304000_NS6detail27convert_result_type_wrapperIS8_S9_N2at6native12_GLOBAL__N_110CustomProdEEEEE10hipError_tPvRmT0_T1_jT2_SQ_T4_T3_P12ihipStream_tbEUlT_E_NS1_11comp_targetILNS1_3genE9ELNS1_11target_archE1100ELNS1_3gpuE3ELNS1_3repE0EEENS1_30default_config_static_selectorELNS0_4arch9wavefront6targetE0EEEvSP_ ; -- Begin function _ZN7rocprim17ROCPRIM_400000_NS6detail17trampoline_kernelINS0_14default_configENS1_32segmented_reduce_config_selectorIdEEZNS1_21segmented_reduce_implIS3_PKdPdPKldN6hipcub16HIPCUB_304000_NS6detail27convert_result_type_wrapperIS8_S9_N2at6native12_GLOBAL__N_110CustomProdEEEEE10hipError_tPvRmT0_T1_jT2_SQ_T4_T3_P12ihipStream_tbEUlT_E_NS1_11comp_targetILNS1_3genE9ELNS1_11target_archE1100ELNS1_3gpuE3ELNS1_3repE0EEENS1_30default_config_static_selectorELNS0_4arch9wavefront6targetE0EEEvSP_
	.p2align	8
	.type	_ZN7rocprim17ROCPRIM_400000_NS6detail17trampoline_kernelINS0_14default_configENS1_32segmented_reduce_config_selectorIdEEZNS1_21segmented_reduce_implIS3_PKdPdPKldN6hipcub16HIPCUB_304000_NS6detail27convert_result_type_wrapperIS8_S9_N2at6native12_GLOBAL__N_110CustomProdEEEEE10hipError_tPvRmT0_T1_jT2_SQ_T4_T3_P12ihipStream_tbEUlT_E_NS1_11comp_targetILNS1_3genE9ELNS1_11target_archE1100ELNS1_3gpuE3ELNS1_3repE0EEENS1_30default_config_static_selectorELNS0_4arch9wavefront6targetE0EEEvSP_,@function
_ZN7rocprim17ROCPRIM_400000_NS6detail17trampoline_kernelINS0_14default_configENS1_32segmented_reduce_config_selectorIdEEZNS1_21segmented_reduce_implIS3_PKdPdPKldN6hipcub16HIPCUB_304000_NS6detail27convert_result_type_wrapperIS8_S9_N2at6native12_GLOBAL__N_110CustomProdEEEEE10hipError_tPvRmT0_T1_jT2_SQ_T4_T3_P12ihipStream_tbEUlT_E_NS1_11comp_targetILNS1_3genE9ELNS1_11target_archE1100ELNS1_3gpuE3ELNS1_3repE0EEENS1_30default_config_static_selectorELNS0_4arch9wavefront6targetE0EEEvSP_: ; @_ZN7rocprim17ROCPRIM_400000_NS6detail17trampoline_kernelINS0_14default_configENS1_32segmented_reduce_config_selectorIdEEZNS1_21segmented_reduce_implIS3_PKdPdPKldN6hipcub16HIPCUB_304000_NS6detail27convert_result_type_wrapperIS8_S9_N2at6native12_GLOBAL__N_110CustomProdEEEEE10hipError_tPvRmT0_T1_jT2_SQ_T4_T3_P12ihipStream_tbEUlT_E_NS1_11comp_targetILNS1_3genE9ELNS1_11target_archE1100ELNS1_3gpuE3ELNS1_3repE0EEENS1_30default_config_static_selectorELNS0_4arch9wavefront6targetE0EEEvSP_
; %bb.0:
	.section	.rodata,"a",@progbits
	.p2align	6, 0x0
	.amdhsa_kernel _ZN7rocprim17ROCPRIM_400000_NS6detail17trampoline_kernelINS0_14default_configENS1_32segmented_reduce_config_selectorIdEEZNS1_21segmented_reduce_implIS3_PKdPdPKldN6hipcub16HIPCUB_304000_NS6detail27convert_result_type_wrapperIS8_S9_N2at6native12_GLOBAL__N_110CustomProdEEEEE10hipError_tPvRmT0_T1_jT2_SQ_T4_T3_P12ihipStream_tbEUlT_E_NS1_11comp_targetILNS1_3genE9ELNS1_11target_archE1100ELNS1_3gpuE3ELNS1_3repE0EEENS1_30default_config_static_selectorELNS0_4arch9wavefront6targetE0EEEvSP_
		.amdhsa_group_segment_fixed_size 0
		.amdhsa_private_segment_fixed_size 0
		.amdhsa_kernarg_size 56
		.amdhsa_user_sgpr_count 6
		.amdhsa_user_sgpr_private_segment_buffer 1
		.amdhsa_user_sgpr_dispatch_ptr 0
		.amdhsa_user_sgpr_queue_ptr 0
		.amdhsa_user_sgpr_kernarg_segment_ptr 1
		.amdhsa_user_sgpr_dispatch_id 0
		.amdhsa_user_sgpr_flat_scratch_init 0
		.amdhsa_user_sgpr_private_segment_size 0
		.amdhsa_wavefront_size32 1
		.amdhsa_uses_dynamic_stack 0
		.amdhsa_system_sgpr_private_segment_wavefront_offset 0
		.amdhsa_system_sgpr_workgroup_id_x 1
		.amdhsa_system_sgpr_workgroup_id_y 0
		.amdhsa_system_sgpr_workgroup_id_z 0
		.amdhsa_system_sgpr_workgroup_info 0
		.amdhsa_system_vgpr_workitem_id 0
		.amdhsa_next_free_vgpr 1
		.amdhsa_next_free_sgpr 1
		.amdhsa_reserve_vcc 0
		.amdhsa_reserve_flat_scratch 0
		.amdhsa_float_round_mode_32 0
		.amdhsa_float_round_mode_16_64 0
		.amdhsa_float_denorm_mode_32 3
		.amdhsa_float_denorm_mode_16_64 3
		.amdhsa_dx10_clamp 1
		.amdhsa_ieee_mode 1
		.amdhsa_fp16_overflow 0
		.amdhsa_workgroup_processor_mode 1
		.amdhsa_memory_ordered 1
		.amdhsa_forward_progress 1
		.amdhsa_shared_vgpr_count 0
		.amdhsa_exception_fp_ieee_invalid_op 0
		.amdhsa_exception_fp_denorm_src 0
		.amdhsa_exception_fp_ieee_div_zero 0
		.amdhsa_exception_fp_ieee_overflow 0
		.amdhsa_exception_fp_ieee_underflow 0
		.amdhsa_exception_fp_ieee_inexact 0
		.amdhsa_exception_int_div_zero 0
	.end_amdhsa_kernel
	.section	.text._ZN7rocprim17ROCPRIM_400000_NS6detail17trampoline_kernelINS0_14default_configENS1_32segmented_reduce_config_selectorIdEEZNS1_21segmented_reduce_implIS3_PKdPdPKldN6hipcub16HIPCUB_304000_NS6detail27convert_result_type_wrapperIS8_S9_N2at6native12_GLOBAL__N_110CustomProdEEEEE10hipError_tPvRmT0_T1_jT2_SQ_T4_T3_P12ihipStream_tbEUlT_E_NS1_11comp_targetILNS1_3genE9ELNS1_11target_archE1100ELNS1_3gpuE3ELNS1_3repE0EEENS1_30default_config_static_selectorELNS0_4arch9wavefront6targetE0EEEvSP_,"axG",@progbits,_ZN7rocprim17ROCPRIM_400000_NS6detail17trampoline_kernelINS0_14default_configENS1_32segmented_reduce_config_selectorIdEEZNS1_21segmented_reduce_implIS3_PKdPdPKldN6hipcub16HIPCUB_304000_NS6detail27convert_result_type_wrapperIS8_S9_N2at6native12_GLOBAL__N_110CustomProdEEEEE10hipError_tPvRmT0_T1_jT2_SQ_T4_T3_P12ihipStream_tbEUlT_E_NS1_11comp_targetILNS1_3genE9ELNS1_11target_archE1100ELNS1_3gpuE3ELNS1_3repE0EEENS1_30default_config_static_selectorELNS0_4arch9wavefront6targetE0EEEvSP_,comdat
.Lfunc_end176:
	.size	_ZN7rocprim17ROCPRIM_400000_NS6detail17trampoline_kernelINS0_14default_configENS1_32segmented_reduce_config_selectorIdEEZNS1_21segmented_reduce_implIS3_PKdPdPKldN6hipcub16HIPCUB_304000_NS6detail27convert_result_type_wrapperIS8_S9_N2at6native12_GLOBAL__N_110CustomProdEEEEE10hipError_tPvRmT0_T1_jT2_SQ_T4_T3_P12ihipStream_tbEUlT_E_NS1_11comp_targetILNS1_3genE9ELNS1_11target_archE1100ELNS1_3gpuE3ELNS1_3repE0EEENS1_30default_config_static_selectorELNS0_4arch9wavefront6targetE0EEEvSP_, .Lfunc_end176-_ZN7rocprim17ROCPRIM_400000_NS6detail17trampoline_kernelINS0_14default_configENS1_32segmented_reduce_config_selectorIdEEZNS1_21segmented_reduce_implIS3_PKdPdPKldN6hipcub16HIPCUB_304000_NS6detail27convert_result_type_wrapperIS8_S9_N2at6native12_GLOBAL__N_110CustomProdEEEEE10hipError_tPvRmT0_T1_jT2_SQ_T4_T3_P12ihipStream_tbEUlT_E_NS1_11comp_targetILNS1_3genE9ELNS1_11target_archE1100ELNS1_3gpuE3ELNS1_3repE0EEENS1_30default_config_static_selectorELNS0_4arch9wavefront6targetE0EEEvSP_
                                        ; -- End function
	.set _ZN7rocprim17ROCPRIM_400000_NS6detail17trampoline_kernelINS0_14default_configENS1_32segmented_reduce_config_selectorIdEEZNS1_21segmented_reduce_implIS3_PKdPdPKldN6hipcub16HIPCUB_304000_NS6detail27convert_result_type_wrapperIS8_S9_N2at6native12_GLOBAL__N_110CustomProdEEEEE10hipError_tPvRmT0_T1_jT2_SQ_T4_T3_P12ihipStream_tbEUlT_E_NS1_11comp_targetILNS1_3genE9ELNS1_11target_archE1100ELNS1_3gpuE3ELNS1_3repE0EEENS1_30default_config_static_selectorELNS0_4arch9wavefront6targetE0EEEvSP_.num_vgpr, 0
	.set _ZN7rocprim17ROCPRIM_400000_NS6detail17trampoline_kernelINS0_14default_configENS1_32segmented_reduce_config_selectorIdEEZNS1_21segmented_reduce_implIS3_PKdPdPKldN6hipcub16HIPCUB_304000_NS6detail27convert_result_type_wrapperIS8_S9_N2at6native12_GLOBAL__N_110CustomProdEEEEE10hipError_tPvRmT0_T1_jT2_SQ_T4_T3_P12ihipStream_tbEUlT_E_NS1_11comp_targetILNS1_3genE9ELNS1_11target_archE1100ELNS1_3gpuE3ELNS1_3repE0EEENS1_30default_config_static_selectorELNS0_4arch9wavefront6targetE0EEEvSP_.num_agpr, 0
	.set _ZN7rocprim17ROCPRIM_400000_NS6detail17trampoline_kernelINS0_14default_configENS1_32segmented_reduce_config_selectorIdEEZNS1_21segmented_reduce_implIS3_PKdPdPKldN6hipcub16HIPCUB_304000_NS6detail27convert_result_type_wrapperIS8_S9_N2at6native12_GLOBAL__N_110CustomProdEEEEE10hipError_tPvRmT0_T1_jT2_SQ_T4_T3_P12ihipStream_tbEUlT_E_NS1_11comp_targetILNS1_3genE9ELNS1_11target_archE1100ELNS1_3gpuE3ELNS1_3repE0EEENS1_30default_config_static_selectorELNS0_4arch9wavefront6targetE0EEEvSP_.numbered_sgpr, 0
	.set _ZN7rocprim17ROCPRIM_400000_NS6detail17trampoline_kernelINS0_14default_configENS1_32segmented_reduce_config_selectorIdEEZNS1_21segmented_reduce_implIS3_PKdPdPKldN6hipcub16HIPCUB_304000_NS6detail27convert_result_type_wrapperIS8_S9_N2at6native12_GLOBAL__N_110CustomProdEEEEE10hipError_tPvRmT0_T1_jT2_SQ_T4_T3_P12ihipStream_tbEUlT_E_NS1_11comp_targetILNS1_3genE9ELNS1_11target_archE1100ELNS1_3gpuE3ELNS1_3repE0EEENS1_30default_config_static_selectorELNS0_4arch9wavefront6targetE0EEEvSP_.num_named_barrier, 0
	.set _ZN7rocprim17ROCPRIM_400000_NS6detail17trampoline_kernelINS0_14default_configENS1_32segmented_reduce_config_selectorIdEEZNS1_21segmented_reduce_implIS3_PKdPdPKldN6hipcub16HIPCUB_304000_NS6detail27convert_result_type_wrapperIS8_S9_N2at6native12_GLOBAL__N_110CustomProdEEEEE10hipError_tPvRmT0_T1_jT2_SQ_T4_T3_P12ihipStream_tbEUlT_E_NS1_11comp_targetILNS1_3genE9ELNS1_11target_archE1100ELNS1_3gpuE3ELNS1_3repE0EEENS1_30default_config_static_selectorELNS0_4arch9wavefront6targetE0EEEvSP_.private_seg_size, 0
	.set _ZN7rocprim17ROCPRIM_400000_NS6detail17trampoline_kernelINS0_14default_configENS1_32segmented_reduce_config_selectorIdEEZNS1_21segmented_reduce_implIS3_PKdPdPKldN6hipcub16HIPCUB_304000_NS6detail27convert_result_type_wrapperIS8_S9_N2at6native12_GLOBAL__N_110CustomProdEEEEE10hipError_tPvRmT0_T1_jT2_SQ_T4_T3_P12ihipStream_tbEUlT_E_NS1_11comp_targetILNS1_3genE9ELNS1_11target_archE1100ELNS1_3gpuE3ELNS1_3repE0EEENS1_30default_config_static_selectorELNS0_4arch9wavefront6targetE0EEEvSP_.uses_vcc, 0
	.set _ZN7rocprim17ROCPRIM_400000_NS6detail17trampoline_kernelINS0_14default_configENS1_32segmented_reduce_config_selectorIdEEZNS1_21segmented_reduce_implIS3_PKdPdPKldN6hipcub16HIPCUB_304000_NS6detail27convert_result_type_wrapperIS8_S9_N2at6native12_GLOBAL__N_110CustomProdEEEEE10hipError_tPvRmT0_T1_jT2_SQ_T4_T3_P12ihipStream_tbEUlT_E_NS1_11comp_targetILNS1_3genE9ELNS1_11target_archE1100ELNS1_3gpuE3ELNS1_3repE0EEENS1_30default_config_static_selectorELNS0_4arch9wavefront6targetE0EEEvSP_.uses_flat_scratch, 0
	.set _ZN7rocprim17ROCPRIM_400000_NS6detail17trampoline_kernelINS0_14default_configENS1_32segmented_reduce_config_selectorIdEEZNS1_21segmented_reduce_implIS3_PKdPdPKldN6hipcub16HIPCUB_304000_NS6detail27convert_result_type_wrapperIS8_S9_N2at6native12_GLOBAL__N_110CustomProdEEEEE10hipError_tPvRmT0_T1_jT2_SQ_T4_T3_P12ihipStream_tbEUlT_E_NS1_11comp_targetILNS1_3genE9ELNS1_11target_archE1100ELNS1_3gpuE3ELNS1_3repE0EEENS1_30default_config_static_selectorELNS0_4arch9wavefront6targetE0EEEvSP_.has_dyn_sized_stack, 0
	.set _ZN7rocprim17ROCPRIM_400000_NS6detail17trampoline_kernelINS0_14default_configENS1_32segmented_reduce_config_selectorIdEEZNS1_21segmented_reduce_implIS3_PKdPdPKldN6hipcub16HIPCUB_304000_NS6detail27convert_result_type_wrapperIS8_S9_N2at6native12_GLOBAL__N_110CustomProdEEEEE10hipError_tPvRmT0_T1_jT2_SQ_T4_T3_P12ihipStream_tbEUlT_E_NS1_11comp_targetILNS1_3genE9ELNS1_11target_archE1100ELNS1_3gpuE3ELNS1_3repE0EEENS1_30default_config_static_selectorELNS0_4arch9wavefront6targetE0EEEvSP_.has_recursion, 0
	.set _ZN7rocprim17ROCPRIM_400000_NS6detail17trampoline_kernelINS0_14default_configENS1_32segmented_reduce_config_selectorIdEEZNS1_21segmented_reduce_implIS3_PKdPdPKldN6hipcub16HIPCUB_304000_NS6detail27convert_result_type_wrapperIS8_S9_N2at6native12_GLOBAL__N_110CustomProdEEEEE10hipError_tPvRmT0_T1_jT2_SQ_T4_T3_P12ihipStream_tbEUlT_E_NS1_11comp_targetILNS1_3genE9ELNS1_11target_archE1100ELNS1_3gpuE3ELNS1_3repE0EEENS1_30default_config_static_selectorELNS0_4arch9wavefront6targetE0EEEvSP_.has_indirect_call, 0
	.section	.AMDGPU.csdata,"",@progbits
; Kernel info:
; codeLenInByte = 0
; TotalNumSgprs: 0
; NumVgprs: 0
; ScratchSize: 0
; MemoryBound: 0
; FloatMode: 240
; IeeeMode: 1
; LDSByteSize: 0 bytes/workgroup (compile time only)
; SGPRBlocks: 0
; VGPRBlocks: 0
; NumSGPRsForWavesPerEU: 1
; NumVGPRsForWavesPerEU: 1
; Occupancy: 16
; WaveLimiterHint : 0
; COMPUTE_PGM_RSRC2:SCRATCH_EN: 0
; COMPUTE_PGM_RSRC2:USER_SGPR: 6
; COMPUTE_PGM_RSRC2:TRAP_HANDLER: 0
; COMPUTE_PGM_RSRC2:TGID_X_EN: 1
; COMPUTE_PGM_RSRC2:TGID_Y_EN: 0
; COMPUTE_PGM_RSRC2:TGID_Z_EN: 0
; COMPUTE_PGM_RSRC2:TIDIG_COMP_CNT: 0
	.section	.text._ZN7rocprim17ROCPRIM_400000_NS6detail17trampoline_kernelINS0_14default_configENS1_32segmented_reduce_config_selectorIdEEZNS1_21segmented_reduce_implIS3_PKdPdPKldN6hipcub16HIPCUB_304000_NS6detail27convert_result_type_wrapperIS8_S9_N2at6native12_GLOBAL__N_110CustomProdEEEEE10hipError_tPvRmT0_T1_jT2_SQ_T4_T3_P12ihipStream_tbEUlT_E_NS1_11comp_targetILNS1_3genE8ELNS1_11target_archE1030ELNS1_3gpuE2ELNS1_3repE0EEENS1_30default_config_static_selectorELNS0_4arch9wavefront6targetE0EEEvSP_,"axG",@progbits,_ZN7rocprim17ROCPRIM_400000_NS6detail17trampoline_kernelINS0_14default_configENS1_32segmented_reduce_config_selectorIdEEZNS1_21segmented_reduce_implIS3_PKdPdPKldN6hipcub16HIPCUB_304000_NS6detail27convert_result_type_wrapperIS8_S9_N2at6native12_GLOBAL__N_110CustomProdEEEEE10hipError_tPvRmT0_T1_jT2_SQ_T4_T3_P12ihipStream_tbEUlT_E_NS1_11comp_targetILNS1_3genE8ELNS1_11target_archE1030ELNS1_3gpuE2ELNS1_3repE0EEENS1_30default_config_static_selectorELNS0_4arch9wavefront6targetE0EEEvSP_,comdat
	.globl	_ZN7rocprim17ROCPRIM_400000_NS6detail17trampoline_kernelINS0_14default_configENS1_32segmented_reduce_config_selectorIdEEZNS1_21segmented_reduce_implIS3_PKdPdPKldN6hipcub16HIPCUB_304000_NS6detail27convert_result_type_wrapperIS8_S9_N2at6native12_GLOBAL__N_110CustomProdEEEEE10hipError_tPvRmT0_T1_jT2_SQ_T4_T3_P12ihipStream_tbEUlT_E_NS1_11comp_targetILNS1_3genE8ELNS1_11target_archE1030ELNS1_3gpuE2ELNS1_3repE0EEENS1_30default_config_static_selectorELNS0_4arch9wavefront6targetE0EEEvSP_ ; -- Begin function _ZN7rocprim17ROCPRIM_400000_NS6detail17trampoline_kernelINS0_14default_configENS1_32segmented_reduce_config_selectorIdEEZNS1_21segmented_reduce_implIS3_PKdPdPKldN6hipcub16HIPCUB_304000_NS6detail27convert_result_type_wrapperIS8_S9_N2at6native12_GLOBAL__N_110CustomProdEEEEE10hipError_tPvRmT0_T1_jT2_SQ_T4_T3_P12ihipStream_tbEUlT_E_NS1_11comp_targetILNS1_3genE8ELNS1_11target_archE1030ELNS1_3gpuE2ELNS1_3repE0EEENS1_30default_config_static_selectorELNS0_4arch9wavefront6targetE0EEEvSP_
	.p2align	8
	.type	_ZN7rocprim17ROCPRIM_400000_NS6detail17trampoline_kernelINS0_14default_configENS1_32segmented_reduce_config_selectorIdEEZNS1_21segmented_reduce_implIS3_PKdPdPKldN6hipcub16HIPCUB_304000_NS6detail27convert_result_type_wrapperIS8_S9_N2at6native12_GLOBAL__N_110CustomProdEEEEE10hipError_tPvRmT0_T1_jT2_SQ_T4_T3_P12ihipStream_tbEUlT_E_NS1_11comp_targetILNS1_3genE8ELNS1_11target_archE1030ELNS1_3gpuE2ELNS1_3repE0EEENS1_30default_config_static_selectorELNS0_4arch9wavefront6targetE0EEEvSP_,@function
_ZN7rocprim17ROCPRIM_400000_NS6detail17trampoline_kernelINS0_14default_configENS1_32segmented_reduce_config_selectorIdEEZNS1_21segmented_reduce_implIS3_PKdPdPKldN6hipcub16HIPCUB_304000_NS6detail27convert_result_type_wrapperIS8_S9_N2at6native12_GLOBAL__N_110CustomProdEEEEE10hipError_tPvRmT0_T1_jT2_SQ_T4_T3_P12ihipStream_tbEUlT_E_NS1_11comp_targetILNS1_3genE8ELNS1_11target_archE1030ELNS1_3gpuE2ELNS1_3repE0EEENS1_30default_config_static_selectorELNS0_4arch9wavefront6targetE0EEEvSP_: ; @_ZN7rocprim17ROCPRIM_400000_NS6detail17trampoline_kernelINS0_14default_configENS1_32segmented_reduce_config_selectorIdEEZNS1_21segmented_reduce_implIS3_PKdPdPKldN6hipcub16HIPCUB_304000_NS6detail27convert_result_type_wrapperIS8_S9_N2at6native12_GLOBAL__N_110CustomProdEEEEE10hipError_tPvRmT0_T1_jT2_SQ_T4_T3_P12ihipStream_tbEUlT_E_NS1_11comp_targetILNS1_3genE8ELNS1_11target_archE1030ELNS1_3gpuE2ELNS1_3repE0EEENS1_30default_config_static_selectorELNS0_4arch9wavefront6targetE0EEEvSP_
; %bb.0:
	s_clause 0x1
	s_load_dwordx8 s[16:23], s[4:5], 0x0
	s_load_dwordx2 s[0:1], s[4:5], 0x20
	s_mov_b32 s7, 0
	s_load_dwordx2 s[24:25], s[4:5], 0x30
	s_waitcnt lgkmcnt(0)
	s_lshl_b64 s[20:21], s[20:21], 3
	s_add_u32 s2, s22, s20
	s_addc_u32 s3, s23, s21
	s_add_u32 s4, s0, s20
	s_addc_u32 s5, s1, s21
	s_lshl_b64 s[22:23], s[6:7], 3
	s_add_u32 s0, s2, s22
	s_addc_u32 s1, s3, s23
	s_add_u32 s2, s4, s22
	s_addc_u32 s3, s5, s23
	s_load_dwordx2 s[28:29], s[0:1], 0x0
	s_load_dwordx2 s[26:27], s[2:3], 0x0
	s_mov_b32 s1, -1
	s_waitcnt lgkmcnt(0)
	v_cmp_gt_i64_e64 s0, s[26:27], s[28:29]
	s_and_b32 vcc_lo, exec_lo, s0
	v_cmp_eq_u32_e64 s0, 0, v0
	s_cbranch_vccnz .LBB177_2
; %bb.1:
	s_mov_b32 s1, 0
	s_and_b32 s7, s0, exec_lo
.LBB177_2:
	s_andn2_b32 vcc_lo, exec_lo, s1
	s_cbranch_vccnz .LBB177_44
; %bb.3:
	s_add_u32 s0, s28, 0x1000
	s_addc_u32 s1, s29, 0
	v_cmp_le_i64_e64 s2, s[0:1], s[26:27]
	s_and_b32 vcc_lo, exec_lo, s2
	s_cbranch_vccz .LBB177_45
; %bb.4:
	v_lshlrev_b32_e32 v37, 3, v0
	s_lshl_b64 s[2:3], s[28:29], 3
	s_add_u32 s4, s16, s2
	s_addc_u32 s5, s17, s3
	v_add_co_u32 v15, s6, s4, v37
	v_add_co_ci_u32_e64 v16, null, s5, 0, s6
	v_add_co_u32 v1, vcc_lo, v15, 0x1000
	v_add_co_ci_u32_e64 v2, null, 0, v16, vcc_lo
	s_clause 0x2
	global_load_dwordx2 v[27:28], v37, s[4:5]
	global_load_dwordx2 v[31:32], v[1:2], off offset:-2048
	global_load_dwordx2 v[23:24], v[1:2], off
	v_add_co_u32 v1, vcc_lo, v15, 0x2000
	v_add_co_ci_u32_e64 v2, null, 0, v16, vcc_lo
	s_add_u32 s4, s28, 0x2000
	s_addc_u32 s5, s29, 0
	s_clause 0x1
	global_load_dwordx2 v[29:30], v[1:2], off offset:-2048
	global_load_dwordx2 v[19:20], v[1:2], off
	v_add_co_u32 v1, vcc_lo, v15, 0x3000
	v_add_co_ci_u32_e64 v2, null, 0, v16, vcc_lo
	v_cmp_ge_i64_e64 s4, s[4:5], s[26:27]
	s_clause 0x1
	global_load_dwordx2 v[25:26], v[1:2], off offset:-2048
	global_load_dwordx2 v[13:14], v[1:2], off
	v_add_co_u32 v1, vcc_lo, v15, 0x4000
	v_add_co_ci_u32_e64 v2, null, 0, v16, vcc_lo
	s_clause 0x1
	global_load_dwordx2 v[21:22], v[1:2], off offset:-2048
	global_load_dwordx2 v[9:10], v[1:2], off
	v_add_co_u32 v1, vcc_lo, v15, 0x5000
	v_add_co_ci_u32_e64 v2, null, 0, v16, vcc_lo
	;; [unrolled: 5-line block ×5, first 2 shown]
	s_and_b32 vcc_lo, exec_lo, s4
	global_load_dwordx2 v[15:16], v[15:16], off
	s_waitcnt vmcnt(14)
	v_mul_f64 v[33:34], v[27:28], v[31:32]
	s_waitcnt vmcnt(13)
	v_mul_f64 v[33:34], v[33:34], v[23:24]
	;; [unrolled: 2-line block ×15, first 2 shown]
	s_cbranch_vccnz .LBB177_7
; %bb.5:
	s_add_u32 s2, s16, s2
	s_addc_u32 s3, s17, s3
	v_add_co_u32 v1, s2, s2, v37
	v_add_co_ci_u32_e64 v2, null, s3, 0, s2
	v_add_co_u32 v35, vcc_lo, 0x8000, v1
	v_add_co_ci_u32_e64 v36, null, 0, v2, vcc_lo
.LBB177_6:                              ; =>This Inner Loop Header: Depth=1
	global_load_dwordx2 v[27:28], v[35:36], off
	v_add_co_u32 v1, vcc_lo, v35, 0x1000
	v_add_co_ci_u32_e64 v2, null, 0, v36, vcc_lo
	s_mov_b64 s[2:3], s[0:1]
	s_clause 0x1
	global_load_dwordx2 v[31:32], v[1:2], off offset:-2048
	global_load_dwordx2 v[23:24], v[1:2], off
	v_add_co_u32 v1, vcc_lo, v35, 0x2000
	v_add_co_ci_u32_e64 v2, null, 0, v36, vcc_lo
	s_add_u32 s0, s2, 0x1000
	s_clause 0x1
	global_load_dwordx2 v[29:30], v[1:2], off offset:-2048
	global_load_dwordx2 v[19:20], v[1:2], off
	v_add_co_u32 v1, vcc_lo, v35, 0x3000
	v_add_co_ci_u32_e64 v2, null, 0, v36, vcc_lo
	s_clause 0x1
	global_load_dwordx2 v[25:26], v[1:2], off offset:-2048
	global_load_dwordx2 v[13:14], v[1:2], off
	v_add_co_u32 v1, vcc_lo, v35, 0x4000
	v_add_co_ci_u32_e64 v2, null, 0, v36, vcc_lo
	;; [unrolled: 5-line block ×6, first 2 shown]
	s_addc_u32 s1, s3, 0
	s_add_u32 s2, s2, 0x2000
	s_addc_u32 s3, s3, 0
	global_load_dwordx2 v[15:16], v[15:16], off
	v_cmp_lt_i64_e64 s2, s[2:3], s[26:27]
	v_add_co_u32 v35, vcc_lo, 0x8000, v35
	v_add_co_ci_u32_e64 v36, null, 0, v36, vcc_lo
	s_and_b32 vcc_lo, exec_lo, s2
	s_waitcnt vmcnt(15)
	v_mul_f64 v[33:34], v[33:34], v[27:28]
	s_waitcnt vmcnt(14)
	v_mul_f64 v[33:34], v[33:34], v[31:32]
	;; [unrolled: 2-line block ×16, first 2 shown]
	s_cbranch_vccnz .LBB177_6
.LBB177_7:
	s_sub_i32 s15, s26, s0
	s_lshl_b64 s[0:1], s[0:1], 3
	v_cmp_gt_u32_e32 vcc_lo, s15, v0
	s_add_u32 s30, s16, s0
	s_addc_u32 s31, s17, s1
	s_and_saveexec_b32 s0, vcc_lo
	s_cbranch_execz .LBB177_9
; %bb.8:
	global_load_dwordx2 v[27:28], v37, s[30:31]
.LBB177_9:
	s_or_b32 exec_lo, exec_lo, s0
	v_or_b32_e32 v35, 0x100, v0
	v_cmp_gt_u32_e64 s0, s15, v35
	s_and_saveexec_b32 s1, s0
	s_cbranch_execz .LBB177_11
; %bb.10:
	v_lshlrev_b32_e32 v31, 3, v35
	global_load_dwordx2 v[31:32], v31, s[30:31]
.LBB177_11:
	s_or_b32 exec_lo, exec_lo, s1
	v_or_b32_e32 v35, 0x200, v0
	v_cmp_gt_u32_e64 s1, s15, v35
	s_and_saveexec_b32 s2, s1
	s_cbranch_execz .LBB177_13
; %bb.12:
	v_lshlrev_b32_e32 v23, 3, v35
	global_load_dwordx2 v[23:24], v23, s[30:31]
.LBB177_13:
	;; [unrolled: 9-line block ×15, first 2 shown]
	s_or_b32 exec_lo, exec_lo, s33
	s_waitcnt vmcnt(0)
	v_mul_f64 v[27:28], v[33:34], v[27:28]
	v_cndmask_b32_e32 v28, v34, v28, vcc_lo
	v_cndmask_b32_e32 v27, v33, v27, vcc_lo
	v_mul_f64 v[31:32], v[31:32], v[27:28]
	v_cndmask_b32_e64 v28, v28, v32, s0
	v_cndmask_b32_e64 v27, v27, v31, s0
	s_mov_b32 s0, exec_lo
	v_mul_f64 v[23:24], v[23:24], v[27:28]
	v_cndmask_b32_e64 v24, v28, v24, s1
	v_cndmask_b32_e64 v23, v27, v23, s1
	v_mul_f64 v[27:28], v[29:30], v[23:24]
	v_cndmask_b32_e64 v24, v24, v28, s2
	v_cndmask_b32_e64 v23, v23, v27, s2
	;; [unrolled: 3-line block ×14, first 2 shown]
	v_mov_b32_dpp v3, v1 quad_perm:[1,0,3,2] row_mask:0xf bank_mask:0xf
	v_mov_b32_dpp v4, v2 quad_perm:[1,0,3,2] row_mask:0xf bank_mask:0xf
	v_mul_f64 v[1:2], v[1:2], v[3:4]
	v_mov_b32_dpp v3, v1 quad_perm:[2,3,0,1] row_mask:0xf bank_mask:0xf
	v_mov_b32_dpp v4, v2 quad_perm:[2,3,0,1] row_mask:0xf bank_mask:0xf
	v_mul_f64 v[1:2], v[1:2], v[3:4]
	v_mov_b32_dpp v3, v1 row_ror:4 row_mask:0xf bank_mask:0xf
	v_mov_b32_dpp v4, v2 row_ror:4 row_mask:0xf bank_mask:0xf
	v_mul_f64 v[1:2], v[1:2], v[3:4]
	v_mov_b32_dpp v3, v1 row_ror:8 row_mask:0xf bank_mask:0xf
	v_mov_b32_dpp v4, v2 row_ror:8 row_mask:0xf bank_mask:0xf
	v_mul_f64 v[1:2], v[1:2], v[3:4]
	ds_swizzle_b32 v3, v1 offset:swizzle(BROADCAST,32,15)
	ds_swizzle_b32 v4, v2 offset:swizzle(BROADCAST,32,15)
	s_waitcnt lgkmcnt(0)
	v_mul_f64 v[1:2], v[1:2], v[3:4]
	v_mov_b32_e32 v3, 0
	ds_bpermute_b32 v1, v3, v1 offset:124
	ds_bpermute_b32 v2, v3, v2 offset:124
	v_mbcnt_lo_u32_b32 v3, -1, 0
	v_cmpx_eq_u32_e32 0, v3
	s_cbranch_execz .LBB177_41
; %bb.40:
	v_lshrrev_b32_e32 v4, 2, v0
	v_and_b32_e32 v4, 56, v4
	s_waitcnt lgkmcnt(0)
	ds_write_b64 v4, v[1:2]
.LBB177_41:
	s_or_b32 exec_lo, exec_lo, s0
	s_mov_b32 s0, exec_lo
	s_waitcnt lgkmcnt(0)
	s_barrier
	buffer_gl0_inv
	v_cmpx_gt_u32_e32 32, v0
	s_cbranch_execz .LBB177_43
; %bb.42:
	v_and_b32_e32 v6, 7, v3
	v_lshlrev_b32_e32 v1, 3, v6
	v_cmp_ne_u32_e32 vcc_lo, 7, v6
	ds_read_b64 v[1:2], v1
	v_add_co_ci_u32_e64 v4, null, 0, v3, vcc_lo
	v_cmp_gt_u32_e32 vcc_lo, 6, v6
	v_lshlrev_b32_e32 v5, 2, v4
	s_waitcnt lgkmcnt(0)
	ds_bpermute_b32 v4, v5, v1
	ds_bpermute_b32 v5, v5, v2
	s_waitcnt lgkmcnt(0)
	v_mul_f64 v[1:2], v[1:2], v[4:5]
	v_cndmask_b32_e64 v4, 0, 2, vcc_lo
	v_add_lshl_u32 v5, v4, v3, 2
	v_lshlrev_b32_e32 v3, 2, v3
	ds_bpermute_b32 v4, v5, v1
	ds_bpermute_b32 v5, v5, v2
	s_waitcnt lgkmcnt(0)
	v_mul_f64 v[1:2], v[1:2], v[4:5]
	v_or_b32_e32 v4, 16, v3
	ds_bpermute_b32 v3, v4, v1
	ds_bpermute_b32 v4, v4, v2
	s_waitcnt lgkmcnt(0)
	v_mul_f64 v[1:2], v[1:2], v[3:4]
.LBB177_43:
	s_or_b32 exec_lo, exec_lo, s0
	s_branch .LBB177_80
.LBB177_44:
	v_mov_b32_e32 v3, s24
	v_mov_b32_e32 v4, s25
	s_and_saveexec_b32 s0, s7
	s_cbranch_execnz .LBB177_83
	s_branch .LBB177_84
.LBB177_45:
                                        ; implicit-def: $vgpr1_vgpr2
	s_cbranch_execz .LBB177_80
; %bb.46:
	s_sub_i32 s1, s26, s28
	s_mov_b32 s2, exec_lo
                                        ; implicit-def: $vgpr3_vgpr4
	v_cmpx_gt_u32_e64 s1, v0
	s_cbranch_execz .LBB177_52
; %bb.47:
	v_add_co_u32 v1, s0, s28, v0
	v_add_co_ci_u32_e64 v2, null, s29, 0, s0
	s_mov_b32 s3, exec_lo
	v_lshlrev_b64 v[3:4], 3, v[1:2]
	v_add_co_u32 v5, vcc_lo, s16, v3
	v_add_co_ci_u32_e64 v6, null, s17, v4, vcc_lo
	v_add_co_u32 v1, vcc_lo, 0x100, v1
	v_add_co_ci_u32_e64 v2, null, 0, v2, vcc_lo
	global_load_dwordx2 v[3:4], v[5:6], off
	v_cmpx_gt_i64_e64 s[26:27], v[1:2]
	s_cbranch_execz .LBB177_51
; %bb.48:
	v_add_co_u32 v5, vcc_lo, 0x800, v5
	v_add_co_ci_u32_e64 v6, null, 0, v6, vcc_lo
	s_mov_b32 s4, 0
	.p2align	6
.LBB177_49:                             ; =>This Inner Loop Header: Depth=1
	global_load_dwordx2 v[7:8], v[5:6], off
	v_add_co_u32 v1, vcc_lo, 0x100, v1
	v_add_co_ci_u32_e64 v2, null, 0, v2, vcc_lo
	v_add_co_u32 v5, s0, 0x800, v5
	v_add_co_ci_u32_e64 v6, null, 0, v6, s0
	v_cmp_le_i64_e32 vcc_lo, s[26:27], v[1:2]
	s_or_b32 s4, vcc_lo, s4
	s_waitcnt vmcnt(0)
	v_mul_f64 v[3:4], v[3:4], v[7:8]
	s_andn2_b32 exec_lo, exec_lo, s4
	s_cbranch_execnz .LBB177_49
; %bb.50:
	s_or_b32 exec_lo, exec_lo, s4
.LBB177_51:
	s_or_b32 exec_lo, exec_lo, s3
.LBB177_52:
	s_or_b32 exec_lo, exec_lo, s2
	v_mbcnt_lo_u32_b32 v7, -1, 0
	s_cmpk_lt_u32 s1, 0x100
	s_cbranch_scc0 .LBB177_74
; %bb.53:
	v_cmp_ne_u32_e32 vcc_lo, 31, v7
	s_waitcnt vmcnt(0)
	v_mov_b32_e32 v10, v4
	v_mov_b32_e32 v11, v3
	v_add_co_ci_u32_e64 v1, null, 0, v7, vcc_lo
	v_lshlrev_b32_e32 v1, 2, v1
	ds_bpermute_b32 v5, v1, v3
	ds_bpermute_b32 v6, v1, v4
	v_and_b32_e32 v1, 0xe0, v0
	v_sub_nc_u32_e64 v8, s1, v1 clamp
	v_add_nc_u32_e32 v1, 1, v7
	v_cmp_lt_u32_e32 vcc_lo, v1, v8
	v_mov_b32_e32 v1, v3
	v_mov_b32_e32 v2, v4
	s_and_saveexec_b32 s0, vcc_lo
	s_cbranch_execz .LBB177_55
; %bb.54:
	s_waitcnt lgkmcnt(0)
	v_mul_f64 v[1:2], v[3:4], v[5:6]
	v_mov_b32_e32 v10, v2
	v_mov_b32_e32 v11, v1
.LBB177_55:
	s_or_b32 exec_lo, exec_lo, s0
	v_cmp_gt_u32_e32 vcc_lo, 30, v7
	v_add_nc_u32_e32 v9, 2, v7
	s_mov_b32 s0, exec_lo
	s_waitcnt lgkmcnt(1)
	v_cndmask_b32_e64 v5, 0, 2, vcc_lo
	s_waitcnt lgkmcnt(0)
	v_add_lshl_u32 v6, v5, v7, 2
	ds_bpermute_b32 v5, v6, v11
	ds_bpermute_b32 v6, v6, v10
	v_cmpx_lt_u32_e64 v9, v8
	s_cbranch_execz .LBB177_57
; %bb.56:
	s_waitcnt lgkmcnt(0)
	v_mul_f64 v[1:2], v[1:2], v[5:6]
	v_mov_b32_e32 v10, v2
	v_mov_b32_e32 v11, v1
.LBB177_57:
	s_or_b32 exec_lo, exec_lo, s0
	v_cmp_gt_u32_e32 vcc_lo, 28, v7
	v_add_nc_u32_e32 v9, 4, v7
	s_mov_b32 s0, exec_lo
	s_waitcnt lgkmcnt(1)
	v_cndmask_b32_e64 v5, 0, 4, vcc_lo
	s_waitcnt lgkmcnt(0)
	v_add_lshl_u32 v6, v5, v7, 2
	ds_bpermute_b32 v5, v6, v11
	ds_bpermute_b32 v6, v6, v10
	v_cmpx_lt_u32_e64 v9, v8
	;; [unrolled: 18-line block ×3, first 2 shown]
	s_cbranch_execz .LBB177_61
; %bb.60:
	s_waitcnt lgkmcnt(0)
	v_mul_f64 v[1:2], v[1:2], v[5:6]
	v_mov_b32_e32 v10, v2
	v_mov_b32_e32 v11, v1
.LBB177_61:
	s_or_b32 exec_lo, exec_lo, s0
	v_lshlrev_b32_e32 v9, 2, v7
	s_mov_b32 s0, exec_lo
	s_waitcnt lgkmcnt(0)
	v_or_b32_e32 v6, 64, v9
	ds_bpermute_b32 v5, v6, v11
	ds_bpermute_b32 v6, v6, v10
	v_add_nc_u32_e32 v10, 16, v7
	v_cmpx_lt_u32_e64 v10, v8
	s_cbranch_execz .LBB177_63
; %bb.62:
	s_waitcnt lgkmcnt(0)
	v_mul_f64 v[1:2], v[1:2], v[5:6]
.LBB177_63:
	s_or_b32 exec_lo, exec_lo, s0
	s_mov_b32 s0, exec_lo
	v_cmpx_eq_u32_e32 0, v7
	s_cbranch_execz .LBB177_65
; %bb.64:
	s_waitcnt lgkmcnt(1)
	v_lshrrev_b32_e32 v5, 2, v0
	v_and_b32_e32 v5, 56, v5
	ds_write_b64 v5, v[1:2]
.LBB177_65:
	s_or_b32 exec_lo, exec_lo, s0
	s_mov_b32 s0, exec_lo
	s_waitcnt lgkmcnt(0)
	s_barrier
	buffer_gl0_inv
	v_cmpx_gt_u32_e32 8, v0
	s_cbranch_execz .LBB177_73
; %bb.66:
	v_lshlrev_b32_e32 v1, 3, v7
	v_and_b32_e32 v8, 7, v7
	s_add_i32 s1, s1, 31
	s_mov_b32 s2, exec_lo
	s_lshr_b32 s1, s1, 5
	ds_read_b64 v[1:2], v1
	v_cmp_ne_u32_e32 vcc_lo, 7, v8
	v_add_nc_u32_e32 v10, 1, v8
	v_add_co_ci_u32_e64 v5, null, 0, v7, vcc_lo
	v_lshlrev_b32_e32 v6, 2, v5
	s_waitcnt lgkmcnt(0)
	ds_bpermute_b32 v5, v6, v1
	ds_bpermute_b32 v6, v6, v2
	v_cmpx_gt_u32_e64 s1, v10
	s_cbranch_execz .LBB177_68
; %bb.67:
	s_waitcnt lgkmcnt(0)
	v_mul_f64 v[1:2], v[1:2], v[5:6]
.LBB177_68:
	s_or_b32 exec_lo, exec_lo, s2
	v_cmp_gt_u32_e32 vcc_lo, 6, v8
	v_add_nc_u32_e32 v10, 2, v8
	s_mov_b32 s2, exec_lo
	s_waitcnt lgkmcnt(1)
	v_cndmask_b32_e64 v5, 0, 2, vcc_lo
	s_waitcnt lgkmcnt(0)
	v_add_lshl_u32 v6, v5, v7, 2
	ds_bpermute_b32 v5, v6, v1
	ds_bpermute_b32 v6, v6, v2
	v_cmpx_gt_u32_e64 s1, v10
	s_cbranch_execz .LBB177_70
; %bb.69:
	s_waitcnt lgkmcnt(0)
	v_mul_f64 v[1:2], v[1:2], v[5:6]
.LBB177_70:
	s_or_b32 exec_lo, exec_lo, s2
	s_waitcnt lgkmcnt(0)
	v_or_b32_e32 v6, 16, v9
	v_add_nc_u32_e32 v8, 4, v8
	ds_bpermute_b32 v5, v6, v1
	ds_bpermute_b32 v6, v6, v2
	v_cmp_gt_u32_e32 vcc_lo, s1, v8
	s_and_saveexec_b32 s1, vcc_lo
	s_cbranch_execz .LBB177_72
; %bb.71:
	s_waitcnt lgkmcnt(0)
	v_mul_f64 v[1:2], v[1:2], v[5:6]
.LBB177_72:
	s_or_b32 exec_lo, exec_lo, s1
.LBB177_73:
	s_or_b32 exec_lo, exec_lo, s0
	s_branch .LBB177_80
.LBB177_74:
                                        ; implicit-def: $vgpr1_vgpr2
	s_cbranch_execz .LBB177_80
; %bb.75:
	s_waitcnt vmcnt(0)
	v_mov_b32_dpp v1, v3 quad_perm:[1,0,3,2] row_mask:0xf bank_mask:0xf
	v_mov_b32_dpp v2, v4 quad_perm:[1,0,3,2] row_mask:0xf bank_mask:0xf
	s_mov_b32 s0, exec_lo
	v_mul_f64 v[1:2], v[3:4], v[1:2]
	v_mov_b32_dpp v3, v1 quad_perm:[2,3,0,1] row_mask:0xf bank_mask:0xf
	v_mov_b32_dpp v4, v2 quad_perm:[2,3,0,1] row_mask:0xf bank_mask:0xf
	v_mul_f64 v[1:2], v[1:2], v[3:4]
	v_mov_b32_dpp v3, v1 row_ror:4 row_mask:0xf bank_mask:0xf
	v_mov_b32_dpp v4, v2 row_ror:4 row_mask:0xf bank_mask:0xf
	v_mul_f64 v[1:2], v[1:2], v[3:4]
	v_mov_b32_dpp v3, v1 row_ror:8 row_mask:0xf bank_mask:0xf
	v_mov_b32_dpp v4, v2 row_ror:8 row_mask:0xf bank_mask:0xf
	v_mul_f64 v[1:2], v[1:2], v[3:4]
	ds_swizzle_b32 v3, v1 offset:swizzle(BROADCAST,32,15)
	ds_swizzle_b32 v4, v2 offset:swizzle(BROADCAST,32,15)
	s_waitcnt lgkmcnt(0)
	v_mul_f64 v[1:2], v[1:2], v[3:4]
	v_mov_b32_e32 v3, 0
	ds_bpermute_b32 v1, v3, v1 offset:124
	ds_bpermute_b32 v2, v3, v2 offset:124
	v_cmpx_eq_u32_e32 0, v7
	s_cbranch_execz .LBB177_77
; %bb.76:
	v_lshrrev_b32_e32 v3, 2, v0
	v_and_b32_e32 v3, 56, v3
	s_waitcnt lgkmcnt(0)
	ds_write_b64 v3, v[1:2]
.LBB177_77:
	s_or_b32 exec_lo, exec_lo, s0
	s_mov_b32 s0, exec_lo
	s_waitcnt lgkmcnt(0)
	s_barrier
	buffer_gl0_inv
	v_cmpx_gt_u32_e32 32, v0
	s_cbranch_execz .LBB177_79
; %bb.78:
	v_and_b32_e32 v5, 7, v7
	v_lshlrev_b32_e32 v1, 3, v5
	v_cmp_ne_u32_e32 vcc_lo, 7, v5
	ds_read_b64 v[1:2], v1
	v_add_co_ci_u32_e64 v3, null, 0, v7, vcc_lo
	v_cmp_gt_u32_e32 vcc_lo, 6, v5
	v_lshlrev_b32_e32 v4, 2, v3
	s_waitcnt lgkmcnt(0)
	ds_bpermute_b32 v3, v4, v1
	ds_bpermute_b32 v4, v4, v2
	s_waitcnt lgkmcnt(0)
	v_mul_f64 v[1:2], v[1:2], v[3:4]
	v_cndmask_b32_e64 v3, 0, 2, vcc_lo
	v_add_lshl_u32 v4, v3, v7, 2
	ds_bpermute_b32 v3, v4, v1
	ds_bpermute_b32 v4, v4, v2
	s_waitcnt lgkmcnt(0)
	v_mul_f64 v[1:2], v[1:2], v[3:4]
	v_lshlrev_b32_e32 v3, 2, v7
	v_or_b32_e32 v4, 16, v3
	ds_bpermute_b32 v3, v4, v1
	ds_bpermute_b32 v4, v4, v2
	s_waitcnt lgkmcnt(0)
	v_mul_f64 v[1:2], v[1:2], v[3:4]
.LBB177_79:
	s_or_b32 exec_lo, exec_lo, s0
.LBB177_80:
	s_mov_b32 s0, exec_lo
                                        ; implicit-def: $vgpr3_vgpr4
	v_cmpx_eq_u32_e32 0, v0
	s_cbranch_execz .LBB177_82
; %bb.81:
	s_waitcnt vmcnt(0)
	v_mul_f64 v[3:4], s[24:25], v[1:2]
	s_or_b32 s7, s7, exec_lo
.LBB177_82:
	s_or_b32 exec_lo, exec_lo, s0
	s_and_saveexec_b32 s0, s7
	s_cbranch_execz .LBB177_84
.LBB177_83:
	s_add_u32 s0, s18, s20
	v_mov_b32_e32 v0, 0
	s_addc_u32 s1, s19, s21
	s_add_u32 s0, s0, s22
	s_addc_u32 s1, s1, s23
	s_waitcnt vmcnt(0)
	global_store_dwordx2 v0, v[3:4], s[0:1]
.LBB177_84:
	s_endpgm
	.section	.rodata,"a",@progbits
	.p2align	6, 0x0
	.amdhsa_kernel _ZN7rocprim17ROCPRIM_400000_NS6detail17trampoline_kernelINS0_14default_configENS1_32segmented_reduce_config_selectorIdEEZNS1_21segmented_reduce_implIS3_PKdPdPKldN6hipcub16HIPCUB_304000_NS6detail27convert_result_type_wrapperIS8_S9_N2at6native12_GLOBAL__N_110CustomProdEEEEE10hipError_tPvRmT0_T1_jT2_SQ_T4_T3_P12ihipStream_tbEUlT_E_NS1_11comp_targetILNS1_3genE8ELNS1_11target_archE1030ELNS1_3gpuE2ELNS1_3repE0EEENS1_30default_config_static_selectorELNS0_4arch9wavefront6targetE0EEEvSP_
		.amdhsa_group_segment_fixed_size 64
		.amdhsa_private_segment_fixed_size 0
		.amdhsa_kernarg_size 56
		.amdhsa_user_sgpr_count 6
		.amdhsa_user_sgpr_private_segment_buffer 1
		.amdhsa_user_sgpr_dispatch_ptr 0
		.amdhsa_user_sgpr_queue_ptr 0
		.amdhsa_user_sgpr_kernarg_segment_ptr 1
		.amdhsa_user_sgpr_dispatch_id 0
		.amdhsa_user_sgpr_flat_scratch_init 0
		.amdhsa_user_sgpr_private_segment_size 0
		.amdhsa_wavefront_size32 1
		.amdhsa_uses_dynamic_stack 0
		.amdhsa_system_sgpr_private_segment_wavefront_offset 0
		.amdhsa_system_sgpr_workgroup_id_x 1
		.amdhsa_system_sgpr_workgroup_id_y 0
		.amdhsa_system_sgpr_workgroup_id_z 0
		.amdhsa_system_sgpr_workgroup_info 0
		.amdhsa_system_vgpr_workitem_id 0
		.amdhsa_next_free_vgpr 38
		.amdhsa_next_free_sgpr 34
		.amdhsa_reserve_vcc 1
		.amdhsa_reserve_flat_scratch 0
		.amdhsa_float_round_mode_32 0
		.amdhsa_float_round_mode_16_64 0
		.amdhsa_float_denorm_mode_32 3
		.amdhsa_float_denorm_mode_16_64 3
		.amdhsa_dx10_clamp 1
		.amdhsa_ieee_mode 1
		.amdhsa_fp16_overflow 0
		.amdhsa_workgroup_processor_mode 1
		.amdhsa_memory_ordered 1
		.amdhsa_forward_progress 1
		.amdhsa_shared_vgpr_count 0
		.amdhsa_exception_fp_ieee_invalid_op 0
		.amdhsa_exception_fp_denorm_src 0
		.amdhsa_exception_fp_ieee_div_zero 0
		.amdhsa_exception_fp_ieee_overflow 0
		.amdhsa_exception_fp_ieee_underflow 0
		.amdhsa_exception_fp_ieee_inexact 0
		.amdhsa_exception_int_div_zero 0
	.end_amdhsa_kernel
	.section	.text._ZN7rocprim17ROCPRIM_400000_NS6detail17trampoline_kernelINS0_14default_configENS1_32segmented_reduce_config_selectorIdEEZNS1_21segmented_reduce_implIS3_PKdPdPKldN6hipcub16HIPCUB_304000_NS6detail27convert_result_type_wrapperIS8_S9_N2at6native12_GLOBAL__N_110CustomProdEEEEE10hipError_tPvRmT0_T1_jT2_SQ_T4_T3_P12ihipStream_tbEUlT_E_NS1_11comp_targetILNS1_3genE8ELNS1_11target_archE1030ELNS1_3gpuE2ELNS1_3repE0EEENS1_30default_config_static_selectorELNS0_4arch9wavefront6targetE0EEEvSP_,"axG",@progbits,_ZN7rocprim17ROCPRIM_400000_NS6detail17trampoline_kernelINS0_14default_configENS1_32segmented_reduce_config_selectorIdEEZNS1_21segmented_reduce_implIS3_PKdPdPKldN6hipcub16HIPCUB_304000_NS6detail27convert_result_type_wrapperIS8_S9_N2at6native12_GLOBAL__N_110CustomProdEEEEE10hipError_tPvRmT0_T1_jT2_SQ_T4_T3_P12ihipStream_tbEUlT_E_NS1_11comp_targetILNS1_3genE8ELNS1_11target_archE1030ELNS1_3gpuE2ELNS1_3repE0EEENS1_30default_config_static_selectorELNS0_4arch9wavefront6targetE0EEEvSP_,comdat
.Lfunc_end177:
	.size	_ZN7rocprim17ROCPRIM_400000_NS6detail17trampoline_kernelINS0_14default_configENS1_32segmented_reduce_config_selectorIdEEZNS1_21segmented_reduce_implIS3_PKdPdPKldN6hipcub16HIPCUB_304000_NS6detail27convert_result_type_wrapperIS8_S9_N2at6native12_GLOBAL__N_110CustomProdEEEEE10hipError_tPvRmT0_T1_jT2_SQ_T4_T3_P12ihipStream_tbEUlT_E_NS1_11comp_targetILNS1_3genE8ELNS1_11target_archE1030ELNS1_3gpuE2ELNS1_3repE0EEENS1_30default_config_static_selectorELNS0_4arch9wavefront6targetE0EEEvSP_, .Lfunc_end177-_ZN7rocprim17ROCPRIM_400000_NS6detail17trampoline_kernelINS0_14default_configENS1_32segmented_reduce_config_selectorIdEEZNS1_21segmented_reduce_implIS3_PKdPdPKldN6hipcub16HIPCUB_304000_NS6detail27convert_result_type_wrapperIS8_S9_N2at6native12_GLOBAL__N_110CustomProdEEEEE10hipError_tPvRmT0_T1_jT2_SQ_T4_T3_P12ihipStream_tbEUlT_E_NS1_11comp_targetILNS1_3genE8ELNS1_11target_archE1030ELNS1_3gpuE2ELNS1_3repE0EEENS1_30default_config_static_selectorELNS0_4arch9wavefront6targetE0EEEvSP_
                                        ; -- End function
	.set _ZN7rocprim17ROCPRIM_400000_NS6detail17trampoline_kernelINS0_14default_configENS1_32segmented_reduce_config_selectorIdEEZNS1_21segmented_reduce_implIS3_PKdPdPKldN6hipcub16HIPCUB_304000_NS6detail27convert_result_type_wrapperIS8_S9_N2at6native12_GLOBAL__N_110CustomProdEEEEE10hipError_tPvRmT0_T1_jT2_SQ_T4_T3_P12ihipStream_tbEUlT_E_NS1_11comp_targetILNS1_3genE8ELNS1_11target_archE1030ELNS1_3gpuE2ELNS1_3repE0EEENS1_30default_config_static_selectorELNS0_4arch9wavefront6targetE0EEEvSP_.num_vgpr, 38
	.set _ZN7rocprim17ROCPRIM_400000_NS6detail17trampoline_kernelINS0_14default_configENS1_32segmented_reduce_config_selectorIdEEZNS1_21segmented_reduce_implIS3_PKdPdPKldN6hipcub16HIPCUB_304000_NS6detail27convert_result_type_wrapperIS8_S9_N2at6native12_GLOBAL__N_110CustomProdEEEEE10hipError_tPvRmT0_T1_jT2_SQ_T4_T3_P12ihipStream_tbEUlT_E_NS1_11comp_targetILNS1_3genE8ELNS1_11target_archE1030ELNS1_3gpuE2ELNS1_3repE0EEENS1_30default_config_static_selectorELNS0_4arch9wavefront6targetE0EEEvSP_.num_agpr, 0
	.set _ZN7rocprim17ROCPRIM_400000_NS6detail17trampoline_kernelINS0_14default_configENS1_32segmented_reduce_config_selectorIdEEZNS1_21segmented_reduce_implIS3_PKdPdPKldN6hipcub16HIPCUB_304000_NS6detail27convert_result_type_wrapperIS8_S9_N2at6native12_GLOBAL__N_110CustomProdEEEEE10hipError_tPvRmT0_T1_jT2_SQ_T4_T3_P12ihipStream_tbEUlT_E_NS1_11comp_targetILNS1_3genE8ELNS1_11target_archE1030ELNS1_3gpuE2ELNS1_3repE0EEENS1_30default_config_static_selectorELNS0_4arch9wavefront6targetE0EEEvSP_.numbered_sgpr, 34
	.set _ZN7rocprim17ROCPRIM_400000_NS6detail17trampoline_kernelINS0_14default_configENS1_32segmented_reduce_config_selectorIdEEZNS1_21segmented_reduce_implIS3_PKdPdPKldN6hipcub16HIPCUB_304000_NS6detail27convert_result_type_wrapperIS8_S9_N2at6native12_GLOBAL__N_110CustomProdEEEEE10hipError_tPvRmT0_T1_jT2_SQ_T4_T3_P12ihipStream_tbEUlT_E_NS1_11comp_targetILNS1_3genE8ELNS1_11target_archE1030ELNS1_3gpuE2ELNS1_3repE0EEENS1_30default_config_static_selectorELNS0_4arch9wavefront6targetE0EEEvSP_.num_named_barrier, 0
	.set _ZN7rocprim17ROCPRIM_400000_NS6detail17trampoline_kernelINS0_14default_configENS1_32segmented_reduce_config_selectorIdEEZNS1_21segmented_reduce_implIS3_PKdPdPKldN6hipcub16HIPCUB_304000_NS6detail27convert_result_type_wrapperIS8_S9_N2at6native12_GLOBAL__N_110CustomProdEEEEE10hipError_tPvRmT0_T1_jT2_SQ_T4_T3_P12ihipStream_tbEUlT_E_NS1_11comp_targetILNS1_3genE8ELNS1_11target_archE1030ELNS1_3gpuE2ELNS1_3repE0EEENS1_30default_config_static_selectorELNS0_4arch9wavefront6targetE0EEEvSP_.private_seg_size, 0
	.set _ZN7rocprim17ROCPRIM_400000_NS6detail17trampoline_kernelINS0_14default_configENS1_32segmented_reduce_config_selectorIdEEZNS1_21segmented_reduce_implIS3_PKdPdPKldN6hipcub16HIPCUB_304000_NS6detail27convert_result_type_wrapperIS8_S9_N2at6native12_GLOBAL__N_110CustomProdEEEEE10hipError_tPvRmT0_T1_jT2_SQ_T4_T3_P12ihipStream_tbEUlT_E_NS1_11comp_targetILNS1_3genE8ELNS1_11target_archE1030ELNS1_3gpuE2ELNS1_3repE0EEENS1_30default_config_static_selectorELNS0_4arch9wavefront6targetE0EEEvSP_.uses_vcc, 1
	.set _ZN7rocprim17ROCPRIM_400000_NS6detail17trampoline_kernelINS0_14default_configENS1_32segmented_reduce_config_selectorIdEEZNS1_21segmented_reduce_implIS3_PKdPdPKldN6hipcub16HIPCUB_304000_NS6detail27convert_result_type_wrapperIS8_S9_N2at6native12_GLOBAL__N_110CustomProdEEEEE10hipError_tPvRmT0_T1_jT2_SQ_T4_T3_P12ihipStream_tbEUlT_E_NS1_11comp_targetILNS1_3genE8ELNS1_11target_archE1030ELNS1_3gpuE2ELNS1_3repE0EEENS1_30default_config_static_selectorELNS0_4arch9wavefront6targetE0EEEvSP_.uses_flat_scratch, 0
	.set _ZN7rocprim17ROCPRIM_400000_NS6detail17trampoline_kernelINS0_14default_configENS1_32segmented_reduce_config_selectorIdEEZNS1_21segmented_reduce_implIS3_PKdPdPKldN6hipcub16HIPCUB_304000_NS6detail27convert_result_type_wrapperIS8_S9_N2at6native12_GLOBAL__N_110CustomProdEEEEE10hipError_tPvRmT0_T1_jT2_SQ_T4_T3_P12ihipStream_tbEUlT_E_NS1_11comp_targetILNS1_3genE8ELNS1_11target_archE1030ELNS1_3gpuE2ELNS1_3repE0EEENS1_30default_config_static_selectorELNS0_4arch9wavefront6targetE0EEEvSP_.has_dyn_sized_stack, 0
	.set _ZN7rocprim17ROCPRIM_400000_NS6detail17trampoline_kernelINS0_14default_configENS1_32segmented_reduce_config_selectorIdEEZNS1_21segmented_reduce_implIS3_PKdPdPKldN6hipcub16HIPCUB_304000_NS6detail27convert_result_type_wrapperIS8_S9_N2at6native12_GLOBAL__N_110CustomProdEEEEE10hipError_tPvRmT0_T1_jT2_SQ_T4_T3_P12ihipStream_tbEUlT_E_NS1_11comp_targetILNS1_3genE8ELNS1_11target_archE1030ELNS1_3gpuE2ELNS1_3repE0EEENS1_30default_config_static_selectorELNS0_4arch9wavefront6targetE0EEEvSP_.has_recursion, 0
	.set _ZN7rocprim17ROCPRIM_400000_NS6detail17trampoline_kernelINS0_14default_configENS1_32segmented_reduce_config_selectorIdEEZNS1_21segmented_reduce_implIS3_PKdPdPKldN6hipcub16HIPCUB_304000_NS6detail27convert_result_type_wrapperIS8_S9_N2at6native12_GLOBAL__N_110CustomProdEEEEE10hipError_tPvRmT0_T1_jT2_SQ_T4_T3_P12ihipStream_tbEUlT_E_NS1_11comp_targetILNS1_3genE8ELNS1_11target_archE1030ELNS1_3gpuE2ELNS1_3repE0EEENS1_30default_config_static_selectorELNS0_4arch9wavefront6targetE0EEEvSP_.has_indirect_call, 0
	.section	.AMDGPU.csdata,"",@progbits
; Kernel info:
; codeLenInByte = 4232
; TotalNumSgprs: 36
; NumVgprs: 38
; ScratchSize: 0
; MemoryBound: 0
; FloatMode: 240
; IeeeMode: 1
; LDSByteSize: 64 bytes/workgroup (compile time only)
; SGPRBlocks: 0
; VGPRBlocks: 4
; NumSGPRsForWavesPerEU: 36
; NumVGPRsForWavesPerEU: 38
; Occupancy: 16
; WaveLimiterHint : 1
; COMPUTE_PGM_RSRC2:SCRATCH_EN: 0
; COMPUTE_PGM_RSRC2:USER_SGPR: 6
; COMPUTE_PGM_RSRC2:TRAP_HANDLER: 0
; COMPUTE_PGM_RSRC2:TGID_X_EN: 1
; COMPUTE_PGM_RSRC2:TGID_Y_EN: 0
; COMPUTE_PGM_RSRC2:TGID_Z_EN: 0
; COMPUTE_PGM_RSRC2:TIDIG_COMP_CNT: 0
	.section	.text._ZN2at6native12_GLOBAL__N_129segment_reduce_forward_kernelIflEEvNS0_13ReductionTypeEPT_PKS4_PKT0_SA_llbS4_lllllll,"axG",@progbits,_ZN2at6native12_GLOBAL__N_129segment_reduce_forward_kernelIflEEvNS0_13ReductionTypeEPT_PKS4_PKT0_SA_llbS4_lllllll,comdat
	.globl	_ZN2at6native12_GLOBAL__N_129segment_reduce_forward_kernelIflEEvNS0_13ReductionTypeEPT_PKS4_PKT0_SA_llbS4_lllllll ; -- Begin function _ZN2at6native12_GLOBAL__N_129segment_reduce_forward_kernelIflEEvNS0_13ReductionTypeEPT_PKS4_PKT0_SA_llbS4_lllllll
	.p2align	8
	.type	_ZN2at6native12_GLOBAL__N_129segment_reduce_forward_kernelIflEEvNS0_13ReductionTypeEPT_PKS4_PKT0_SA_llbS4_lllllll,@function
_ZN2at6native12_GLOBAL__N_129segment_reduce_forward_kernelIflEEvNS0_13ReductionTypeEPT_PKS4_PKT0_SA_llbS4_lllllll: ; @_ZN2at6native12_GLOBAL__N_129segment_reduce_forward_kernelIflEEvNS0_13ReductionTypeEPT_PKS4_PKT0_SA_llbS4_lllllll
; %bb.0:
	s_clause 0x2
	s_load_dwordx4 s[36:39], s[4:5], 0x28
	s_load_dword s0, s[4:5], 0x84
	s_load_dwordx8 s[24:31], s[4:5], 0x40
	v_mov_b32_e32 v2, 0
	v_mov_b32_e32 v1, v2
	s_waitcnt lgkmcnt(0)
	s_and_b32 s0, s0, 0xffff
	s_mul_i32 s1, s24, s37
	s_mul_hi_u32 s2, s24, s36
	s_mul_i32 s3, s25, s36
	s_mul_i32 s7, s24, s36
	v_mad_u64_u32 v[4:5], null, s0, s6, v[0:1]
	s_add_i32 s0, s2, s1
	s_mul_i32 s1, s7, s27
	s_mul_hi_u32 s2, s7, s26
	s_add_i32 s0, s0, s3
	s_add_i32 s1, s2, s1
	s_mul_i32 s0, s0, s26
	s_add_i32 s1, s1, s0
	s_mul_i32 s0, s7, s26
	v_cmp_gt_i64_e32 vcc_lo, s[0:1], v[4:5]
	s_and_saveexec_b32 s0, vcc_lo
	s_cbranch_execz .LBB178_35
; %bb.1:
	v_or_b32_e32 v3, s27, v5
                                        ; implicit-def: $vgpr8_vgpr9
	s_mov_b32 s0, exec_lo
	v_cmpx_ne_u64_e32 0, v[2:3]
	s_xor_b32 s1, exec_lo, s0
	s_cbranch_execz .LBB178_3
; %bb.2:
	s_ashr_i32 s2, s27, 31
	v_ashrrev_i32_e32 v8, 31, v5
	s_add_u32 s6, s26, s2
	s_mov_b32 s3, s2
	s_addc_u32 s7, s27, s2
	s_xor_b64 s[6:7], s[6:7], s[2:3]
	v_add_co_u32 v2, vcc_lo, v4, v8
	v_cvt_f32_u32_e32 v0, s6
	v_cvt_f32_u32_e32 v1, s7
	s_sub_u32 s8, 0, s6
	s_subb_u32 s9, 0, s7
	v_add_co_ci_u32_e64 v3, null, v5, v8, vcc_lo
	v_fmamk_f32 v0, v1, 0x4f800000, v0
	v_xor_b32_e32 v9, v2, v8
	v_xor_b32_e32 v10, v3, v8
	v_rcp_f32_e32 v0, v0
	v_mul_f32_e32 v0, 0x5f7ffffc, v0
	v_mul_f32_e32 v1, 0x2f800000, v0
	v_trunc_f32_e32 v1, v1
	v_fmamk_f32 v0, v1, 0xcf800000, v0
	v_cvt_u32_f32_e32 v1, v1
	v_cvt_u32_f32_e32 v0, v0
	v_readfirstlane_b32 s0, v1
	v_readfirstlane_b32 s3, v0
	s_mul_i32 s10, s8, s0
	s_mul_hi_u32 s12, s8, s3
	s_mul_i32 s11, s9, s3
	s_add_i32 s10, s12, s10
	s_mul_i32 s13, s8, s3
	s_add_i32 s10, s10, s11
	s_mul_hi_u32 s12, s3, s13
	s_mul_i32 s15, s3, s10
	s_mul_hi_u32 s14, s0, s13
	s_mul_i32 s11, s0, s13
	s_mul_hi_u32 s13, s3, s10
	s_add_u32 s12, s12, s15
	s_addc_u32 s13, 0, s13
	s_mul_hi_u32 s16, s0, s10
	s_add_u32 s11, s12, s11
	s_mul_i32 s10, s0, s10
	s_addc_u32 s11, s13, s14
	s_addc_u32 s12, s16, 0
	s_add_u32 s10, s11, s10
	s_addc_u32 s11, 0, s12
	s_add_u32 s3, s3, s10
	s_cselect_b32 s10, -1, 0
	s_mul_hi_u32 s12, s8, s3
	s_cmp_lg_u32 s10, 0
	s_mul_i32 s10, s8, s3
	s_addc_u32 s0, s0, s11
	s_mul_i32 s9, s9, s3
	s_mul_i32 s8, s8, s0
	s_mul_hi_u32 s11, s3, s10
	s_add_i32 s8, s12, s8
	s_mul_hi_u32 s12, s0, s10
	s_add_i32 s8, s8, s9
	s_mul_i32 s9, s0, s10
	s_mul_i32 s14, s3, s8
	s_mul_hi_u32 s13, s3, s8
	s_add_u32 s11, s11, s14
	s_addc_u32 s13, 0, s13
	s_mul_hi_u32 s10, s0, s8
	s_add_u32 s9, s11, s9
	s_mul_i32 s8, s0, s8
	s_addc_u32 s9, s13, s12
	s_addc_u32 s10, s10, 0
	s_add_u32 s8, s9, s8
	s_addc_u32 s9, 0, s10
	s_add_u32 s3, s3, s8
	s_cselect_b32 s8, -1, 0
	v_mul_hi_u32 v11, v9, s3
	s_cmp_lg_u32 s8, 0
	v_mad_u64_u32 v[2:3], null, v10, s3, 0
	s_addc_u32 s0, s0, s9
	v_mad_u64_u32 v[0:1], null, v9, s0, 0
	v_mad_u64_u32 v[6:7], null, v10, s0, 0
	v_add_co_u32 v0, vcc_lo, v11, v0
	v_add_co_ci_u32_e64 v1, null, 0, v1, vcc_lo
	v_add_co_u32 v0, vcc_lo, v0, v2
	v_add_co_ci_u32_e32 v0, vcc_lo, v1, v3, vcc_lo
	v_add_co_ci_u32_e32 v1, vcc_lo, 0, v7, vcc_lo
	v_add_co_u32 v2, vcc_lo, v0, v6
	v_add_co_ci_u32_e64 v3, null, 0, v1, vcc_lo
	v_mul_lo_u32 v6, s7, v2
	v_mad_u64_u32 v[0:1], null, s6, v2, 0
	v_mul_lo_u32 v7, s6, v3
	v_sub_co_u32 v0, vcc_lo, v9, v0
	v_add3_u32 v1, v1, v7, v6
	v_add_co_u32 v7, s0, v2, 2
	v_add_co_ci_u32_e64 v9, null, 0, v3, s0
	v_sub_nc_u32_e32 v6, v10, v1
	v_sub_co_u32 v11, s0, v0, s6
	v_sub_co_ci_u32_e64 v1, null, v10, v1, vcc_lo
	v_subrev_co_ci_u32_e64 v6, null, s7, v6, vcc_lo
	v_cmp_le_u32_e32 vcc_lo, s6, v11
	v_subrev_co_ci_u32_e64 v6, null, 0, v6, s0
	v_cndmask_b32_e64 v10, 0, -1, vcc_lo
	v_cmp_le_u32_e32 vcc_lo, s7, v6
	v_cndmask_b32_e64 v11, 0, -1, vcc_lo
	v_cmp_le_u32_e32 vcc_lo, s6, v0
	;; [unrolled: 2-line block ×3, first 2 shown]
	v_cndmask_b32_e64 v12, 0, -1, vcc_lo
	v_cmp_eq_u32_e32 vcc_lo, s7, v6
	v_cndmask_b32_e32 v6, v11, v10, vcc_lo
	v_add_co_u32 v10, vcc_lo, v2, 1
	v_add_co_ci_u32_e64 v11, null, 0, v3, vcc_lo
	v_cmp_eq_u32_e32 vcc_lo, s7, v1
	v_cndmask_b32_e32 v0, v12, v0, vcc_lo
	v_cmp_ne_u32_e32 vcc_lo, 0, v6
	v_xor_b32_e32 v6, s2, v8
	v_cmp_ne_u32_e64 s0, 0, v0
	v_cndmask_b32_e32 v0, v10, v7, vcc_lo
	v_cndmask_b32_e32 v1, v11, v9, vcc_lo
	v_cndmask_b32_e64 v0, v2, v0, s0
	v_cndmask_b32_e64 v1, v3, v1, s0
	v_xor_b32_e32 v0, v0, v6
	v_xor_b32_e32 v1, v1, v6
	v_sub_co_u32 v8, vcc_lo, v0, v6
	v_sub_co_ci_u32_e64 v9, null, v1, v6, vcc_lo
.LBB178_3:
	s_or_saveexec_b32 s0, s1
	s_clause 0x1
	s_load_dwordx8 s[8:15], s[4:5], 0x8
	s_load_dwordx8 s[16:23], s[4:5], 0x60
	s_xor_b32 exec_lo, exec_lo, s0
	s_cbranch_execz .LBB178_5
; %bb.4:
	v_cvt_f32_u32_e32 v0, s26
	s_sub_i32 s1, 0, s26
	v_mov_b32_e32 v9, 0
	v_rcp_iflag_f32_e32 v0, v0
	v_mul_f32_e32 v0, 0x4f7ffffe, v0
	v_cvt_u32_f32_e32 v0, v0
	v_mul_lo_u32 v1, s1, v0
	v_mul_hi_u32 v1, v0, v1
	v_add_nc_u32_e32 v0, v0, v1
	v_mul_hi_u32 v0, v4, v0
	v_mul_lo_u32 v1, v0, s26
	v_add_nc_u32_e32 v2, 1, v0
	v_sub_nc_u32_e32 v1, v4, v1
	v_subrev_nc_u32_e32 v3, s26, v1
	v_cmp_le_u32_e32 vcc_lo, s26, v1
	v_cndmask_b32_e32 v1, v1, v3, vcc_lo
	v_cndmask_b32_e32 v0, v0, v2, vcc_lo
	v_cmp_le_u32_e32 vcc_lo, s26, v1
	v_add_nc_u32_e32 v2, 1, v0
	v_cndmask_b32_e32 v8, v0, v2, vcc_lo
.LBB178_5:
	s_or_b32 exec_lo, exec_lo, s0
	v_or_b32_e32 v1, s37, v9
	v_mov_b32_e32 v0, 0
                                        ; implicit-def: $vgpr6_vgpr7
	s_mov_b32 s0, exec_lo
	v_cmpx_ne_u64_e32 0, v[0:1]
	s_xor_b32 s1, exec_lo, s0
	s_cbranch_execz .LBB178_7
; %bb.6:
	s_ashr_i32 s2, s37, 31
	v_ashrrev_i32_e32 v10, 31, v9
	s_add_u32 s6, s36, s2
	s_mov_b32 s3, s2
	s_addc_u32 s7, s37, s2
	s_xor_b64 s[6:7], s[6:7], s[2:3]
	v_add_co_u32 v2, vcc_lo, v8, v10
	v_cvt_f32_u32_e32 v0, s6
	v_cvt_f32_u32_e32 v1, s7
	s_waitcnt lgkmcnt(0)
	s_sub_u32 s22, 0, s6
	s_subb_u32 s23, 0, s7
	v_add_co_ci_u32_e64 v3, null, v9, v10, vcc_lo
	v_fmamk_f32 v0, v1, 0x4f800000, v0
	v_xor_b32_e32 v11, v2, v10
	v_xor_b32_e32 v12, v3, v10
	v_rcp_f32_e32 v0, v0
	v_mul_f32_e32 v0, 0x5f7ffffc, v0
	v_mul_f32_e32 v1, 0x2f800000, v0
	v_trunc_f32_e32 v1, v1
	v_fmamk_f32 v0, v1, 0xcf800000, v0
	v_cvt_u32_f32_e32 v1, v1
	v_cvt_u32_f32_e32 v0, v0
	v_readfirstlane_b32 s0, v1
	v_readfirstlane_b32 s3, v0
	s_mul_i32 s24, s22, s0
	s_mul_hi_u32 s33, s22, s3
	s_mul_i32 s25, s23, s3
	s_add_i32 s24, s33, s24
	s_mul_i32 s34, s22, s3
	s_add_i32 s24, s24, s25
	s_mul_hi_u32 s33, s3, s34
	s_mul_i32 s40, s3, s24
	s_mul_hi_u32 s35, s0, s34
	s_mul_i32 s25, s0, s34
	s_mul_hi_u32 s34, s3, s24
	s_add_u32 s33, s33, s40
	s_addc_u32 s34, 0, s34
	s_mul_hi_u32 s41, s0, s24
	s_add_u32 s25, s33, s25
	s_mul_i32 s24, s0, s24
	s_addc_u32 s25, s34, s35
	s_addc_u32 s33, s41, 0
	s_add_u32 s24, s25, s24
	s_addc_u32 s25, 0, s33
	s_add_u32 s3, s3, s24
	s_cselect_b32 s24, -1, 0
	s_mul_hi_u32 s33, s22, s3
	s_cmp_lg_u32 s24, 0
	s_mul_i32 s24, s22, s3
	s_addc_u32 s0, s0, s25
	s_mul_i32 s23, s23, s3
	s_mul_i32 s22, s22, s0
	s_mul_hi_u32 s25, s3, s24
	s_add_i32 s22, s33, s22
	s_mul_hi_u32 s33, s0, s24
	s_add_i32 s22, s22, s23
	s_mul_i32 s23, s0, s24
	s_mul_i32 s35, s3, s22
	s_mul_hi_u32 s34, s3, s22
	s_add_u32 s25, s25, s35
	s_addc_u32 s34, 0, s34
	s_mul_hi_u32 s24, s0, s22
	s_add_u32 s23, s25, s23
	s_mul_i32 s22, s0, s22
	s_addc_u32 s23, s34, s33
	s_addc_u32 s24, s24, 0
	s_add_u32 s22, s23, s22
	s_addc_u32 s23, 0, s24
	s_add_u32 s3, s3, s22
	s_cselect_b32 s22, -1, 0
	v_mul_hi_u32 v13, v11, s3
	s_cmp_lg_u32 s22, 0
	v_mad_u64_u32 v[2:3], null, v12, s3, 0
	s_addc_u32 s0, s0, s23
	v_mad_u64_u32 v[0:1], null, v11, s0, 0
	v_mad_u64_u32 v[6:7], null, v12, s0, 0
	v_add_co_u32 v0, vcc_lo, v13, v0
	v_add_co_ci_u32_e64 v1, null, 0, v1, vcc_lo
	v_add_co_u32 v0, vcc_lo, v0, v2
	v_add_co_ci_u32_e32 v0, vcc_lo, v1, v3, vcc_lo
	v_add_co_ci_u32_e32 v1, vcc_lo, 0, v7, vcc_lo
	v_add_co_u32 v2, vcc_lo, v0, v6
	v_add_co_ci_u32_e64 v3, null, 0, v1, vcc_lo
	v_mul_lo_u32 v6, s7, v2
	v_mad_u64_u32 v[0:1], null, s6, v2, 0
	v_mul_lo_u32 v7, s6, v3
	v_sub_co_u32 v0, vcc_lo, v11, v0
	v_add3_u32 v1, v1, v7, v6
	v_add_co_u32 v7, s0, v2, 2
	v_add_co_ci_u32_e64 v11, null, 0, v3, s0
	v_sub_nc_u32_e32 v6, v12, v1
	v_sub_co_u32 v13, s0, v0, s6
	v_sub_co_ci_u32_e64 v1, null, v12, v1, vcc_lo
	v_subrev_co_ci_u32_e64 v6, null, s7, v6, vcc_lo
	v_cmp_le_u32_e32 vcc_lo, s6, v13
	v_subrev_co_ci_u32_e64 v6, null, 0, v6, s0
	v_cndmask_b32_e64 v12, 0, -1, vcc_lo
	v_cmp_le_u32_e32 vcc_lo, s7, v6
	v_cndmask_b32_e64 v13, 0, -1, vcc_lo
	v_cmp_le_u32_e32 vcc_lo, s6, v0
	;; [unrolled: 2-line block ×3, first 2 shown]
	v_cndmask_b32_e64 v14, 0, -1, vcc_lo
	v_cmp_eq_u32_e32 vcc_lo, s7, v6
	v_cndmask_b32_e32 v6, v13, v12, vcc_lo
	v_add_co_u32 v12, vcc_lo, v2, 1
	v_add_co_ci_u32_e64 v13, null, 0, v3, vcc_lo
	v_cmp_eq_u32_e32 vcc_lo, s7, v1
	v_cndmask_b32_e32 v0, v14, v0, vcc_lo
	v_cmp_ne_u32_e32 vcc_lo, 0, v6
	v_cmp_ne_u32_e64 s0, 0, v0
	v_cndmask_b32_e32 v0, v12, v7, vcc_lo
	v_cndmask_b32_e32 v1, v13, v11, vcc_lo
	v_xor_b32_e32 v7, s2, v10
	v_cndmask_b32_e64 v0, v2, v0, s0
	v_cndmask_b32_e64 v1, v3, v1, s0
	v_xor_b32_e32 v0, v0, v7
	v_xor_b32_e32 v1, v1, v7
	v_sub_co_u32 v6, vcc_lo, v0, v7
	v_sub_co_ci_u32_e64 v7, null, v1, v7, vcc_lo
.LBB178_7:
	s_andn2_saveexec_b32 s0, s1
	s_cbranch_execz .LBB178_9
; %bb.8:
	v_cvt_f32_u32_e32 v0, s36
	s_sub_i32 s1, 0, s36
	v_mov_b32_e32 v7, 0
	v_rcp_iflag_f32_e32 v0, v0
	v_mul_f32_e32 v0, 0x4f7ffffe, v0
	v_cvt_u32_f32_e32 v0, v0
	v_mul_lo_u32 v1, s1, v0
	v_mul_hi_u32 v1, v0, v1
	v_add_nc_u32_e32 v0, v0, v1
	v_mul_hi_u32 v0, v8, v0
	v_mul_lo_u32 v1, v0, s36
	v_add_nc_u32_e32 v2, 1, v0
	v_sub_nc_u32_e32 v1, v8, v1
	v_subrev_nc_u32_e32 v3, s36, v1
	v_cmp_le_u32_e32 vcc_lo, s36, v1
	v_cndmask_b32_e32 v1, v1, v3, vcc_lo
	v_cndmask_b32_e32 v0, v0, v2, vcc_lo
	v_cmp_le_u32_e32 vcc_lo, s36, v1
	v_add_nc_u32_e32 v2, 1, v0
	v_cndmask_b32_e32 v6, v0, v2, vcc_lo
.LBB178_9:
	s_or_b32 exec_lo, exec_lo, s0
	s_add_u32 s0, s36, 1
	s_addc_u32 s1, s37, 0
	s_waitcnt lgkmcnt(0)
	s_mul_hi_u32 s2, s20, s0
	s_mul_i32 s1, s20, s1
	v_mul_lo_u32 v2, v7, s36
	s_add_i32 s1, s2, s1
	s_mul_i32 s2, s21, s0
	s_mul_i32 s0, s20, s0
	s_add_i32 s1, s1, s2
	v_mul_lo_u32 v3, v6, s37
	v_mad_u64_u32 v[12:13], null, v6, s36, 0
	v_mul_lo_u32 v10, s0, v7
	v_mad_u64_u32 v[0:1], null, s0, v6, 0
	v_mul_lo_u32 v11, s1, v6
	v_mul_lo_u32 v16, v9, s26
	;; [unrolled: 1-line block ×3, first 2 shown]
	v_add3_u32 v13, v13, v3, v2
	s_mov_b32 s6, exec_lo
	v_add3_u32 v1, v1, v10, v11
	v_sub_co_u32 v10, vcc_lo, v8, v12
	v_sub_co_ci_u32_e64 v11, null, v9, v13, vcc_lo
	v_lshlrev_b64 v[0:1], 3, v[0:1]
	v_mad_u64_u32 v[8:9], null, v8, s26, 0
	v_lshlrev_b64 v[14:15], 3, v[10:11]
	v_add_co_u32 v0, vcc_lo, s14, v0
	v_add_co_ci_u32_e64 v1, null, s15, v1, vcc_lo
	v_add3_u32 v9, v9, v17, v16
	v_add_co_u32 v0, vcc_lo, v0, v14
	v_add_co_ci_u32_e64 v1, null, v1, v15, vcc_lo
	global_load_dwordx4 v[0:3], v[0:1], off
	s_clause 0x1
	s_load_dwordx2 s[2:3], s[4:5], 0x38
	s_load_dword s1, s[4:5], 0x0
	s_waitcnt lgkmcnt(0)
	v_mov_b32_e32 v18, s3
	s_waitcnt vmcnt(0)
	v_cmpx_lt_i64_e64 v[0:1], v[2:3]
	s_cbranch_execz .LBB178_28
; %bb.10:
	v_mul_lo_u32 v18, v7, s30
	v_mul_lo_u32 v19, v6, s31
	v_mad_u64_u32 v[16:17], null, v6, s30, 0
	s_cmp_lg_u32 s1, 0
	s_cselect_b32 s7, -1, 0
	s_and_b32 s0, s1, -3
	s_cmp_lg_u32 s0, 1
	v_add3_u32 v17, v17, v19, v18
	v_lshlrev_b64 v[18:19], 2, v[0:1]
	v_lshlrev_b64 v[16:17], 2, v[16:17]
	v_add_co_u32 v18, vcc_lo, v16, v18
	v_add_co_ci_u32_e64 v19, null, v17, v19, vcc_lo
	v_lshlrev_b64 v[16:17], 2, v[4:5]
	v_mul_lo_u32 v21, s29, v18
	v_mul_lo_u32 v20, s28, v19
	v_mad_u64_u32 v[16:17], null, s28, v18, v[16:17]
	v_lshlrev_b64 v[18:19], 2, v[8:9]
	v_add3_u32 v17, v21, v17, v20
	v_sub_co_u32 v16, vcc_lo, v16, v18
	v_sub_co_ci_u32_e64 v17, null, v17, v19, vcc_lo
	v_add_co_u32 v16, vcc_lo, s10, v16
	v_mov_b32_e32 v19, s3
	v_add_co_ci_u32_e64 v17, null, s11, v17, vcc_lo
	s_mov_b32 s3, 0
	s_cselect_b32 s10, -1, 0
	s_lshl_b64 s[4:5], s[28:29], 2
	s_branch .LBB178_12
.LBB178_11:                             ;   in Loop: Header=BB178_12 Depth=1
	v_add_co_u32 v0, vcc_lo, v0, 1
	v_add_co_ci_u32_e64 v1, null, 0, v1, vcc_lo
	v_add_co_u32 v16, s0, v16, s4
	v_add_co_ci_u32_e64 v17, null, s5, v17, s0
	v_cmp_ge_i64_e32 vcc_lo, v[0:1], v[2:3]
	v_mov_b32_e32 v19, v18
	s_or_b32 s3, vcc_lo, s3
	s_andn2_b32 exec_lo, exec_lo, s3
	s_cbranch_execz .LBB178_27
.LBB178_12:                             ; =>This Inner Loop Header: Depth=1
	global_load_dword v20, v[16:17], off
	s_and_b32 vcc_lo, exec_lo, s7
	s_cbranch_vccz .LBB178_25
; %bb.13:                               ;   in Loop: Header=BB178_12 Depth=1
	s_and_b32 vcc_lo, exec_lo, s10
	s_mov_b32 s0, -1
                                        ; implicit-def: $vgpr18
	s_cbranch_vccz .LBB178_22
; %bb.14:                               ;   in Loop: Header=BB178_12 Depth=1
	s_cmp_lt_i32 s1, 4
                                        ; implicit-def: $vgpr18
	s_cbranch_scc1 .LBB178_18
; %bb.15:                               ;   in Loop: Header=BB178_12 Depth=1
	v_mov_b32_e32 v18, v19
	s_cmp_eq_u32 s1, 4
	s_cbranch_scc0 .LBB178_17
; %bb.16:                               ;   in Loop: Header=BB178_12 Depth=1
	s_waitcnt vmcnt(0)
	v_mul_f32_e32 v18, v20, v19
.LBB178_17:                             ;   in Loop: Header=BB178_12 Depth=1
	s_mov_b32 s0, 0
.LBB178_18:                             ;   in Loop: Header=BB178_12 Depth=1
	s_andn2_b32 vcc_lo, exec_lo, s0
	s_cbranch_vccnz .LBB178_21
; %bb.19:                               ;   in Loop: Header=BB178_12 Depth=1
	v_mov_b32_e32 v18, v19
	s_cmp_lg_u32 s1, 2
	s_cbranch_scc1 .LBB178_21
; %bb.20:                               ;   in Loop: Header=BB178_12 Depth=1
	s_waitcnt vmcnt(0)
	v_cmp_u_f32_e32 vcc_lo, v20, v20
	v_cmp_lt_f32_e64 s0, v20, v19
	s_or_b32 vcc_lo, vcc_lo, s0
	v_cndmask_b32_e32 v18, v19, v20, vcc_lo
.LBB178_21:                             ;   in Loop: Header=BB178_12 Depth=1
	s_mov_b32 s0, 0
.LBB178_22:                             ;   in Loop: Header=BB178_12 Depth=1
	s_and_b32 vcc_lo, exec_lo, s0
	s_cbranch_vccz .LBB178_24
; %bb.23:                               ;   in Loop: Header=BB178_12 Depth=1
	s_waitcnt vmcnt(0)
	v_add_f32_e32 v18, v20, v19
.LBB178_24:                             ;   in Loop: Header=BB178_12 Depth=1
	s_cbranch_execnz .LBB178_11
	s_branch .LBB178_26
.LBB178_25:                             ;   in Loop: Header=BB178_12 Depth=1
                                        ; implicit-def: $vgpr18
.LBB178_26:                             ;   in Loop: Header=BB178_12 Depth=1
	s_waitcnt vmcnt(0)
	v_cmp_u_f32_e32 vcc_lo, v20, v20
	v_cmp_lt_f32_e64 s0, v19, v20
	s_or_b32 vcc_lo, vcc_lo, s0
	v_cndmask_b32_e32 v18, v19, v20, vcc_lo
	s_branch .LBB178_11
.LBB178_27:
	s_or_b32 exec_lo, exec_lo, s3
.LBB178_28:
	s_or_b32 exec_lo, exec_lo, s6
	v_mul_lo_u32 v2, v13, s38
	v_mul_lo_u32 v3, v12, s39
	v_mad_u64_u32 v[0:1], null, v12, s38, 0
	s_mov_b32 s0, exec_lo
	v_add3_u32 v1, v1, v3, v2
	v_lshlrev_b64 v[0:1], 3, v[0:1]
	v_add_co_u32 v0, vcc_lo, s12, v0
	v_add_co_ci_u32_e64 v1, null, s13, v1, vcc_lo
	v_add_co_u32 v0, vcc_lo, v0, v14
	v_add_co_ci_u32_e64 v1, null, v1, v15, vcc_lo
	global_load_dwordx2 v[0:1], v[0:1], off
	s_waitcnt vmcnt(0)
	v_cmpx_lt_i64_e32 -1, v[0:1]
	s_xor_b32 s3, exec_lo, s0
	s_cbranch_execz .LBB178_34
; %bb.29:
	v_cmp_ne_u64_e32 vcc_lo, 0, v[0:1]
	s_bitcmp1_b32 s2, 0
	v_mov_b32_e32 v2, 0x7fc00000
	s_cselect_b32 s0, -1, 0
	s_or_b32 s0, s0, vcc_lo
	s_cmp_lg_u32 s1, 1
	s_cselect_b32 s2, -1, 0
	s_or_b32 s0, s2, s0
	s_and_saveexec_b32 s1, s0
	s_cbranch_execz .LBB178_33
; %bb.30:
	v_cmp_ne_u64_e32 vcc_lo, 0, v[0:1]
	v_cmp_o_f32_e64 s0, v18, v18
	s_xor_b32 s2, s2, -1
	s_and_b32 s2, s2, vcc_lo
	s_and_b32 s2, s2, s0
	s_and_saveexec_b32 s0, s2
	s_cbranch_execz .LBB178_32
; %bb.31:
	v_ffbh_u32_e32 v2, v1
	v_min_u32_e32 v2, 32, v2
	v_lshlrev_b64 v[0:1], v2, v[0:1]
	v_min_u32_e32 v0, 1, v0
	v_or_b32_e32 v0, v1, v0
	v_sub_nc_u32_e32 v1, 32, v2
	v_cvt_f32_u32_e32 v0, v0
	v_ldexp_f32 v0, v0, v1
	v_div_scale_f32 v1, null, v0, v0, v18
	v_rcp_f32_e32 v2, v1
	v_fma_f32 v3, -v1, v2, 1.0
	v_fmac_f32_e32 v2, v3, v2
	v_div_scale_f32 v3, vcc_lo, v18, v0, v18
	v_mul_f32_e32 v12, v3, v2
	v_fma_f32 v13, -v1, v12, v3
	v_fmac_f32_e32 v12, v13, v2
	v_fma_f32 v1, -v1, v12, v3
	v_div_fmas_f32 v1, v1, v2, v12
	v_div_fixup_f32 v18, v1, v0, v18
.LBB178_32:
	s_or_b32 exec_lo, exec_lo, s0
	v_mov_b32_e32 v2, v18
.LBB178_33:
	s_or_b32 exec_lo, exec_lo, s1
	s_mul_i32 s0, s18, s17
	s_mul_hi_u32 s1, s18, s16
	s_mul_i32 s2, s19, s16
	s_add_i32 s0, s1, s0
	s_mul_i32 s1, s18, s16
	s_add_i32 s0, s0, s2
	v_mul_lo_u32 v12, s1, v7
	v_mul_lo_u32 v3, s0, v6
	v_mad_u64_u32 v[0:1], null, s1, v6, 0
	v_mul_lo_u32 v11, v11, s16
	v_mul_lo_u32 v13, v10, s17
	v_mad_u64_u32 v[6:7], null, v10, s16, 0
	v_add3_u32 v1, v1, v12, v3
	v_sub_co_u32 v3, vcc_lo, v4, v8
	v_sub_co_ci_u32_e64 v4, null, v5, v9, vcc_lo
	v_add3_u32 v7, v7, v13, v11
	v_lshlrev_b64 v[0:1], 2, v[0:1]
	v_lshlrev_b64 v[5:6], 2, v[6:7]
	v_add_co_u32 v7, vcc_lo, s8, v0
	v_add_co_ci_u32_e64 v8, null, s9, v1, vcc_lo
	v_lshlrev_b64 v[0:1], 2, v[3:4]
	v_add_co_u32 v3, vcc_lo, v7, v5
	v_add_co_ci_u32_e64 v4, null, v8, v6, vcc_lo
	v_add_co_u32 v0, vcc_lo, v3, v0
	v_add_co_ci_u32_e64 v1, null, v4, v1, vcc_lo
	global_store_dword v[0:1], v2, off
.LBB178_34:
	s_andn2_saveexec_b32 s0, s3
	s_cbranch_execnz .LBB178_36
.LBB178_35:
	s_endpgm
.LBB178_36:
	s_trap 2
	; divergent unreachable
	s_endpgm
	.section	.rodata,"a",@progbits
	.p2align	6, 0x0
	.amdhsa_kernel _ZN2at6native12_GLOBAL__N_129segment_reduce_forward_kernelIflEEvNS0_13ReductionTypeEPT_PKS4_PKT0_SA_llbS4_lllllll
		.amdhsa_group_segment_fixed_size 0
		.amdhsa_private_segment_fixed_size 0
		.amdhsa_kernarg_size 376
		.amdhsa_user_sgpr_count 6
		.amdhsa_user_sgpr_private_segment_buffer 1
		.amdhsa_user_sgpr_dispatch_ptr 0
		.amdhsa_user_sgpr_queue_ptr 0
		.amdhsa_user_sgpr_kernarg_segment_ptr 1
		.amdhsa_user_sgpr_dispatch_id 0
		.amdhsa_user_sgpr_flat_scratch_init 0
		.amdhsa_user_sgpr_private_segment_size 0
		.amdhsa_wavefront_size32 1
		.amdhsa_uses_dynamic_stack 0
		.amdhsa_system_sgpr_private_segment_wavefront_offset 0
		.amdhsa_system_sgpr_workgroup_id_x 1
		.amdhsa_system_sgpr_workgroup_id_y 0
		.amdhsa_system_sgpr_workgroup_id_z 0
		.amdhsa_system_sgpr_workgroup_info 0
		.amdhsa_system_vgpr_workitem_id 0
		.amdhsa_next_free_vgpr 22
		.amdhsa_next_free_sgpr 42
		.amdhsa_reserve_vcc 1
		.amdhsa_reserve_flat_scratch 0
		.amdhsa_float_round_mode_32 0
		.amdhsa_float_round_mode_16_64 0
		.amdhsa_float_denorm_mode_32 3
		.amdhsa_float_denorm_mode_16_64 3
		.amdhsa_dx10_clamp 1
		.amdhsa_ieee_mode 1
		.amdhsa_fp16_overflow 0
		.amdhsa_workgroup_processor_mode 1
		.amdhsa_memory_ordered 1
		.amdhsa_forward_progress 1
		.amdhsa_shared_vgpr_count 0
		.amdhsa_exception_fp_ieee_invalid_op 0
		.amdhsa_exception_fp_denorm_src 0
		.amdhsa_exception_fp_ieee_div_zero 0
		.amdhsa_exception_fp_ieee_overflow 0
		.amdhsa_exception_fp_ieee_underflow 0
		.amdhsa_exception_fp_ieee_inexact 0
		.amdhsa_exception_int_div_zero 0
	.end_amdhsa_kernel
	.section	.text._ZN2at6native12_GLOBAL__N_129segment_reduce_forward_kernelIflEEvNS0_13ReductionTypeEPT_PKS4_PKT0_SA_llbS4_lllllll,"axG",@progbits,_ZN2at6native12_GLOBAL__N_129segment_reduce_forward_kernelIflEEvNS0_13ReductionTypeEPT_PKS4_PKT0_SA_llbS4_lllllll,comdat
.Lfunc_end178:
	.size	_ZN2at6native12_GLOBAL__N_129segment_reduce_forward_kernelIflEEvNS0_13ReductionTypeEPT_PKS4_PKT0_SA_llbS4_lllllll, .Lfunc_end178-_ZN2at6native12_GLOBAL__N_129segment_reduce_forward_kernelIflEEvNS0_13ReductionTypeEPT_PKS4_PKT0_SA_llbS4_lllllll
                                        ; -- End function
	.set _ZN2at6native12_GLOBAL__N_129segment_reduce_forward_kernelIflEEvNS0_13ReductionTypeEPT_PKS4_PKT0_SA_llbS4_lllllll.num_vgpr, 22
	.set _ZN2at6native12_GLOBAL__N_129segment_reduce_forward_kernelIflEEvNS0_13ReductionTypeEPT_PKS4_PKT0_SA_llbS4_lllllll.num_agpr, 0
	.set _ZN2at6native12_GLOBAL__N_129segment_reduce_forward_kernelIflEEvNS0_13ReductionTypeEPT_PKS4_PKT0_SA_llbS4_lllllll.numbered_sgpr, 42
	.set _ZN2at6native12_GLOBAL__N_129segment_reduce_forward_kernelIflEEvNS0_13ReductionTypeEPT_PKS4_PKT0_SA_llbS4_lllllll.num_named_barrier, 0
	.set _ZN2at6native12_GLOBAL__N_129segment_reduce_forward_kernelIflEEvNS0_13ReductionTypeEPT_PKS4_PKT0_SA_llbS4_lllllll.private_seg_size, 0
	.set _ZN2at6native12_GLOBAL__N_129segment_reduce_forward_kernelIflEEvNS0_13ReductionTypeEPT_PKS4_PKT0_SA_llbS4_lllllll.uses_vcc, 1
	.set _ZN2at6native12_GLOBAL__N_129segment_reduce_forward_kernelIflEEvNS0_13ReductionTypeEPT_PKS4_PKT0_SA_llbS4_lllllll.uses_flat_scratch, 0
	.set _ZN2at6native12_GLOBAL__N_129segment_reduce_forward_kernelIflEEvNS0_13ReductionTypeEPT_PKS4_PKT0_SA_llbS4_lllllll.has_dyn_sized_stack, 0
	.set _ZN2at6native12_GLOBAL__N_129segment_reduce_forward_kernelIflEEvNS0_13ReductionTypeEPT_PKS4_PKT0_SA_llbS4_lllllll.has_recursion, 0
	.set _ZN2at6native12_GLOBAL__N_129segment_reduce_forward_kernelIflEEvNS0_13ReductionTypeEPT_PKS4_PKT0_SA_llbS4_lllllll.has_indirect_call, 0
	.section	.AMDGPU.csdata,"",@progbits
; Kernel info:
; codeLenInByte = 2824
; TotalNumSgprs: 44
; NumVgprs: 22
; ScratchSize: 0
; MemoryBound: 0
; FloatMode: 240
; IeeeMode: 1
; LDSByteSize: 0 bytes/workgroup (compile time only)
; SGPRBlocks: 0
; VGPRBlocks: 2
; NumSGPRsForWavesPerEU: 44
; NumVGPRsForWavesPerEU: 22
; Occupancy: 16
; WaveLimiterHint : 0
; COMPUTE_PGM_RSRC2:SCRATCH_EN: 0
; COMPUTE_PGM_RSRC2:USER_SGPR: 6
; COMPUTE_PGM_RSRC2:TRAP_HANDLER: 0
; COMPUTE_PGM_RSRC2:TGID_X_EN: 1
; COMPUTE_PGM_RSRC2:TGID_Y_EN: 0
; COMPUTE_PGM_RSRC2:TGID_Z_EN: 0
; COMPUTE_PGM_RSRC2:TIDIG_COMP_CNT: 0
	.section	.text._ZN7rocprim17ROCPRIM_400000_NS6detail17trampoline_kernelINS0_14default_configENS1_32segmented_reduce_config_selectorIfEEZNS1_21segmented_reduce_implIS3_PKfPfPKlfN6hipcub16HIPCUB_304000_NS6detail27convert_result_type_wrapperIS8_S9_N2at6native12_GLOBAL__N_19CustomMaxEEEEE10hipError_tPvRmT0_T1_jT2_SQ_T4_T3_P12ihipStream_tbEUlT_E_NS1_11comp_targetILNS1_3genE0ELNS1_11target_archE4294967295ELNS1_3gpuE0ELNS1_3repE0EEENS1_30default_config_static_selectorELNS0_4arch9wavefront6targetE0EEEvSP_,"axG",@progbits,_ZN7rocprim17ROCPRIM_400000_NS6detail17trampoline_kernelINS0_14default_configENS1_32segmented_reduce_config_selectorIfEEZNS1_21segmented_reduce_implIS3_PKfPfPKlfN6hipcub16HIPCUB_304000_NS6detail27convert_result_type_wrapperIS8_S9_N2at6native12_GLOBAL__N_19CustomMaxEEEEE10hipError_tPvRmT0_T1_jT2_SQ_T4_T3_P12ihipStream_tbEUlT_E_NS1_11comp_targetILNS1_3genE0ELNS1_11target_archE4294967295ELNS1_3gpuE0ELNS1_3repE0EEENS1_30default_config_static_selectorELNS0_4arch9wavefront6targetE0EEEvSP_,comdat
	.globl	_ZN7rocprim17ROCPRIM_400000_NS6detail17trampoline_kernelINS0_14default_configENS1_32segmented_reduce_config_selectorIfEEZNS1_21segmented_reduce_implIS3_PKfPfPKlfN6hipcub16HIPCUB_304000_NS6detail27convert_result_type_wrapperIS8_S9_N2at6native12_GLOBAL__N_19CustomMaxEEEEE10hipError_tPvRmT0_T1_jT2_SQ_T4_T3_P12ihipStream_tbEUlT_E_NS1_11comp_targetILNS1_3genE0ELNS1_11target_archE4294967295ELNS1_3gpuE0ELNS1_3repE0EEENS1_30default_config_static_selectorELNS0_4arch9wavefront6targetE0EEEvSP_ ; -- Begin function _ZN7rocprim17ROCPRIM_400000_NS6detail17trampoline_kernelINS0_14default_configENS1_32segmented_reduce_config_selectorIfEEZNS1_21segmented_reduce_implIS3_PKfPfPKlfN6hipcub16HIPCUB_304000_NS6detail27convert_result_type_wrapperIS8_S9_N2at6native12_GLOBAL__N_19CustomMaxEEEEE10hipError_tPvRmT0_T1_jT2_SQ_T4_T3_P12ihipStream_tbEUlT_E_NS1_11comp_targetILNS1_3genE0ELNS1_11target_archE4294967295ELNS1_3gpuE0ELNS1_3repE0EEENS1_30default_config_static_selectorELNS0_4arch9wavefront6targetE0EEEvSP_
	.p2align	8
	.type	_ZN7rocprim17ROCPRIM_400000_NS6detail17trampoline_kernelINS0_14default_configENS1_32segmented_reduce_config_selectorIfEEZNS1_21segmented_reduce_implIS3_PKfPfPKlfN6hipcub16HIPCUB_304000_NS6detail27convert_result_type_wrapperIS8_S9_N2at6native12_GLOBAL__N_19CustomMaxEEEEE10hipError_tPvRmT0_T1_jT2_SQ_T4_T3_P12ihipStream_tbEUlT_E_NS1_11comp_targetILNS1_3genE0ELNS1_11target_archE4294967295ELNS1_3gpuE0ELNS1_3repE0EEENS1_30default_config_static_selectorELNS0_4arch9wavefront6targetE0EEEvSP_,@function
_ZN7rocprim17ROCPRIM_400000_NS6detail17trampoline_kernelINS0_14default_configENS1_32segmented_reduce_config_selectorIfEEZNS1_21segmented_reduce_implIS3_PKfPfPKlfN6hipcub16HIPCUB_304000_NS6detail27convert_result_type_wrapperIS8_S9_N2at6native12_GLOBAL__N_19CustomMaxEEEEE10hipError_tPvRmT0_T1_jT2_SQ_T4_T3_P12ihipStream_tbEUlT_E_NS1_11comp_targetILNS1_3genE0ELNS1_11target_archE4294967295ELNS1_3gpuE0ELNS1_3repE0EEENS1_30default_config_static_selectorELNS0_4arch9wavefront6targetE0EEEvSP_: ; @_ZN7rocprim17ROCPRIM_400000_NS6detail17trampoline_kernelINS0_14default_configENS1_32segmented_reduce_config_selectorIfEEZNS1_21segmented_reduce_implIS3_PKfPfPKlfN6hipcub16HIPCUB_304000_NS6detail27convert_result_type_wrapperIS8_S9_N2at6native12_GLOBAL__N_19CustomMaxEEEEE10hipError_tPvRmT0_T1_jT2_SQ_T4_T3_P12ihipStream_tbEUlT_E_NS1_11comp_targetILNS1_3genE0ELNS1_11target_archE4294967295ELNS1_3gpuE0ELNS1_3repE0EEENS1_30default_config_static_selectorELNS0_4arch9wavefront6targetE0EEEvSP_
; %bb.0:
	.section	.rodata,"a",@progbits
	.p2align	6, 0x0
	.amdhsa_kernel _ZN7rocprim17ROCPRIM_400000_NS6detail17trampoline_kernelINS0_14default_configENS1_32segmented_reduce_config_selectorIfEEZNS1_21segmented_reduce_implIS3_PKfPfPKlfN6hipcub16HIPCUB_304000_NS6detail27convert_result_type_wrapperIS8_S9_N2at6native12_GLOBAL__N_19CustomMaxEEEEE10hipError_tPvRmT0_T1_jT2_SQ_T4_T3_P12ihipStream_tbEUlT_E_NS1_11comp_targetILNS1_3genE0ELNS1_11target_archE4294967295ELNS1_3gpuE0ELNS1_3repE0EEENS1_30default_config_static_selectorELNS0_4arch9wavefront6targetE0EEEvSP_
		.amdhsa_group_segment_fixed_size 0
		.amdhsa_private_segment_fixed_size 0
		.amdhsa_kernarg_size 48
		.amdhsa_user_sgpr_count 6
		.amdhsa_user_sgpr_private_segment_buffer 1
		.amdhsa_user_sgpr_dispatch_ptr 0
		.amdhsa_user_sgpr_queue_ptr 0
		.amdhsa_user_sgpr_kernarg_segment_ptr 1
		.amdhsa_user_sgpr_dispatch_id 0
		.amdhsa_user_sgpr_flat_scratch_init 0
		.amdhsa_user_sgpr_private_segment_size 0
		.amdhsa_wavefront_size32 1
		.amdhsa_uses_dynamic_stack 0
		.amdhsa_system_sgpr_private_segment_wavefront_offset 0
		.amdhsa_system_sgpr_workgroup_id_x 1
		.amdhsa_system_sgpr_workgroup_id_y 0
		.amdhsa_system_sgpr_workgroup_id_z 0
		.amdhsa_system_sgpr_workgroup_info 0
		.amdhsa_system_vgpr_workitem_id 0
		.amdhsa_next_free_vgpr 1
		.amdhsa_next_free_sgpr 1
		.amdhsa_reserve_vcc 0
		.amdhsa_reserve_flat_scratch 0
		.amdhsa_float_round_mode_32 0
		.amdhsa_float_round_mode_16_64 0
		.amdhsa_float_denorm_mode_32 3
		.amdhsa_float_denorm_mode_16_64 3
		.amdhsa_dx10_clamp 1
		.amdhsa_ieee_mode 1
		.amdhsa_fp16_overflow 0
		.amdhsa_workgroup_processor_mode 1
		.amdhsa_memory_ordered 1
		.amdhsa_forward_progress 1
		.amdhsa_shared_vgpr_count 0
		.amdhsa_exception_fp_ieee_invalid_op 0
		.amdhsa_exception_fp_denorm_src 0
		.amdhsa_exception_fp_ieee_div_zero 0
		.amdhsa_exception_fp_ieee_overflow 0
		.amdhsa_exception_fp_ieee_underflow 0
		.amdhsa_exception_fp_ieee_inexact 0
		.amdhsa_exception_int_div_zero 0
	.end_amdhsa_kernel
	.section	.text._ZN7rocprim17ROCPRIM_400000_NS6detail17trampoline_kernelINS0_14default_configENS1_32segmented_reduce_config_selectorIfEEZNS1_21segmented_reduce_implIS3_PKfPfPKlfN6hipcub16HIPCUB_304000_NS6detail27convert_result_type_wrapperIS8_S9_N2at6native12_GLOBAL__N_19CustomMaxEEEEE10hipError_tPvRmT0_T1_jT2_SQ_T4_T3_P12ihipStream_tbEUlT_E_NS1_11comp_targetILNS1_3genE0ELNS1_11target_archE4294967295ELNS1_3gpuE0ELNS1_3repE0EEENS1_30default_config_static_selectorELNS0_4arch9wavefront6targetE0EEEvSP_,"axG",@progbits,_ZN7rocprim17ROCPRIM_400000_NS6detail17trampoline_kernelINS0_14default_configENS1_32segmented_reduce_config_selectorIfEEZNS1_21segmented_reduce_implIS3_PKfPfPKlfN6hipcub16HIPCUB_304000_NS6detail27convert_result_type_wrapperIS8_S9_N2at6native12_GLOBAL__N_19CustomMaxEEEEE10hipError_tPvRmT0_T1_jT2_SQ_T4_T3_P12ihipStream_tbEUlT_E_NS1_11comp_targetILNS1_3genE0ELNS1_11target_archE4294967295ELNS1_3gpuE0ELNS1_3repE0EEENS1_30default_config_static_selectorELNS0_4arch9wavefront6targetE0EEEvSP_,comdat
.Lfunc_end179:
	.size	_ZN7rocprim17ROCPRIM_400000_NS6detail17trampoline_kernelINS0_14default_configENS1_32segmented_reduce_config_selectorIfEEZNS1_21segmented_reduce_implIS3_PKfPfPKlfN6hipcub16HIPCUB_304000_NS6detail27convert_result_type_wrapperIS8_S9_N2at6native12_GLOBAL__N_19CustomMaxEEEEE10hipError_tPvRmT0_T1_jT2_SQ_T4_T3_P12ihipStream_tbEUlT_E_NS1_11comp_targetILNS1_3genE0ELNS1_11target_archE4294967295ELNS1_3gpuE0ELNS1_3repE0EEENS1_30default_config_static_selectorELNS0_4arch9wavefront6targetE0EEEvSP_, .Lfunc_end179-_ZN7rocprim17ROCPRIM_400000_NS6detail17trampoline_kernelINS0_14default_configENS1_32segmented_reduce_config_selectorIfEEZNS1_21segmented_reduce_implIS3_PKfPfPKlfN6hipcub16HIPCUB_304000_NS6detail27convert_result_type_wrapperIS8_S9_N2at6native12_GLOBAL__N_19CustomMaxEEEEE10hipError_tPvRmT0_T1_jT2_SQ_T4_T3_P12ihipStream_tbEUlT_E_NS1_11comp_targetILNS1_3genE0ELNS1_11target_archE4294967295ELNS1_3gpuE0ELNS1_3repE0EEENS1_30default_config_static_selectorELNS0_4arch9wavefront6targetE0EEEvSP_
                                        ; -- End function
	.set _ZN7rocprim17ROCPRIM_400000_NS6detail17trampoline_kernelINS0_14default_configENS1_32segmented_reduce_config_selectorIfEEZNS1_21segmented_reduce_implIS3_PKfPfPKlfN6hipcub16HIPCUB_304000_NS6detail27convert_result_type_wrapperIS8_S9_N2at6native12_GLOBAL__N_19CustomMaxEEEEE10hipError_tPvRmT0_T1_jT2_SQ_T4_T3_P12ihipStream_tbEUlT_E_NS1_11comp_targetILNS1_3genE0ELNS1_11target_archE4294967295ELNS1_3gpuE0ELNS1_3repE0EEENS1_30default_config_static_selectorELNS0_4arch9wavefront6targetE0EEEvSP_.num_vgpr, 0
	.set _ZN7rocprim17ROCPRIM_400000_NS6detail17trampoline_kernelINS0_14default_configENS1_32segmented_reduce_config_selectorIfEEZNS1_21segmented_reduce_implIS3_PKfPfPKlfN6hipcub16HIPCUB_304000_NS6detail27convert_result_type_wrapperIS8_S9_N2at6native12_GLOBAL__N_19CustomMaxEEEEE10hipError_tPvRmT0_T1_jT2_SQ_T4_T3_P12ihipStream_tbEUlT_E_NS1_11comp_targetILNS1_3genE0ELNS1_11target_archE4294967295ELNS1_3gpuE0ELNS1_3repE0EEENS1_30default_config_static_selectorELNS0_4arch9wavefront6targetE0EEEvSP_.num_agpr, 0
	.set _ZN7rocprim17ROCPRIM_400000_NS6detail17trampoline_kernelINS0_14default_configENS1_32segmented_reduce_config_selectorIfEEZNS1_21segmented_reduce_implIS3_PKfPfPKlfN6hipcub16HIPCUB_304000_NS6detail27convert_result_type_wrapperIS8_S9_N2at6native12_GLOBAL__N_19CustomMaxEEEEE10hipError_tPvRmT0_T1_jT2_SQ_T4_T3_P12ihipStream_tbEUlT_E_NS1_11comp_targetILNS1_3genE0ELNS1_11target_archE4294967295ELNS1_3gpuE0ELNS1_3repE0EEENS1_30default_config_static_selectorELNS0_4arch9wavefront6targetE0EEEvSP_.numbered_sgpr, 0
	.set _ZN7rocprim17ROCPRIM_400000_NS6detail17trampoline_kernelINS0_14default_configENS1_32segmented_reduce_config_selectorIfEEZNS1_21segmented_reduce_implIS3_PKfPfPKlfN6hipcub16HIPCUB_304000_NS6detail27convert_result_type_wrapperIS8_S9_N2at6native12_GLOBAL__N_19CustomMaxEEEEE10hipError_tPvRmT0_T1_jT2_SQ_T4_T3_P12ihipStream_tbEUlT_E_NS1_11comp_targetILNS1_3genE0ELNS1_11target_archE4294967295ELNS1_3gpuE0ELNS1_3repE0EEENS1_30default_config_static_selectorELNS0_4arch9wavefront6targetE0EEEvSP_.num_named_barrier, 0
	.set _ZN7rocprim17ROCPRIM_400000_NS6detail17trampoline_kernelINS0_14default_configENS1_32segmented_reduce_config_selectorIfEEZNS1_21segmented_reduce_implIS3_PKfPfPKlfN6hipcub16HIPCUB_304000_NS6detail27convert_result_type_wrapperIS8_S9_N2at6native12_GLOBAL__N_19CustomMaxEEEEE10hipError_tPvRmT0_T1_jT2_SQ_T4_T3_P12ihipStream_tbEUlT_E_NS1_11comp_targetILNS1_3genE0ELNS1_11target_archE4294967295ELNS1_3gpuE0ELNS1_3repE0EEENS1_30default_config_static_selectorELNS0_4arch9wavefront6targetE0EEEvSP_.private_seg_size, 0
	.set _ZN7rocprim17ROCPRIM_400000_NS6detail17trampoline_kernelINS0_14default_configENS1_32segmented_reduce_config_selectorIfEEZNS1_21segmented_reduce_implIS3_PKfPfPKlfN6hipcub16HIPCUB_304000_NS6detail27convert_result_type_wrapperIS8_S9_N2at6native12_GLOBAL__N_19CustomMaxEEEEE10hipError_tPvRmT0_T1_jT2_SQ_T4_T3_P12ihipStream_tbEUlT_E_NS1_11comp_targetILNS1_3genE0ELNS1_11target_archE4294967295ELNS1_3gpuE0ELNS1_3repE0EEENS1_30default_config_static_selectorELNS0_4arch9wavefront6targetE0EEEvSP_.uses_vcc, 0
	.set _ZN7rocprim17ROCPRIM_400000_NS6detail17trampoline_kernelINS0_14default_configENS1_32segmented_reduce_config_selectorIfEEZNS1_21segmented_reduce_implIS3_PKfPfPKlfN6hipcub16HIPCUB_304000_NS6detail27convert_result_type_wrapperIS8_S9_N2at6native12_GLOBAL__N_19CustomMaxEEEEE10hipError_tPvRmT0_T1_jT2_SQ_T4_T3_P12ihipStream_tbEUlT_E_NS1_11comp_targetILNS1_3genE0ELNS1_11target_archE4294967295ELNS1_3gpuE0ELNS1_3repE0EEENS1_30default_config_static_selectorELNS0_4arch9wavefront6targetE0EEEvSP_.uses_flat_scratch, 0
	.set _ZN7rocprim17ROCPRIM_400000_NS6detail17trampoline_kernelINS0_14default_configENS1_32segmented_reduce_config_selectorIfEEZNS1_21segmented_reduce_implIS3_PKfPfPKlfN6hipcub16HIPCUB_304000_NS6detail27convert_result_type_wrapperIS8_S9_N2at6native12_GLOBAL__N_19CustomMaxEEEEE10hipError_tPvRmT0_T1_jT2_SQ_T4_T3_P12ihipStream_tbEUlT_E_NS1_11comp_targetILNS1_3genE0ELNS1_11target_archE4294967295ELNS1_3gpuE0ELNS1_3repE0EEENS1_30default_config_static_selectorELNS0_4arch9wavefront6targetE0EEEvSP_.has_dyn_sized_stack, 0
	.set _ZN7rocprim17ROCPRIM_400000_NS6detail17trampoline_kernelINS0_14default_configENS1_32segmented_reduce_config_selectorIfEEZNS1_21segmented_reduce_implIS3_PKfPfPKlfN6hipcub16HIPCUB_304000_NS6detail27convert_result_type_wrapperIS8_S9_N2at6native12_GLOBAL__N_19CustomMaxEEEEE10hipError_tPvRmT0_T1_jT2_SQ_T4_T3_P12ihipStream_tbEUlT_E_NS1_11comp_targetILNS1_3genE0ELNS1_11target_archE4294967295ELNS1_3gpuE0ELNS1_3repE0EEENS1_30default_config_static_selectorELNS0_4arch9wavefront6targetE0EEEvSP_.has_recursion, 0
	.set _ZN7rocprim17ROCPRIM_400000_NS6detail17trampoline_kernelINS0_14default_configENS1_32segmented_reduce_config_selectorIfEEZNS1_21segmented_reduce_implIS3_PKfPfPKlfN6hipcub16HIPCUB_304000_NS6detail27convert_result_type_wrapperIS8_S9_N2at6native12_GLOBAL__N_19CustomMaxEEEEE10hipError_tPvRmT0_T1_jT2_SQ_T4_T3_P12ihipStream_tbEUlT_E_NS1_11comp_targetILNS1_3genE0ELNS1_11target_archE4294967295ELNS1_3gpuE0ELNS1_3repE0EEENS1_30default_config_static_selectorELNS0_4arch9wavefront6targetE0EEEvSP_.has_indirect_call, 0
	.section	.AMDGPU.csdata,"",@progbits
; Kernel info:
; codeLenInByte = 0
; TotalNumSgprs: 0
; NumVgprs: 0
; ScratchSize: 0
; MemoryBound: 0
; FloatMode: 240
; IeeeMode: 1
; LDSByteSize: 0 bytes/workgroup (compile time only)
; SGPRBlocks: 0
; VGPRBlocks: 0
; NumSGPRsForWavesPerEU: 1
; NumVGPRsForWavesPerEU: 1
; Occupancy: 16
; WaveLimiterHint : 0
; COMPUTE_PGM_RSRC2:SCRATCH_EN: 0
; COMPUTE_PGM_RSRC2:USER_SGPR: 6
; COMPUTE_PGM_RSRC2:TRAP_HANDLER: 0
; COMPUTE_PGM_RSRC2:TGID_X_EN: 1
; COMPUTE_PGM_RSRC2:TGID_Y_EN: 0
; COMPUTE_PGM_RSRC2:TGID_Z_EN: 0
; COMPUTE_PGM_RSRC2:TIDIG_COMP_CNT: 0
	.section	.text._ZN7rocprim17ROCPRIM_400000_NS6detail17trampoline_kernelINS0_14default_configENS1_32segmented_reduce_config_selectorIfEEZNS1_21segmented_reduce_implIS3_PKfPfPKlfN6hipcub16HIPCUB_304000_NS6detail27convert_result_type_wrapperIS8_S9_N2at6native12_GLOBAL__N_19CustomMaxEEEEE10hipError_tPvRmT0_T1_jT2_SQ_T4_T3_P12ihipStream_tbEUlT_E_NS1_11comp_targetILNS1_3genE5ELNS1_11target_archE942ELNS1_3gpuE9ELNS1_3repE0EEENS1_30default_config_static_selectorELNS0_4arch9wavefront6targetE0EEEvSP_,"axG",@progbits,_ZN7rocprim17ROCPRIM_400000_NS6detail17trampoline_kernelINS0_14default_configENS1_32segmented_reduce_config_selectorIfEEZNS1_21segmented_reduce_implIS3_PKfPfPKlfN6hipcub16HIPCUB_304000_NS6detail27convert_result_type_wrapperIS8_S9_N2at6native12_GLOBAL__N_19CustomMaxEEEEE10hipError_tPvRmT0_T1_jT2_SQ_T4_T3_P12ihipStream_tbEUlT_E_NS1_11comp_targetILNS1_3genE5ELNS1_11target_archE942ELNS1_3gpuE9ELNS1_3repE0EEENS1_30default_config_static_selectorELNS0_4arch9wavefront6targetE0EEEvSP_,comdat
	.globl	_ZN7rocprim17ROCPRIM_400000_NS6detail17trampoline_kernelINS0_14default_configENS1_32segmented_reduce_config_selectorIfEEZNS1_21segmented_reduce_implIS3_PKfPfPKlfN6hipcub16HIPCUB_304000_NS6detail27convert_result_type_wrapperIS8_S9_N2at6native12_GLOBAL__N_19CustomMaxEEEEE10hipError_tPvRmT0_T1_jT2_SQ_T4_T3_P12ihipStream_tbEUlT_E_NS1_11comp_targetILNS1_3genE5ELNS1_11target_archE942ELNS1_3gpuE9ELNS1_3repE0EEENS1_30default_config_static_selectorELNS0_4arch9wavefront6targetE0EEEvSP_ ; -- Begin function _ZN7rocprim17ROCPRIM_400000_NS6detail17trampoline_kernelINS0_14default_configENS1_32segmented_reduce_config_selectorIfEEZNS1_21segmented_reduce_implIS3_PKfPfPKlfN6hipcub16HIPCUB_304000_NS6detail27convert_result_type_wrapperIS8_S9_N2at6native12_GLOBAL__N_19CustomMaxEEEEE10hipError_tPvRmT0_T1_jT2_SQ_T4_T3_P12ihipStream_tbEUlT_E_NS1_11comp_targetILNS1_3genE5ELNS1_11target_archE942ELNS1_3gpuE9ELNS1_3repE0EEENS1_30default_config_static_selectorELNS0_4arch9wavefront6targetE0EEEvSP_
	.p2align	8
	.type	_ZN7rocprim17ROCPRIM_400000_NS6detail17trampoline_kernelINS0_14default_configENS1_32segmented_reduce_config_selectorIfEEZNS1_21segmented_reduce_implIS3_PKfPfPKlfN6hipcub16HIPCUB_304000_NS6detail27convert_result_type_wrapperIS8_S9_N2at6native12_GLOBAL__N_19CustomMaxEEEEE10hipError_tPvRmT0_T1_jT2_SQ_T4_T3_P12ihipStream_tbEUlT_E_NS1_11comp_targetILNS1_3genE5ELNS1_11target_archE942ELNS1_3gpuE9ELNS1_3repE0EEENS1_30default_config_static_selectorELNS0_4arch9wavefront6targetE0EEEvSP_,@function
_ZN7rocprim17ROCPRIM_400000_NS6detail17trampoline_kernelINS0_14default_configENS1_32segmented_reduce_config_selectorIfEEZNS1_21segmented_reduce_implIS3_PKfPfPKlfN6hipcub16HIPCUB_304000_NS6detail27convert_result_type_wrapperIS8_S9_N2at6native12_GLOBAL__N_19CustomMaxEEEEE10hipError_tPvRmT0_T1_jT2_SQ_T4_T3_P12ihipStream_tbEUlT_E_NS1_11comp_targetILNS1_3genE5ELNS1_11target_archE942ELNS1_3gpuE9ELNS1_3repE0EEENS1_30default_config_static_selectorELNS0_4arch9wavefront6targetE0EEEvSP_: ; @_ZN7rocprim17ROCPRIM_400000_NS6detail17trampoline_kernelINS0_14default_configENS1_32segmented_reduce_config_selectorIfEEZNS1_21segmented_reduce_implIS3_PKfPfPKlfN6hipcub16HIPCUB_304000_NS6detail27convert_result_type_wrapperIS8_S9_N2at6native12_GLOBAL__N_19CustomMaxEEEEE10hipError_tPvRmT0_T1_jT2_SQ_T4_T3_P12ihipStream_tbEUlT_E_NS1_11comp_targetILNS1_3genE5ELNS1_11target_archE942ELNS1_3gpuE9ELNS1_3repE0EEENS1_30default_config_static_selectorELNS0_4arch9wavefront6targetE0EEEvSP_
; %bb.0:
	.section	.rodata,"a",@progbits
	.p2align	6, 0x0
	.amdhsa_kernel _ZN7rocprim17ROCPRIM_400000_NS6detail17trampoline_kernelINS0_14default_configENS1_32segmented_reduce_config_selectorIfEEZNS1_21segmented_reduce_implIS3_PKfPfPKlfN6hipcub16HIPCUB_304000_NS6detail27convert_result_type_wrapperIS8_S9_N2at6native12_GLOBAL__N_19CustomMaxEEEEE10hipError_tPvRmT0_T1_jT2_SQ_T4_T3_P12ihipStream_tbEUlT_E_NS1_11comp_targetILNS1_3genE5ELNS1_11target_archE942ELNS1_3gpuE9ELNS1_3repE0EEENS1_30default_config_static_selectorELNS0_4arch9wavefront6targetE0EEEvSP_
		.amdhsa_group_segment_fixed_size 0
		.amdhsa_private_segment_fixed_size 0
		.amdhsa_kernarg_size 48
		.amdhsa_user_sgpr_count 6
		.amdhsa_user_sgpr_private_segment_buffer 1
		.amdhsa_user_sgpr_dispatch_ptr 0
		.amdhsa_user_sgpr_queue_ptr 0
		.amdhsa_user_sgpr_kernarg_segment_ptr 1
		.amdhsa_user_sgpr_dispatch_id 0
		.amdhsa_user_sgpr_flat_scratch_init 0
		.amdhsa_user_sgpr_private_segment_size 0
		.amdhsa_wavefront_size32 1
		.amdhsa_uses_dynamic_stack 0
		.amdhsa_system_sgpr_private_segment_wavefront_offset 0
		.amdhsa_system_sgpr_workgroup_id_x 1
		.amdhsa_system_sgpr_workgroup_id_y 0
		.amdhsa_system_sgpr_workgroup_id_z 0
		.amdhsa_system_sgpr_workgroup_info 0
		.amdhsa_system_vgpr_workitem_id 0
		.amdhsa_next_free_vgpr 1
		.amdhsa_next_free_sgpr 1
		.amdhsa_reserve_vcc 0
		.amdhsa_reserve_flat_scratch 0
		.amdhsa_float_round_mode_32 0
		.amdhsa_float_round_mode_16_64 0
		.amdhsa_float_denorm_mode_32 3
		.amdhsa_float_denorm_mode_16_64 3
		.amdhsa_dx10_clamp 1
		.amdhsa_ieee_mode 1
		.amdhsa_fp16_overflow 0
		.amdhsa_workgroup_processor_mode 1
		.amdhsa_memory_ordered 1
		.amdhsa_forward_progress 1
		.amdhsa_shared_vgpr_count 0
		.amdhsa_exception_fp_ieee_invalid_op 0
		.amdhsa_exception_fp_denorm_src 0
		.amdhsa_exception_fp_ieee_div_zero 0
		.amdhsa_exception_fp_ieee_overflow 0
		.amdhsa_exception_fp_ieee_underflow 0
		.amdhsa_exception_fp_ieee_inexact 0
		.amdhsa_exception_int_div_zero 0
	.end_amdhsa_kernel
	.section	.text._ZN7rocprim17ROCPRIM_400000_NS6detail17trampoline_kernelINS0_14default_configENS1_32segmented_reduce_config_selectorIfEEZNS1_21segmented_reduce_implIS3_PKfPfPKlfN6hipcub16HIPCUB_304000_NS6detail27convert_result_type_wrapperIS8_S9_N2at6native12_GLOBAL__N_19CustomMaxEEEEE10hipError_tPvRmT0_T1_jT2_SQ_T4_T3_P12ihipStream_tbEUlT_E_NS1_11comp_targetILNS1_3genE5ELNS1_11target_archE942ELNS1_3gpuE9ELNS1_3repE0EEENS1_30default_config_static_selectorELNS0_4arch9wavefront6targetE0EEEvSP_,"axG",@progbits,_ZN7rocprim17ROCPRIM_400000_NS6detail17trampoline_kernelINS0_14default_configENS1_32segmented_reduce_config_selectorIfEEZNS1_21segmented_reduce_implIS3_PKfPfPKlfN6hipcub16HIPCUB_304000_NS6detail27convert_result_type_wrapperIS8_S9_N2at6native12_GLOBAL__N_19CustomMaxEEEEE10hipError_tPvRmT0_T1_jT2_SQ_T4_T3_P12ihipStream_tbEUlT_E_NS1_11comp_targetILNS1_3genE5ELNS1_11target_archE942ELNS1_3gpuE9ELNS1_3repE0EEENS1_30default_config_static_selectorELNS0_4arch9wavefront6targetE0EEEvSP_,comdat
.Lfunc_end180:
	.size	_ZN7rocprim17ROCPRIM_400000_NS6detail17trampoline_kernelINS0_14default_configENS1_32segmented_reduce_config_selectorIfEEZNS1_21segmented_reduce_implIS3_PKfPfPKlfN6hipcub16HIPCUB_304000_NS6detail27convert_result_type_wrapperIS8_S9_N2at6native12_GLOBAL__N_19CustomMaxEEEEE10hipError_tPvRmT0_T1_jT2_SQ_T4_T3_P12ihipStream_tbEUlT_E_NS1_11comp_targetILNS1_3genE5ELNS1_11target_archE942ELNS1_3gpuE9ELNS1_3repE0EEENS1_30default_config_static_selectorELNS0_4arch9wavefront6targetE0EEEvSP_, .Lfunc_end180-_ZN7rocprim17ROCPRIM_400000_NS6detail17trampoline_kernelINS0_14default_configENS1_32segmented_reduce_config_selectorIfEEZNS1_21segmented_reduce_implIS3_PKfPfPKlfN6hipcub16HIPCUB_304000_NS6detail27convert_result_type_wrapperIS8_S9_N2at6native12_GLOBAL__N_19CustomMaxEEEEE10hipError_tPvRmT0_T1_jT2_SQ_T4_T3_P12ihipStream_tbEUlT_E_NS1_11comp_targetILNS1_3genE5ELNS1_11target_archE942ELNS1_3gpuE9ELNS1_3repE0EEENS1_30default_config_static_selectorELNS0_4arch9wavefront6targetE0EEEvSP_
                                        ; -- End function
	.set _ZN7rocprim17ROCPRIM_400000_NS6detail17trampoline_kernelINS0_14default_configENS1_32segmented_reduce_config_selectorIfEEZNS1_21segmented_reduce_implIS3_PKfPfPKlfN6hipcub16HIPCUB_304000_NS6detail27convert_result_type_wrapperIS8_S9_N2at6native12_GLOBAL__N_19CustomMaxEEEEE10hipError_tPvRmT0_T1_jT2_SQ_T4_T3_P12ihipStream_tbEUlT_E_NS1_11comp_targetILNS1_3genE5ELNS1_11target_archE942ELNS1_3gpuE9ELNS1_3repE0EEENS1_30default_config_static_selectorELNS0_4arch9wavefront6targetE0EEEvSP_.num_vgpr, 0
	.set _ZN7rocprim17ROCPRIM_400000_NS6detail17trampoline_kernelINS0_14default_configENS1_32segmented_reduce_config_selectorIfEEZNS1_21segmented_reduce_implIS3_PKfPfPKlfN6hipcub16HIPCUB_304000_NS6detail27convert_result_type_wrapperIS8_S9_N2at6native12_GLOBAL__N_19CustomMaxEEEEE10hipError_tPvRmT0_T1_jT2_SQ_T4_T3_P12ihipStream_tbEUlT_E_NS1_11comp_targetILNS1_3genE5ELNS1_11target_archE942ELNS1_3gpuE9ELNS1_3repE0EEENS1_30default_config_static_selectorELNS0_4arch9wavefront6targetE0EEEvSP_.num_agpr, 0
	.set _ZN7rocprim17ROCPRIM_400000_NS6detail17trampoline_kernelINS0_14default_configENS1_32segmented_reduce_config_selectorIfEEZNS1_21segmented_reduce_implIS3_PKfPfPKlfN6hipcub16HIPCUB_304000_NS6detail27convert_result_type_wrapperIS8_S9_N2at6native12_GLOBAL__N_19CustomMaxEEEEE10hipError_tPvRmT0_T1_jT2_SQ_T4_T3_P12ihipStream_tbEUlT_E_NS1_11comp_targetILNS1_3genE5ELNS1_11target_archE942ELNS1_3gpuE9ELNS1_3repE0EEENS1_30default_config_static_selectorELNS0_4arch9wavefront6targetE0EEEvSP_.numbered_sgpr, 0
	.set _ZN7rocprim17ROCPRIM_400000_NS6detail17trampoline_kernelINS0_14default_configENS1_32segmented_reduce_config_selectorIfEEZNS1_21segmented_reduce_implIS3_PKfPfPKlfN6hipcub16HIPCUB_304000_NS6detail27convert_result_type_wrapperIS8_S9_N2at6native12_GLOBAL__N_19CustomMaxEEEEE10hipError_tPvRmT0_T1_jT2_SQ_T4_T3_P12ihipStream_tbEUlT_E_NS1_11comp_targetILNS1_3genE5ELNS1_11target_archE942ELNS1_3gpuE9ELNS1_3repE0EEENS1_30default_config_static_selectorELNS0_4arch9wavefront6targetE0EEEvSP_.num_named_barrier, 0
	.set _ZN7rocprim17ROCPRIM_400000_NS6detail17trampoline_kernelINS0_14default_configENS1_32segmented_reduce_config_selectorIfEEZNS1_21segmented_reduce_implIS3_PKfPfPKlfN6hipcub16HIPCUB_304000_NS6detail27convert_result_type_wrapperIS8_S9_N2at6native12_GLOBAL__N_19CustomMaxEEEEE10hipError_tPvRmT0_T1_jT2_SQ_T4_T3_P12ihipStream_tbEUlT_E_NS1_11comp_targetILNS1_3genE5ELNS1_11target_archE942ELNS1_3gpuE9ELNS1_3repE0EEENS1_30default_config_static_selectorELNS0_4arch9wavefront6targetE0EEEvSP_.private_seg_size, 0
	.set _ZN7rocprim17ROCPRIM_400000_NS6detail17trampoline_kernelINS0_14default_configENS1_32segmented_reduce_config_selectorIfEEZNS1_21segmented_reduce_implIS3_PKfPfPKlfN6hipcub16HIPCUB_304000_NS6detail27convert_result_type_wrapperIS8_S9_N2at6native12_GLOBAL__N_19CustomMaxEEEEE10hipError_tPvRmT0_T1_jT2_SQ_T4_T3_P12ihipStream_tbEUlT_E_NS1_11comp_targetILNS1_3genE5ELNS1_11target_archE942ELNS1_3gpuE9ELNS1_3repE0EEENS1_30default_config_static_selectorELNS0_4arch9wavefront6targetE0EEEvSP_.uses_vcc, 0
	.set _ZN7rocprim17ROCPRIM_400000_NS6detail17trampoline_kernelINS0_14default_configENS1_32segmented_reduce_config_selectorIfEEZNS1_21segmented_reduce_implIS3_PKfPfPKlfN6hipcub16HIPCUB_304000_NS6detail27convert_result_type_wrapperIS8_S9_N2at6native12_GLOBAL__N_19CustomMaxEEEEE10hipError_tPvRmT0_T1_jT2_SQ_T4_T3_P12ihipStream_tbEUlT_E_NS1_11comp_targetILNS1_3genE5ELNS1_11target_archE942ELNS1_3gpuE9ELNS1_3repE0EEENS1_30default_config_static_selectorELNS0_4arch9wavefront6targetE0EEEvSP_.uses_flat_scratch, 0
	.set _ZN7rocprim17ROCPRIM_400000_NS6detail17trampoline_kernelINS0_14default_configENS1_32segmented_reduce_config_selectorIfEEZNS1_21segmented_reduce_implIS3_PKfPfPKlfN6hipcub16HIPCUB_304000_NS6detail27convert_result_type_wrapperIS8_S9_N2at6native12_GLOBAL__N_19CustomMaxEEEEE10hipError_tPvRmT0_T1_jT2_SQ_T4_T3_P12ihipStream_tbEUlT_E_NS1_11comp_targetILNS1_3genE5ELNS1_11target_archE942ELNS1_3gpuE9ELNS1_3repE0EEENS1_30default_config_static_selectorELNS0_4arch9wavefront6targetE0EEEvSP_.has_dyn_sized_stack, 0
	.set _ZN7rocprim17ROCPRIM_400000_NS6detail17trampoline_kernelINS0_14default_configENS1_32segmented_reduce_config_selectorIfEEZNS1_21segmented_reduce_implIS3_PKfPfPKlfN6hipcub16HIPCUB_304000_NS6detail27convert_result_type_wrapperIS8_S9_N2at6native12_GLOBAL__N_19CustomMaxEEEEE10hipError_tPvRmT0_T1_jT2_SQ_T4_T3_P12ihipStream_tbEUlT_E_NS1_11comp_targetILNS1_3genE5ELNS1_11target_archE942ELNS1_3gpuE9ELNS1_3repE0EEENS1_30default_config_static_selectorELNS0_4arch9wavefront6targetE0EEEvSP_.has_recursion, 0
	.set _ZN7rocprim17ROCPRIM_400000_NS6detail17trampoline_kernelINS0_14default_configENS1_32segmented_reduce_config_selectorIfEEZNS1_21segmented_reduce_implIS3_PKfPfPKlfN6hipcub16HIPCUB_304000_NS6detail27convert_result_type_wrapperIS8_S9_N2at6native12_GLOBAL__N_19CustomMaxEEEEE10hipError_tPvRmT0_T1_jT2_SQ_T4_T3_P12ihipStream_tbEUlT_E_NS1_11comp_targetILNS1_3genE5ELNS1_11target_archE942ELNS1_3gpuE9ELNS1_3repE0EEENS1_30default_config_static_selectorELNS0_4arch9wavefront6targetE0EEEvSP_.has_indirect_call, 0
	.section	.AMDGPU.csdata,"",@progbits
; Kernel info:
; codeLenInByte = 0
; TotalNumSgprs: 0
; NumVgprs: 0
; ScratchSize: 0
; MemoryBound: 0
; FloatMode: 240
; IeeeMode: 1
; LDSByteSize: 0 bytes/workgroup (compile time only)
; SGPRBlocks: 0
; VGPRBlocks: 0
; NumSGPRsForWavesPerEU: 1
; NumVGPRsForWavesPerEU: 1
; Occupancy: 16
; WaveLimiterHint : 0
; COMPUTE_PGM_RSRC2:SCRATCH_EN: 0
; COMPUTE_PGM_RSRC2:USER_SGPR: 6
; COMPUTE_PGM_RSRC2:TRAP_HANDLER: 0
; COMPUTE_PGM_RSRC2:TGID_X_EN: 1
; COMPUTE_PGM_RSRC2:TGID_Y_EN: 0
; COMPUTE_PGM_RSRC2:TGID_Z_EN: 0
; COMPUTE_PGM_RSRC2:TIDIG_COMP_CNT: 0
	.section	.text._ZN7rocprim17ROCPRIM_400000_NS6detail17trampoline_kernelINS0_14default_configENS1_32segmented_reduce_config_selectorIfEEZNS1_21segmented_reduce_implIS3_PKfPfPKlfN6hipcub16HIPCUB_304000_NS6detail27convert_result_type_wrapperIS8_S9_N2at6native12_GLOBAL__N_19CustomMaxEEEEE10hipError_tPvRmT0_T1_jT2_SQ_T4_T3_P12ihipStream_tbEUlT_E_NS1_11comp_targetILNS1_3genE10ELNS1_11target_archE1201ELNS1_3gpuE5ELNS1_3repE0EEENS1_30default_config_static_selectorELNS0_4arch9wavefront6targetE0EEEvSP_,"axG",@progbits,_ZN7rocprim17ROCPRIM_400000_NS6detail17trampoline_kernelINS0_14default_configENS1_32segmented_reduce_config_selectorIfEEZNS1_21segmented_reduce_implIS3_PKfPfPKlfN6hipcub16HIPCUB_304000_NS6detail27convert_result_type_wrapperIS8_S9_N2at6native12_GLOBAL__N_19CustomMaxEEEEE10hipError_tPvRmT0_T1_jT2_SQ_T4_T3_P12ihipStream_tbEUlT_E_NS1_11comp_targetILNS1_3genE10ELNS1_11target_archE1201ELNS1_3gpuE5ELNS1_3repE0EEENS1_30default_config_static_selectorELNS0_4arch9wavefront6targetE0EEEvSP_,comdat
	.globl	_ZN7rocprim17ROCPRIM_400000_NS6detail17trampoline_kernelINS0_14default_configENS1_32segmented_reduce_config_selectorIfEEZNS1_21segmented_reduce_implIS3_PKfPfPKlfN6hipcub16HIPCUB_304000_NS6detail27convert_result_type_wrapperIS8_S9_N2at6native12_GLOBAL__N_19CustomMaxEEEEE10hipError_tPvRmT0_T1_jT2_SQ_T4_T3_P12ihipStream_tbEUlT_E_NS1_11comp_targetILNS1_3genE10ELNS1_11target_archE1201ELNS1_3gpuE5ELNS1_3repE0EEENS1_30default_config_static_selectorELNS0_4arch9wavefront6targetE0EEEvSP_ ; -- Begin function _ZN7rocprim17ROCPRIM_400000_NS6detail17trampoline_kernelINS0_14default_configENS1_32segmented_reduce_config_selectorIfEEZNS1_21segmented_reduce_implIS3_PKfPfPKlfN6hipcub16HIPCUB_304000_NS6detail27convert_result_type_wrapperIS8_S9_N2at6native12_GLOBAL__N_19CustomMaxEEEEE10hipError_tPvRmT0_T1_jT2_SQ_T4_T3_P12ihipStream_tbEUlT_E_NS1_11comp_targetILNS1_3genE10ELNS1_11target_archE1201ELNS1_3gpuE5ELNS1_3repE0EEENS1_30default_config_static_selectorELNS0_4arch9wavefront6targetE0EEEvSP_
	.p2align	8
	.type	_ZN7rocprim17ROCPRIM_400000_NS6detail17trampoline_kernelINS0_14default_configENS1_32segmented_reduce_config_selectorIfEEZNS1_21segmented_reduce_implIS3_PKfPfPKlfN6hipcub16HIPCUB_304000_NS6detail27convert_result_type_wrapperIS8_S9_N2at6native12_GLOBAL__N_19CustomMaxEEEEE10hipError_tPvRmT0_T1_jT2_SQ_T4_T3_P12ihipStream_tbEUlT_E_NS1_11comp_targetILNS1_3genE10ELNS1_11target_archE1201ELNS1_3gpuE5ELNS1_3repE0EEENS1_30default_config_static_selectorELNS0_4arch9wavefront6targetE0EEEvSP_,@function
_ZN7rocprim17ROCPRIM_400000_NS6detail17trampoline_kernelINS0_14default_configENS1_32segmented_reduce_config_selectorIfEEZNS1_21segmented_reduce_implIS3_PKfPfPKlfN6hipcub16HIPCUB_304000_NS6detail27convert_result_type_wrapperIS8_S9_N2at6native12_GLOBAL__N_19CustomMaxEEEEE10hipError_tPvRmT0_T1_jT2_SQ_T4_T3_P12ihipStream_tbEUlT_E_NS1_11comp_targetILNS1_3genE10ELNS1_11target_archE1201ELNS1_3gpuE5ELNS1_3repE0EEENS1_30default_config_static_selectorELNS0_4arch9wavefront6targetE0EEEvSP_: ; @_ZN7rocprim17ROCPRIM_400000_NS6detail17trampoline_kernelINS0_14default_configENS1_32segmented_reduce_config_selectorIfEEZNS1_21segmented_reduce_implIS3_PKfPfPKlfN6hipcub16HIPCUB_304000_NS6detail27convert_result_type_wrapperIS8_S9_N2at6native12_GLOBAL__N_19CustomMaxEEEEE10hipError_tPvRmT0_T1_jT2_SQ_T4_T3_P12ihipStream_tbEUlT_E_NS1_11comp_targetILNS1_3genE10ELNS1_11target_archE1201ELNS1_3gpuE5ELNS1_3repE0EEENS1_30default_config_static_selectorELNS0_4arch9wavefront6targetE0EEEvSP_
; %bb.0:
	.section	.rodata,"a",@progbits
	.p2align	6, 0x0
	.amdhsa_kernel _ZN7rocprim17ROCPRIM_400000_NS6detail17trampoline_kernelINS0_14default_configENS1_32segmented_reduce_config_selectorIfEEZNS1_21segmented_reduce_implIS3_PKfPfPKlfN6hipcub16HIPCUB_304000_NS6detail27convert_result_type_wrapperIS8_S9_N2at6native12_GLOBAL__N_19CustomMaxEEEEE10hipError_tPvRmT0_T1_jT2_SQ_T4_T3_P12ihipStream_tbEUlT_E_NS1_11comp_targetILNS1_3genE10ELNS1_11target_archE1201ELNS1_3gpuE5ELNS1_3repE0EEENS1_30default_config_static_selectorELNS0_4arch9wavefront6targetE0EEEvSP_
		.amdhsa_group_segment_fixed_size 0
		.amdhsa_private_segment_fixed_size 0
		.amdhsa_kernarg_size 48
		.amdhsa_user_sgpr_count 6
		.amdhsa_user_sgpr_private_segment_buffer 1
		.amdhsa_user_sgpr_dispatch_ptr 0
		.amdhsa_user_sgpr_queue_ptr 0
		.amdhsa_user_sgpr_kernarg_segment_ptr 1
		.amdhsa_user_sgpr_dispatch_id 0
		.amdhsa_user_sgpr_flat_scratch_init 0
		.amdhsa_user_sgpr_private_segment_size 0
		.amdhsa_wavefront_size32 1
		.amdhsa_uses_dynamic_stack 0
		.amdhsa_system_sgpr_private_segment_wavefront_offset 0
		.amdhsa_system_sgpr_workgroup_id_x 1
		.amdhsa_system_sgpr_workgroup_id_y 0
		.amdhsa_system_sgpr_workgroup_id_z 0
		.amdhsa_system_sgpr_workgroup_info 0
		.amdhsa_system_vgpr_workitem_id 0
		.amdhsa_next_free_vgpr 1
		.amdhsa_next_free_sgpr 1
		.amdhsa_reserve_vcc 0
		.amdhsa_reserve_flat_scratch 0
		.amdhsa_float_round_mode_32 0
		.amdhsa_float_round_mode_16_64 0
		.amdhsa_float_denorm_mode_32 3
		.amdhsa_float_denorm_mode_16_64 3
		.amdhsa_dx10_clamp 1
		.amdhsa_ieee_mode 1
		.amdhsa_fp16_overflow 0
		.amdhsa_workgroup_processor_mode 1
		.amdhsa_memory_ordered 1
		.amdhsa_forward_progress 1
		.amdhsa_shared_vgpr_count 0
		.amdhsa_exception_fp_ieee_invalid_op 0
		.amdhsa_exception_fp_denorm_src 0
		.amdhsa_exception_fp_ieee_div_zero 0
		.amdhsa_exception_fp_ieee_overflow 0
		.amdhsa_exception_fp_ieee_underflow 0
		.amdhsa_exception_fp_ieee_inexact 0
		.amdhsa_exception_int_div_zero 0
	.end_amdhsa_kernel
	.section	.text._ZN7rocprim17ROCPRIM_400000_NS6detail17trampoline_kernelINS0_14default_configENS1_32segmented_reduce_config_selectorIfEEZNS1_21segmented_reduce_implIS3_PKfPfPKlfN6hipcub16HIPCUB_304000_NS6detail27convert_result_type_wrapperIS8_S9_N2at6native12_GLOBAL__N_19CustomMaxEEEEE10hipError_tPvRmT0_T1_jT2_SQ_T4_T3_P12ihipStream_tbEUlT_E_NS1_11comp_targetILNS1_3genE10ELNS1_11target_archE1201ELNS1_3gpuE5ELNS1_3repE0EEENS1_30default_config_static_selectorELNS0_4arch9wavefront6targetE0EEEvSP_,"axG",@progbits,_ZN7rocprim17ROCPRIM_400000_NS6detail17trampoline_kernelINS0_14default_configENS1_32segmented_reduce_config_selectorIfEEZNS1_21segmented_reduce_implIS3_PKfPfPKlfN6hipcub16HIPCUB_304000_NS6detail27convert_result_type_wrapperIS8_S9_N2at6native12_GLOBAL__N_19CustomMaxEEEEE10hipError_tPvRmT0_T1_jT2_SQ_T4_T3_P12ihipStream_tbEUlT_E_NS1_11comp_targetILNS1_3genE10ELNS1_11target_archE1201ELNS1_3gpuE5ELNS1_3repE0EEENS1_30default_config_static_selectorELNS0_4arch9wavefront6targetE0EEEvSP_,comdat
.Lfunc_end181:
	.size	_ZN7rocprim17ROCPRIM_400000_NS6detail17trampoline_kernelINS0_14default_configENS1_32segmented_reduce_config_selectorIfEEZNS1_21segmented_reduce_implIS3_PKfPfPKlfN6hipcub16HIPCUB_304000_NS6detail27convert_result_type_wrapperIS8_S9_N2at6native12_GLOBAL__N_19CustomMaxEEEEE10hipError_tPvRmT0_T1_jT2_SQ_T4_T3_P12ihipStream_tbEUlT_E_NS1_11comp_targetILNS1_3genE10ELNS1_11target_archE1201ELNS1_3gpuE5ELNS1_3repE0EEENS1_30default_config_static_selectorELNS0_4arch9wavefront6targetE0EEEvSP_, .Lfunc_end181-_ZN7rocprim17ROCPRIM_400000_NS6detail17trampoline_kernelINS0_14default_configENS1_32segmented_reduce_config_selectorIfEEZNS1_21segmented_reduce_implIS3_PKfPfPKlfN6hipcub16HIPCUB_304000_NS6detail27convert_result_type_wrapperIS8_S9_N2at6native12_GLOBAL__N_19CustomMaxEEEEE10hipError_tPvRmT0_T1_jT2_SQ_T4_T3_P12ihipStream_tbEUlT_E_NS1_11comp_targetILNS1_3genE10ELNS1_11target_archE1201ELNS1_3gpuE5ELNS1_3repE0EEENS1_30default_config_static_selectorELNS0_4arch9wavefront6targetE0EEEvSP_
                                        ; -- End function
	.set _ZN7rocprim17ROCPRIM_400000_NS6detail17trampoline_kernelINS0_14default_configENS1_32segmented_reduce_config_selectorIfEEZNS1_21segmented_reduce_implIS3_PKfPfPKlfN6hipcub16HIPCUB_304000_NS6detail27convert_result_type_wrapperIS8_S9_N2at6native12_GLOBAL__N_19CustomMaxEEEEE10hipError_tPvRmT0_T1_jT2_SQ_T4_T3_P12ihipStream_tbEUlT_E_NS1_11comp_targetILNS1_3genE10ELNS1_11target_archE1201ELNS1_3gpuE5ELNS1_3repE0EEENS1_30default_config_static_selectorELNS0_4arch9wavefront6targetE0EEEvSP_.num_vgpr, 0
	.set _ZN7rocprim17ROCPRIM_400000_NS6detail17trampoline_kernelINS0_14default_configENS1_32segmented_reduce_config_selectorIfEEZNS1_21segmented_reduce_implIS3_PKfPfPKlfN6hipcub16HIPCUB_304000_NS6detail27convert_result_type_wrapperIS8_S9_N2at6native12_GLOBAL__N_19CustomMaxEEEEE10hipError_tPvRmT0_T1_jT2_SQ_T4_T3_P12ihipStream_tbEUlT_E_NS1_11comp_targetILNS1_3genE10ELNS1_11target_archE1201ELNS1_3gpuE5ELNS1_3repE0EEENS1_30default_config_static_selectorELNS0_4arch9wavefront6targetE0EEEvSP_.num_agpr, 0
	.set _ZN7rocprim17ROCPRIM_400000_NS6detail17trampoline_kernelINS0_14default_configENS1_32segmented_reduce_config_selectorIfEEZNS1_21segmented_reduce_implIS3_PKfPfPKlfN6hipcub16HIPCUB_304000_NS6detail27convert_result_type_wrapperIS8_S9_N2at6native12_GLOBAL__N_19CustomMaxEEEEE10hipError_tPvRmT0_T1_jT2_SQ_T4_T3_P12ihipStream_tbEUlT_E_NS1_11comp_targetILNS1_3genE10ELNS1_11target_archE1201ELNS1_3gpuE5ELNS1_3repE0EEENS1_30default_config_static_selectorELNS0_4arch9wavefront6targetE0EEEvSP_.numbered_sgpr, 0
	.set _ZN7rocprim17ROCPRIM_400000_NS6detail17trampoline_kernelINS0_14default_configENS1_32segmented_reduce_config_selectorIfEEZNS1_21segmented_reduce_implIS3_PKfPfPKlfN6hipcub16HIPCUB_304000_NS6detail27convert_result_type_wrapperIS8_S9_N2at6native12_GLOBAL__N_19CustomMaxEEEEE10hipError_tPvRmT0_T1_jT2_SQ_T4_T3_P12ihipStream_tbEUlT_E_NS1_11comp_targetILNS1_3genE10ELNS1_11target_archE1201ELNS1_3gpuE5ELNS1_3repE0EEENS1_30default_config_static_selectorELNS0_4arch9wavefront6targetE0EEEvSP_.num_named_barrier, 0
	.set _ZN7rocprim17ROCPRIM_400000_NS6detail17trampoline_kernelINS0_14default_configENS1_32segmented_reduce_config_selectorIfEEZNS1_21segmented_reduce_implIS3_PKfPfPKlfN6hipcub16HIPCUB_304000_NS6detail27convert_result_type_wrapperIS8_S9_N2at6native12_GLOBAL__N_19CustomMaxEEEEE10hipError_tPvRmT0_T1_jT2_SQ_T4_T3_P12ihipStream_tbEUlT_E_NS1_11comp_targetILNS1_3genE10ELNS1_11target_archE1201ELNS1_3gpuE5ELNS1_3repE0EEENS1_30default_config_static_selectorELNS0_4arch9wavefront6targetE0EEEvSP_.private_seg_size, 0
	.set _ZN7rocprim17ROCPRIM_400000_NS6detail17trampoline_kernelINS0_14default_configENS1_32segmented_reduce_config_selectorIfEEZNS1_21segmented_reduce_implIS3_PKfPfPKlfN6hipcub16HIPCUB_304000_NS6detail27convert_result_type_wrapperIS8_S9_N2at6native12_GLOBAL__N_19CustomMaxEEEEE10hipError_tPvRmT0_T1_jT2_SQ_T4_T3_P12ihipStream_tbEUlT_E_NS1_11comp_targetILNS1_3genE10ELNS1_11target_archE1201ELNS1_3gpuE5ELNS1_3repE0EEENS1_30default_config_static_selectorELNS0_4arch9wavefront6targetE0EEEvSP_.uses_vcc, 0
	.set _ZN7rocprim17ROCPRIM_400000_NS6detail17trampoline_kernelINS0_14default_configENS1_32segmented_reduce_config_selectorIfEEZNS1_21segmented_reduce_implIS3_PKfPfPKlfN6hipcub16HIPCUB_304000_NS6detail27convert_result_type_wrapperIS8_S9_N2at6native12_GLOBAL__N_19CustomMaxEEEEE10hipError_tPvRmT0_T1_jT2_SQ_T4_T3_P12ihipStream_tbEUlT_E_NS1_11comp_targetILNS1_3genE10ELNS1_11target_archE1201ELNS1_3gpuE5ELNS1_3repE0EEENS1_30default_config_static_selectorELNS0_4arch9wavefront6targetE0EEEvSP_.uses_flat_scratch, 0
	.set _ZN7rocprim17ROCPRIM_400000_NS6detail17trampoline_kernelINS0_14default_configENS1_32segmented_reduce_config_selectorIfEEZNS1_21segmented_reduce_implIS3_PKfPfPKlfN6hipcub16HIPCUB_304000_NS6detail27convert_result_type_wrapperIS8_S9_N2at6native12_GLOBAL__N_19CustomMaxEEEEE10hipError_tPvRmT0_T1_jT2_SQ_T4_T3_P12ihipStream_tbEUlT_E_NS1_11comp_targetILNS1_3genE10ELNS1_11target_archE1201ELNS1_3gpuE5ELNS1_3repE0EEENS1_30default_config_static_selectorELNS0_4arch9wavefront6targetE0EEEvSP_.has_dyn_sized_stack, 0
	.set _ZN7rocprim17ROCPRIM_400000_NS6detail17trampoline_kernelINS0_14default_configENS1_32segmented_reduce_config_selectorIfEEZNS1_21segmented_reduce_implIS3_PKfPfPKlfN6hipcub16HIPCUB_304000_NS6detail27convert_result_type_wrapperIS8_S9_N2at6native12_GLOBAL__N_19CustomMaxEEEEE10hipError_tPvRmT0_T1_jT2_SQ_T4_T3_P12ihipStream_tbEUlT_E_NS1_11comp_targetILNS1_3genE10ELNS1_11target_archE1201ELNS1_3gpuE5ELNS1_3repE0EEENS1_30default_config_static_selectorELNS0_4arch9wavefront6targetE0EEEvSP_.has_recursion, 0
	.set _ZN7rocprim17ROCPRIM_400000_NS6detail17trampoline_kernelINS0_14default_configENS1_32segmented_reduce_config_selectorIfEEZNS1_21segmented_reduce_implIS3_PKfPfPKlfN6hipcub16HIPCUB_304000_NS6detail27convert_result_type_wrapperIS8_S9_N2at6native12_GLOBAL__N_19CustomMaxEEEEE10hipError_tPvRmT0_T1_jT2_SQ_T4_T3_P12ihipStream_tbEUlT_E_NS1_11comp_targetILNS1_3genE10ELNS1_11target_archE1201ELNS1_3gpuE5ELNS1_3repE0EEENS1_30default_config_static_selectorELNS0_4arch9wavefront6targetE0EEEvSP_.has_indirect_call, 0
	.section	.AMDGPU.csdata,"",@progbits
; Kernel info:
; codeLenInByte = 0
; TotalNumSgprs: 0
; NumVgprs: 0
; ScratchSize: 0
; MemoryBound: 0
; FloatMode: 240
; IeeeMode: 1
; LDSByteSize: 0 bytes/workgroup (compile time only)
; SGPRBlocks: 0
; VGPRBlocks: 0
; NumSGPRsForWavesPerEU: 1
; NumVGPRsForWavesPerEU: 1
; Occupancy: 16
; WaveLimiterHint : 0
; COMPUTE_PGM_RSRC2:SCRATCH_EN: 0
; COMPUTE_PGM_RSRC2:USER_SGPR: 6
; COMPUTE_PGM_RSRC2:TRAP_HANDLER: 0
; COMPUTE_PGM_RSRC2:TGID_X_EN: 1
; COMPUTE_PGM_RSRC2:TGID_Y_EN: 0
; COMPUTE_PGM_RSRC2:TGID_Z_EN: 0
; COMPUTE_PGM_RSRC2:TIDIG_COMP_CNT: 0
	.section	.text._ZN7rocprim17ROCPRIM_400000_NS6detail17trampoline_kernelINS0_14default_configENS1_32segmented_reduce_config_selectorIfEEZNS1_21segmented_reduce_implIS3_PKfPfPKlfN6hipcub16HIPCUB_304000_NS6detail27convert_result_type_wrapperIS8_S9_N2at6native12_GLOBAL__N_19CustomMaxEEEEE10hipError_tPvRmT0_T1_jT2_SQ_T4_T3_P12ihipStream_tbEUlT_E_NS1_11comp_targetILNS1_3genE4ELNS1_11target_archE910ELNS1_3gpuE8ELNS1_3repE0EEENS1_30default_config_static_selectorELNS0_4arch9wavefront6targetE0EEEvSP_,"axG",@progbits,_ZN7rocprim17ROCPRIM_400000_NS6detail17trampoline_kernelINS0_14default_configENS1_32segmented_reduce_config_selectorIfEEZNS1_21segmented_reduce_implIS3_PKfPfPKlfN6hipcub16HIPCUB_304000_NS6detail27convert_result_type_wrapperIS8_S9_N2at6native12_GLOBAL__N_19CustomMaxEEEEE10hipError_tPvRmT0_T1_jT2_SQ_T4_T3_P12ihipStream_tbEUlT_E_NS1_11comp_targetILNS1_3genE4ELNS1_11target_archE910ELNS1_3gpuE8ELNS1_3repE0EEENS1_30default_config_static_selectorELNS0_4arch9wavefront6targetE0EEEvSP_,comdat
	.globl	_ZN7rocprim17ROCPRIM_400000_NS6detail17trampoline_kernelINS0_14default_configENS1_32segmented_reduce_config_selectorIfEEZNS1_21segmented_reduce_implIS3_PKfPfPKlfN6hipcub16HIPCUB_304000_NS6detail27convert_result_type_wrapperIS8_S9_N2at6native12_GLOBAL__N_19CustomMaxEEEEE10hipError_tPvRmT0_T1_jT2_SQ_T4_T3_P12ihipStream_tbEUlT_E_NS1_11comp_targetILNS1_3genE4ELNS1_11target_archE910ELNS1_3gpuE8ELNS1_3repE0EEENS1_30default_config_static_selectorELNS0_4arch9wavefront6targetE0EEEvSP_ ; -- Begin function _ZN7rocprim17ROCPRIM_400000_NS6detail17trampoline_kernelINS0_14default_configENS1_32segmented_reduce_config_selectorIfEEZNS1_21segmented_reduce_implIS3_PKfPfPKlfN6hipcub16HIPCUB_304000_NS6detail27convert_result_type_wrapperIS8_S9_N2at6native12_GLOBAL__N_19CustomMaxEEEEE10hipError_tPvRmT0_T1_jT2_SQ_T4_T3_P12ihipStream_tbEUlT_E_NS1_11comp_targetILNS1_3genE4ELNS1_11target_archE910ELNS1_3gpuE8ELNS1_3repE0EEENS1_30default_config_static_selectorELNS0_4arch9wavefront6targetE0EEEvSP_
	.p2align	8
	.type	_ZN7rocprim17ROCPRIM_400000_NS6detail17trampoline_kernelINS0_14default_configENS1_32segmented_reduce_config_selectorIfEEZNS1_21segmented_reduce_implIS3_PKfPfPKlfN6hipcub16HIPCUB_304000_NS6detail27convert_result_type_wrapperIS8_S9_N2at6native12_GLOBAL__N_19CustomMaxEEEEE10hipError_tPvRmT0_T1_jT2_SQ_T4_T3_P12ihipStream_tbEUlT_E_NS1_11comp_targetILNS1_3genE4ELNS1_11target_archE910ELNS1_3gpuE8ELNS1_3repE0EEENS1_30default_config_static_selectorELNS0_4arch9wavefront6targetE0EEEvSP_,@function
_ZN7rocprim17ROCPRIM_400000_NS6detail17trampoline_kernelINS0_14default_configENS1_32segmented_reduce_config_selectorIfEEZNS1_21segmented_reduce_implIS3_PKfPfPKlfN6hipcub16HIPCUB_304000_NS6detail27convert_result_type_wrapperIS8_S9_N2at6native12_GLOBAL__N_19CustomMaxEEEEE10hipError_tPvRmT0_T1_jT2_SQ_T4_T3_P12ihipStream_tbEUlT_E_NS1_11comp_targetILNS1_3genE4ELNS1_11target_archE910ELNS1_3gpuE8ELNS1_3repE0EEENS1_30default_config_static_selectorELNS0_4arch9wavefront6targetE0EEEvSP_: ; @_ZN7rocprim17ROCPRIM_400000_NS6detail17trampoline_kernelINS0_14default_configENS1_32segmented_reduce_config_selectorIfEEZNS1_21segmented_reduce_implIS3_PKfPfPKlfN6hipcub16HIPCUB_304000_NS6detail27convert_result_type_wrapperIS8_S9_N2at6native12_GLOBAL__N_19CustomMaxEEEEE10hipError_tPvRmT0_T1_jT2_SQ_T4_T3_P12ihipStream_tbEUlT_E_NS1_11comp_targetILNS1_3genE4ELNS1_11target_archE910ELNS1_3gpuE8ELNS1_3repE0EEENS1_30default_config_static_selectorELNS0_4arch9wavefront6targetE0EEEvSP_
; %bb.0:
	.section	.rodata,"a",@progbits
	.p2align	6, 0x0
	.amdhsa_kernel _ZN7rocprim17ROCPRIM_400000_NS6detail17trampoline_kernelINS0_14default_configENS1_32segmented_reduce_config_selectorIfEEZNS1_21segmented_reduce_implIS3_PKfPfPKlfN6hipcub16HIPCUB_304000_NS6detail27convert_result_type_wrapperIS8_S9_N2at6native12_GLOBAL__N_19CustomMaxEEEEE10hipError_tPvRmT0_T1_jT2_SQ_T4_T3_P12ihipStream_tbEUlT_E_NS1_11comp_targetILNS1_3genE4ELNS1_11target_archE910ELNS1_3gpuE8ELNS1_3repE0EEENS1_30default_config_static_selectorELNS0_4arch9wavefront6targetE0EEEvSP_
		.amdhsa_group_segment_fixed_size 0
		.amdhsa_private_segment_fixed_size 0
		.amdhsa_kernarg_size 48
		.amdhsa_user_sgpr_count 6
		.amdhsa_user_sgpr_private_segment_buffer 1
		.amdhsa_user_sgpr_dispatch_ptr 0
		.amdhsa_user_sgpr_queue_ptr 0
		.amdhsa_user_sgpr_kernarg_segment_ptr 1
		.amdhsa_user_sgpr_dispatch_id 0
		.amdhsa_user_sgpr_flat_scratch_init 0
		.amdhsa_user_sgpr_private_segment_size 0
		.amdhsa_wavefront_size32 1
		.amdhsa_uses_dynamic_stack 0
		.amdhsa_system_sgpr_private_segment_wavefront_offset 0
		.amdhsa_system_sgpr_workgroup_id_x 1
		.amdhsa_system_sgpr_workgroup_id_y 0
		.amdhsa_system_sgpr_workgroup_id_z 0
		.amdhsa_system_sgpr_workgroup_info 0
		.amdhsa_system_vgpr_workitem_id 0
		.amdhsa_next_free_vgpr 1
		.amdhsa_next_free_sgpr 1
		.amdhsa_reserve_vcc 0
		.amdhsa_reserve_flat_scratch 0
		.amdhsa_float_round_mode_32 0
		.amdhsa_float_round_mode_16_64 0
		.amdhsa_float_denorm_mode_32 3
		.amdhsa_float_denorm_mode_16_64 3
		.amdhsa_dx10_clamp 1
		.amdhsa_ieee_mode 1
		.amdhsa_fp16_overflow 0
		.amdhsa_workgroup_processor_mode 1
		.amdhsa_memory_ordered 1
		.amdhsa_forward_progress 1
		.amdhsa_shared_vgpr_count 0
		.amdhsa_exception_fp_ieee_invalid_op 0
		.amdhsa_exception_fp_denorm_src 0
		.amdhsa_exception_fp_ieee_div_zero 0
		.amdhsa_exception_fp_ieee_overflow 0
		.amdhsa_exception_fp_ieee_underflow 0
		.amdhsa_exception_fp_ieee_inexact 0
		.amdhsa_exception_int_div_zero 0
	.end_amdhsa_kernel
	.section	.text._ZN7rocprim17ROCPRIM_400000_NS6detail17trampoline_kernelINS0_14default_configENS1_32segmented_reduce_config_selectorIfEEZNS1_21segmented_reduce_implIS3_PKfPfPKlfN6hipcub16HIPCUB_304000_NS6detail27convert_result_type_wrapperIS8_S9_N2at6native12_GLOBAL__N_19CustomMaxEEEEE10hipError_tPvRmT0_T1_jT2_SQ_T4_T3_P12ihipStream_tbEUlT_E_NS1_11comp_targetILNS1_3genE4ELNS1_11target_archE910ELNS1_3gpuE8ELNS1_3repE0EEENS1_30default_config_static_selectorELNS0_4arch9wavefront6targetE0EEEvSP_,"axG",@progbits,_ZN7rocprim17ROCPRIM_400000_NS6detail17trampoline_kernelINS0_14default_configENS1_32segmented_reduce_config_selectorIfEEZNS1_21segmented_reduce_implIS3_PKfPfPKlfN6hipcub16HIPCUB_304000_NS6detail27convert_result_type_wrapperIS8_S9_N2at6native12_GLOBAL__N_19CustomMaxEEEEE10hipError_tPvRmT0_T1_jT2_SQ_T4_T3_P12ihipStream_tbEUlT_E_NS1_11comp_targetILNS1_3genE4ELNS1_11target_archE910ELNS1_3gpuE8ELNS1_3repE0EEENS1_30default_config_static_selectorELNS0_4arch9wavefront6targetE0EEEvSP_,comdat
.Lfunc_end182:
	.size	_ZN7rocprim17ROCPRIM_400000_NS6detail17trampoline_kernelINS0_14default_configENS1_32segmented_reduce_config_selectorIfEEZNS1_21segmented_reduce_implIS3_PKfPfPKlfN6hipcub16HIPCUB_304000_NS6detail27convert_result_type_wrapperIS8_S9_N2at6native12_GLOBAL__N_19CustomMaxEEEEE10hipError_tPvRmT0_T1_jT2_SQ_T4_T3_P12ihipStream_tbEUlT_E_NS1_11comp_targetILNS1_3genE4ELNS1_11target_archE910ELNS1_3gpuE8ELNS1_3repE0EEENS1_30default_config_static_selectorELNS0_4arch9wavefront6targetE0EEEvSP_, .Lfunc_end182-_ZN7rocprim17ROCPRIM_400000_NS6detail17trampoline_kernelINS0_14default_configENS1_32segmented_reduce_config_selectorIfEEZNS1_21segmented_reduce_implIS3_PKfPfPKlfN6hipcub16HIPCUB_304000_NS6detail27convert_result_type_wrapperIS8_S9_N2at6native12_GLOBAL__N_19CustomMaxEEEEE10hipError_tPvRmT0_T1_jT2_SQ_T4_T3_P12ihipStream_tbEUlT_E_NS1_11comp_targetILNS1_3genE4ELNS1_11target_archE910ELNS1_3gpuE8ELNS1_3repE0EEENS1_30default_config_static_selectorELNS0_4arch9wavefront6targetE0EEEvSP_
                                        ; -- End function
	.set _ZN7rocprim17ROCPRIM_400000_NS6detail17trampoline_kernelINS0_14default_configENS1_32segmented_reduce_config_selectorIfEEZNS1_21segmented_reduce_implIS3_PKfPfPKlfN6hipcub16HIPCUB_304000_NS6detail27convert_result_type_wrapperIS8_S9_N2at6native12_GLOBAL__N_19CustomMaxEEEEE10hipError_tPvRmT0_T1_jT2_SQ_T4_T3_P12ihipStream_tbEUlT_E_NS1_11comp_targetILNS1_3genE4ELNS1_11target_archE910ELNS1_3gpuE8ELNS1_3repE0EEENS1_30default_config_static_selectorELNS0_4arch9wavefront6targetE0EEEvSP_.num_vgpr, 0
	.set _ZN7rocprim17ROCPRIM_400000_NS6detail17trampoline_kernelINS0_14default_configENS1_32segmented_reduce_config_selectorIfEEZNS1_21segmented_reduce_implIS3_PKfPfPKlfN6hipcub16HIPCUB_304000_NS6detail27convert_result_type_wrapperIS8_S9_N2at6native12_GLOBAL__N_19CustomMaxEEEEE10hipError_tPvRmT0_T1_jT2_SQ_T4_T3_P12ihipStream_tbEUlT_E_NS1_11comp_targetILNS1_3genE4ELNS1_11target_archE910ELNS1_3gpuE8ELNS1_3repE0EEENS1_30default_config_static_selectorELNS0_4arch9wavefront6targetE0EEEvSP_.num_agpr, 0
	.set _ZN7rocprim17ROCPRIM_400000_NS6detail17trampoline_kernelINS0_14default_configENS1_32segmented_reduce_config_selectorIfEEZNS1_21segmented_reduce_implIS3_PKfPfPKlfN6hipcub16HIPCUB_304000_NS6detail27convert_result_type_wrapperIS8_S9_N2at6native12_GLOBAL__N_19CustomMaxEEEEE10hipError_tPvRmT0_T1_jT2_SQ_T4_T3_P12ihipStream_tbEUlT_E_NS1_11comp_targetILNS1_3genE4ELNS1_11target_archE910ELNS1_3gpuE8ELNS1_3repE0EEENS1_30default_config_static_selectorELNS0_4arch9wavefront6targetE0EEEvSP_.numbered_sgpr, 0
	.set _ZN7rocprim17ROCPRIM_400000_NS6detail17trampoline_kernelINS0_14default_configENS1_32segmented_reduce_config_selectorIfEEZNS1_21segmented_reduce_implIS3_PKfPfPKlfN6hipcub16HIPCUB_304000_NS6detail27convert_result_type_wrapperIS8_S9_N2at6native12_GLOBAL__N_19CustomMaxEEEEE10hipError_tPvRmT0_T1_jT2_SQ_T4_T3_P12ihipStream_tbEUlT_E_NS1_11comp_targetILNS1_3genE4ELNS1_11target_archE910ELNS1_3gpuE8ELNS1_3repE0EEENS1_30default_config_static_selectorELNS0_4arch9wavefront6targetE0EEEvSP_.num_named_barrier, 0
	.set _ZN7rocprim17ROCPRIM_400000_NS6detail17trampoline_kernelINS0_14default_configENS1_32segmented_reduce_config_selectorIfEEZNS1_21segmented_reduce_implIS3_PKfPfPKlfN6hipcub16HIPCUB_304000_NS6detail27convert_result_type_wrapperIS8_S9_N2at6native12_GLOBAL__N_19CustomMaxEEEEE10hipError_tPvRmT0_T1_jT2_SQ_T4_T3_P12ihipStream_tbEUlT_E_NS1_11comp_targetILNS1_3genE4ELNS1_11target_archE910ELNS1_3gpuE8ELNS1_3repE0EEENS1_30default_config_static_selectorELNS0_4arch9wavefront6targetE0EEEvSP_.private_seg_size, 0
	.set _ZN7rocprim17ROCPRIM_400000_NS6detail17trampoline_kernelINS0_14default_configENS1_32segmented_reduce_config_selectorIfEEZNS1_21segmented_reduce_implIS3_PKfPfPKlfN6hipcub16HIPCUB_304000_NS6detail27convert_result_type_wrapperIS8_S9_N2at6native12_GLOBAL__N_19CustomMaxEEEEE10hipError_tPvRmT0_T1_jT2_SQ_T4_T3_P12ihipStream_tbEUlT_E_NS1_11comp_targetILNS1_3genE4ELNS1_11target_archE910ELNS1_3gpuE8ELNS1_3repE0EEENS1_30default_config_static_selectorELNS0_4arch9wavefront6targetE0EEEvSP_.uses_vcc, 0
	.set _ZN7rocprim17ROCPRIM_400000_NS6detail17trampoline_kernelINS0_14default_configENS1_32segmented_reduce_config_selectorIfEEZNS1_21segmented_reduce_implIS3_PKfPfPKlfN6hipcub16HIPCUB_304000_NS6detail27convert_result_type_wrapperIS8_S9_N2at6native12_GLOBAL__N_19CustomMaxEEEEE10hipError_tPvRmT0_T1_jT2_SQ_T4_T3_P12ihipStream_tbEUlT_E_NS1_11comp_targetILNS1_3genE4ELNS1_11target_archE910ELNS1_3gpuE8ELNS1_3repE0EEENS1_30default_config_static_selectorELNS0_4arch9wavefront6targetE0EEEvSP_.uses_flat_scratch, 0
	.set _ZN7rocprim17ROCPRIM_400000_NS6detail17trampoline_kernelINS0_14default_configENS1_32segmented_reduce_config_selectorIfEEZNS1_21segmented_reduce_implIS3_PKfPfPKlfN6hipcub16HIPCUB_304000_NS6detail27convert_result_type_wrapperIS8_S9_N2at6native12_GLOBAL__N_19CustomMaxEEEEE10hipError_tPvRmT0_T1_jT2_SQ_T4_T3_P12ihipStream_tbEUlT_E_NS1_11comp_targetILNS1_3genE4ELNS1_11target_archE910ELNS1_3gpuE8ELNS1_3repE0EEENS1_30default_config_static_selectorELNS0_4arch9wavefront6targetE0EEEvSP_.has_dyn_sized_stack, 0
	.set _ZN7rocprim17ROCPRIM_400000_NS6detail17trampoline_kernelINS0_14default_configENS1_32segmented_reduce_config_selectorIfEEZNS1_21segmented_reduce_implIS3_PKfPfPKlfN6hipcub16HIPCUB_304000_NS6detail27convert_result_type_wrapperIS8_S9_N2at6native12_GLOBAL__N_19CustomMaxEEEEE10hipError_tPvRmT0_T1_jT2_SQ_T4_T3_P12ihipStream_tbEUlT_E_NS1_11comp_targetILNS1_3genE4ELNS1_11target_archE910ELNS1_3gpuE8ELNS1_3repE0EEENS1_30default_config_static_selectorELNS0_4arch9wavefront6targetE0EEEvSP_.has_recursion, 0
	.set _ZN7rocprim17ROCPRIM_400000_NS6detail17trampoline_kernelINS0_14default_configENS1_32segmented_reduce_config_selectorIfEEZNS1_21segmented_reduce_implIS3_PKfPfPKlfN6hipcub16HIPCUB_304000_NS6detail27convert_result_type_wrapperIS8_S9_N2at6native12_GLOBAL__N_19CustomMaxEEEEE10hipError_tPvRmT0_T1_jT2_SQ_T4_T3_P12ihipStream_tbEUlT_E_NS1_11comp_targetILNS1_3genE4ELNS1_11target_archE910ELNS1_3gpuE8ELNS1_3repE0EEENS1_30default_config_static_selectorELNS0_4arch9wavefront6targetE0EEEvSP_.has_indirect_call, 0
	.section	.AMDGPU.csdata,"",@progbits
; Kernel info:
; codeLenInByte = 0
; TotalNumSgprs: 0
; NumVgprs: 0
; ScratchSize: 0
; MemoryBound: 0
; FloatMode: 240
; IeeeMode: 1
; LDSByteSize: 0 bytes/workgroup (compile time only)
; SGPRBlocks: 0
; VGPRBlocks: 0
; NumSGPRsForWavesPerEU: 1
; NumVGPRsForWavesPerEU: 1
; Occupancy: 16
; WaveLimiterHint : 0
; COMPUTE_PGM_RSRC2:SCRATCH_EN: 0
; COMPUTE_PGM_RSRC2:USER_SGPR: 6
; COMPUTE_PGM_RSRC2:TRAP_HANDLER: 0
; COMPUTE_PGM_RSRC2:TGID_X_EN: 1
; COMPUTE_PGM_RSRC2:TGID_Y_EN: 0
; COMPUTE_PGM_RSRC2:TGID_Z_EN: 0
; COMPUTE_PGM_RSRC2:TIDIG_COMP_CNT: 0
	.section	.text._ZN7rocprim17ROCPRIM_400000_NS6detail17trampoline_kernelINS0_14default_configENS1_32segmented_reduce_config_selectorIfEEZNS1_21segmented_reduce_implIS3_PKfPfPKlfN6hipcub16HIPCUB_304000_NS6detail27convert_result_type_wrapperIS8_S9_N2at6native12_GLOBAL__N_19CustomMaxEEEEE10hipError_tPvRmT0_T1_jT2_SQ_T4_T3_P12ihipStream_tbEUlT_E_NS1_11comp_targetILNS1_3genE3ELNS1_11target_archE908ELNS1_3gpuE7ELNS1_3repE0EEENS1_30default_config_static_selectorELNS0_4arch9wavefront6targetE0EEEvSP_,"axG",@progbits,_ZN7rocprim17ROCPRIM_400000_NS6detail17trampoline_kernelINS0_14default_configENS1_32segmented_reduce_config_selectorIfEEZNS1_21segmented_reduce_implIS3_PKfPfPKlfN6hipcub16HIPCUB_304000_NS6detail27convert_result_type_wrapperIS8_S9_N2at6native12_GLOBAL__N_19CustomMaxEEEEE10hipError_tPvRmT0_T1_jT2_SQ_T4_T3_P12ihipStream_tbEUlT_E_NS1_11comp_targetILNS1_3genE3ELNS1_11target_archE908ELNS1_3gpuE7ELNS1_3repE0EEENS1_30default_config_static_selectorELNS0_4arch9wavefront6targetE0EEEvSP_,comdat
	.globl	_ZN7rocprim17ROCPRIM_400000_NS6detail17trampoline_kernelINS0_14default_configENS1_32segmented_reduce_config_selectorIfEEZNS1_21segmented_reduce_implIS3_PKfPfPKlfN6hipcub16HIPCUB_304000_NS6detail27convert_result_type_wrapperIS8_S9_N2at6native12_GLOBAL__N_19CustomMaxEEEEE10hipError_tPvRmT0_T1_jT2_SQ_T4_T3_P12ihipStream_tbEUlT_E_NS1_11comp_targetILNS1_3genE3ELNS1_11target_archE908ELNS1_3gpuE7ELNS1_3repE0EEENS1_30default_config_static_selectorELNS0_4arch9wavefront6targetE0EEEvSP_ ; -- Begin function _ZN7rocprim17ROCPRIM_400000_NS6detail17trampoline_kernelINS0_14default_configENS1_32segmented_reduce_config_selectorIfEEZNS1_21segmented_reduce_implIS3_PKfPfPKlfN6hipcub16HIPCUB_304000_NS6detail27convert_result_type_wrapperIS8_S9_N2at6native12_GLOBAL__N_19CustomMaxEEEEE10hipError_tPvRmT0_T1_jT2_SQ_T4_T3_P12ihipStream_tbEUlT_E_NS1_11comp_targetILNS1_3genE3ELNS1_11target_archE908ELNS1_3gpuE7ELNS1_3repE0EEENS1_30default_config_static_selectorELNS0_4arch9wavefront6targetE0EEEvSP_
	.p2align	8
	.type	_ZN7rocprim17ROCPRIM_400000_NS6detail17trampoline_kernelINS0_14default_configENS1_32segmented_reduce_config_selectorIfEEZNS1_21segmented_reduce_implIS3_PKfPfPKlfN6hipcub16HIPCUB_304000_NS6detail27convert_result_type_wrapperIS8_S9_N2at6native12_GLOBAL__N_19CustomMaxEEEEE10hipError_tPvRmT0_T1_jT2_SQ_T4_T3_P12ihipStream_tbEUlT_E_NS1_11comp_targetILNS1_3genE3ELNS1_11target_archE908ELNS1_3gpuE7ELNS1_3repE0EEENS1_30default_config_static_selectorELNS0_4arch9wavefront6targetE0EEEvSP_,@function
_ZN7rocprim17ROCPRIM_400000_NS6detail17trampoline_kernelINS0_14default_configENS1_32segmented_reduce_config_selectorIfEEZNS1_21segmented_reduce_implIS3_PKfPfPKlfN6hipcub16HIPCUB_304000_NS6detail27convert_result_type_wrapperIS8_S9_N2at6native12_GLOBAL__N_19CustomMaxEEEEE10hipError_tPvRmT0_T1_jT2_SQ_T4_T3_P12ihipStream_tbEUlT_E_NS1_11comp_targetILNS1_3genE3ELNS1_11target_archE908ELNS1_3gpuE7ELNS1_3repE0EEENS1_30default_config_static_selectorELNS0_4arch9wavefront6targetE0EEEvSP_: ; @_ZN7rocprim17ROCPRIM_400000_NS6detail17trampoline_kernelINS0_14default_configENS1_32segmented_reduce_config_selectorIfEEZNS1_21segmented_reduce_implIS3_PKfPfPKlfN6hipcub16HIPCUB_304000_NS6detail27convert_result_type_wrapperIS8_S9_N2at6native12_GLOBAL__N_19CustomMaxEEEEE10hipError_tPvRmT0_T1_jT2_SQ_T4_T3_P12ihipStream_tbEUlT_E_NS1_11comp_targetILNS1_3genE3ELNS1_11target_archE908ELNS1_3gpuE7ELNS1_3repE0EEENS1_30default_config_static_selectorELNS0_4arch9wavefront6targetE0EEEvSP_
; %bb.0:
	.section	.rodata,"a",@progbits
	.p2align	6, 0x0
	.amdhsa_kernel _ZN7rocprim17ROCPRIM_400000_NS6detail17trampoline_kernelINS0_14default_configENS1_32segmented_reduce_config_selectorIfEEZNS1_21segmented_reduce_implIS3_PKfPfPKlfN6hipcub16HIPCUB_304000_NS6detail27convert_result_type_wrapperIS8_S9_N2at6native12_GLOBAL__N_19CustomMaxEEEEE10hipError_tPvRmT0_T1_jT2_SQ_T4_T3_P12ihipStream_tbEUlT_E_NS1_11comp_targetILNS1_3genE3ELNS1_11target_archE908ELNS1_3gpuE7ELNS1_3repE0EEENS1_30default_config_static_selectorELNS0_4arch9wavefront6targetE0EEEvSP_
		.amdhsa_group_segment_fixed_size 0
		.amdhsa_private_segment_fixed_size 0
		.amdhsa_kernarg_size 48
		.amdhsa_user_sgpr_count 6
		.amdhsa_user_sgpr_private_segment_buffer 1
		.amdhsa_user_sgpr_dispatch_ptr 0
		.amdhsa_user_sgpr_queue_ptr 0
		.amdhsa_user_sgpr_kernarg_segment_ptr 1
		.amdhsa_user_sgpr_dispatch_id 0
		.amdhsa_user_sgpr_flat_scratch_init 0
		.amdhsa_user_sgpr_private_segment_size 0
		.amdhsa_wavefront_size32 1
		.amdhsa_uses_dynamic_stack 0
		.amdhsa_system_sgpr_private_segment_wavefront_offset 0
		.amdhsa_system_sgpr_workgroup_id_x 1
		.amdhsa_system_sgpr_workgroup_id_y 0
		.amdhsa_system_sgpr_workgroup_id_z 0
		.amdhsa_system_sgpr_workgroup_info 0
		.amdhsa_system_vgpr_workitem_id 0
		.amdhsa_next_free_vgpr 1
		.amdhsa_next_free_sgpr 1
		.amdhsa_reserve_vcc 0
		.amdhsa_reserve_flat_scratch 0
		.amdhsa_float_round_mode_32 0
		.amdhsa_float_round_mode_16_64 0
		.amdhsa_float_denorm_mode_32 3
		.amdhsa_float_denorm_mode_16_64 3
		.amdhsa_dx10_clamp 1
		.amdhsa_ieee_mode 1
		.amdhsa_fp16_overflow 0
		.amdhsa_workgroup_processor_mode 1
		.amdhsa_memory_ordered 1
		.amdhsa_forward_progress 1
		.amdhsa_shared_vgpr_count 0
		.amdhsa_exception_fp_ieee_invalid_op 0
		.amdhsa_exception_fp_denorm_src 0
		.amdhsa_exception_fp_ieee_div_zero 0
		.amdhsa_exception_fp_ieee_overflow 0
		.amdhsa_exception_fp_ieee_underflow 0
		.amdhsa_exception_fp_ieee_inexact 0
		.amdhsa_exception_int_div_zero 0
	.end_amdhsa_kernel
	.section	.text._ZN7rocprim17ROCPRIM_400000_NS6detail17trampoline_kernelINS0_14default_configENS1_32segmented_reduce_config_selectorIfEEZNS1_21segmented_reduce_implIS3_PKfPfPKlfN6hipcub16HIPCUB_304000_NS6detail27convert_result_type_wrapperIS8_S9_N2at6native12_GLOBAL__N_19CustomMaxEEEEE10hipError_tPvRmT0_T1_jT2_SQ_T4_T3_P12ihipStream_tbEUlT_E_NS1_11comp_targetILNS1_3genE3ELNS1_11target_archE908ELNS1_3gpuE7ELNS1_3repE0EEENS1_30default_config_static_selectorELNS0_4arch9wavefront6targetE0EEEvSP_,"axG",@progbits,_ZN7rocprim17ROCPRIM_400000_NS6detail17trampoline_kernelINS0_14default_configENS1_32segmented_reduce_config_selectorIfEEZNS1_21segmented_reduce_implIS3_PKfPfPKlfN6hipcub16HIPCUB_304000_NS6detail27convert_result_type_wrapperIS8_S9_N2at6native12_GLOBAL__N_19CustomMaxEEEEE10hipError_tPvRmT0_T1_jT2_SQ_T4_T3_P12ihipStream_tbEUlT_E_NS1_11comp_targetILNS1_3genE3ELNS1_11target_archE908ELNS1_3gpuE7ELNS1_3repE0EEENS1_30default_config_static_selectorELNS0_4arch9wavefront6targetE0EEEvSP_,comdat
.Lfunc_end183:
	.size	_ZN7rocprim17ROCPRIM_400000_NS6detail17trampoline_kernelINS0_14default_configENS1_32segmented_reduce_config_selectorIfEEZNS1_21segmented_reduce_implIS3_PKfPfPKlfN6hipcub16HIPCUB_304000_NS6detail27convert_result_type_wrapperIS8_S9_N2at6native12_GLOBAL__N_19CustomMaxEEEEE10hipError_tPvRmT0_T1_jT2_SQ_T4_T3_P12ihipStream_tbEUlT_E_NS1_11comp_targetILNS1_3genE3ELNS1_11target_archE908ELNS1_3gpuE7ELNS1_3repE0EEENS1_30default_config_static_selectorELNS0_4arch9wavefront6targetE0EEEvSP_, .Lfunc_end183-_ZN7rocprim17ROCPRIM_400000_NS6detail17trampoline_kernelINS0_14default_configENS1_32segmented_reduce_config_selectorIfEEZNS1_21segmented_reduce_implIS3_PKfPfPKlfN6hipcub16HIPCUB_304000_NS6detail27convert_result_type_wrapperIS8_S9_N2at6native12_GLOBAL__N_19CustomMaxEEEEE10hipError_tPvRmT0_T1_jT2_SQ_T4_T3_P12ihipStream_tbEUlT_E_NS1_11comp_targetILNS1_3genE3ELNS1_11target_archE908ELNS1_3gpuE7ELNS1_3repE0EEENS1_30default_config_static_selectorELNS0_4arch9wavefront6targetE0EEEvSP_
                                        ; -- End function
	.set _ZN7rocprim17ROCPRIM_400000_NS6detail17trampoline_kernelINS0_14default_configENS1_32segmented_reduce_config_selectorIfEEZNS1_21segmented_reduce_implIS3_PKfPfPKlfN6hipcub16HIPCUB_304000_NS6detail27convert_result_type_wrapperIS8_S9_N2at6native12_GLOBAL__N_19CustomMaxEEEEE10hipError_tPvRmT0_T1_jT2_SQ_T4_T3_P12ihipStream_tbEUlT_E_NS1_11comp_targetILNS1_3genE3ELNS1_11target_archE908ELNS1_3gpuE7ELNS1_3repE0EEENS1_30default_config_static_selectorELNS0_4arch9wavefront6targetE0EEEvSP_.num_vgpr, 0
	.set _ZN7rocprim17ROCPRIM_400000_NS6detail17trampoline_kernelINS0_14default_configENS1_32segmented_reduce_config_selectorIfEEZNS1_21segmented_reduce_implIS3_PKfPfPKlfN6hipcub16HIPCUB_304000_NS6detail27convert_result_type_wrapperIS8_S9_N2at6native12_GLOBAL__N_19CustomMaxEEEEE10hipError_tPvRmT0_T1_jT2_SQ_T4_T3_P12ihipStream_tbEUlT_E_NS1_11comp_targetILNS1_3genE3ELNS1_11target_archE908ELNS1_3gpuE7ELNS1_3repE0EEENS1_30default_config_static_selectorELNS0_4arch9wavefront6targetE0EEEvSP_.num_agpr, 0
	.set _ZN7rocprim17ROCPRIM_400000_NS6detail17trampoline_kernelINS0_14default_configENS1_32segmented_reduce_config_selectorIfEEZNS1_21segmented_reduce_implIS3_PKfPfPKlfN6hipcub16HIPCUB_304000_NS6detail27convert_result_type_wrapperIS8_S9_N2at6native12_GLOBAL__N_19CustomMaxEEEEE10hipError_tPvRmT0_T1_jT2_SQ_T4_T3_P12ihipStream_tbEUlT_E_NS1_11comp_targetILNS1_3genE3ELNS1_11target_archE908ELNS1_3gpuE7ELNS1_3repE0EEENS1_30default_config_static_selectorELNS0_4arch9wavefront6targetE0EEEvSP_.numbered_sgpr, 0
	.set _ZN7rocprim17ROCPRIM_400000_NS6detail17trampoline_kernelINS0_14default_configENS1_32segmented_reduce_config_selectorIfEEZNS1_21segmented_reduce_implIS3_PKfPfPKlfN6hipcub16HIPCUB_304000_NS6detail27convert_result_type_wrapperIS8_S9_N2at6native12_GLOBAL__N_19CustomMaxEEEEE10hipError_tPvRmT0_T1_jT2_SQ_T4_T3_P12ihipStream_tbEUlT_E_NS1_11comp_targetILNS1_3genE3ELNS1_11target_archE908ELNS1_3gpuE7ELNS1_3repE0EEENS1_30default_config_static_selectorELNS0_4arch9wavefront6targetE0EEEvSP_.num_named_barrier, 0
	.set _ZN7rocprim17ROCPRIM_400000_NS6detail17trampoline_kernelINS0_14default_configENS1_32segmented_reduce_config_selectorIfEEZNS1_21segmented_reduce_implIS3_PKfPfPKlfN6hipcub16HIPCUB_304000_NS6detail27convert_result_type_wrapperIS8_S9_N2at6native12_GLOBAL__N_19CustomMaxEEEEE10hipError_tPvRmT0_T1_jT2_SQ_T4_T3_P12ihipStream_tbEUlT_E_NS1_11comp_targetILNS1_3genE3ELNS1_11target_archE908ELNS1_3gpuE7ELNS1_3repE0EEENS1_30default_config_static_selectorELNS0_4arch9wavefront6targetE0EEEvSP_.private_seg_size, 0
	.set _ZN7rocprim17ROCPRIM_400000_NS6detail17trampoline_kernelINS0_14default_configENS1_32segmented_reduce_config_selectorIfEEZNS1_21segmented_reduce_implIS3_PKfPfPKlfN6hipcub16HIPCUB_304000_NS6detail27convert_result_type_wrapperIS8_S9_N2at6native12_GLOBAL__N_19CustomMaxEEEEE10hipError_tPvRmT0_T1_jT2_SQ_T4_T3_P12ihipStream_tbEUlT_E_NS1_11comp_targetILNS1_3genE3ELNS1_11target_archE908ELNS1_3gpuE7ELNS1_3repE0EEENS1_30default_config_static_selectorELNS0_4arch9wavefront6targetE0EEEvSP_.uses_vcc, 0
	.set _ZN7rocprim17ROCPRIM_400000_NS6detail17trampoline_kernelINS0_14default_configENS1_32segmented_reduce_config_selectorIfEEZNS1_21segmented_reduce_implIS3_PKfPfPKlfN6hipcub16HIPCUB_304000_NS6detail27convert_result_type_wrapperIS8_S9_N2at6native12_GLOBAL__N_19CustomMaxEEEEE10hipError_tPvRmT0_T1_jT2_SQ_T4_T3_P12ihipStream_tbEUlT_E_NS1_11comp_targetILNS1_3genE3ELNS1_11target_archE908ELNS1_3gpuE7ELNS1_3repE0EEENS1_30default_config_static_selectorELNS0_4arch9wavefront6targetE0EEEvSP_.uses_flat_scratch, 0
	.set _ZN7rocprim17ROCPRIM_400000_NS6detail17trampoline_kernelINS0_14default_configENS1_32segmented_reduce_config_selectorIfEEZNS1_21segmented_reduce_implIS3_PKfPfPKlfN6hipcub16HIPCUB_304000_NS6detail27convert_result_type_wrapperIS8_S9_N2at6native12_GLOBAL__N_19CustomMaxEEEEE10hipError_tPvRmT0_T1_jT2_SQ_T4_T3_P12ihipStream_tbEUlT_E_NS1_11comp_targetILNS1_3genE3ELNS1_11target_archE908ELNS1_3gpuE7ELNS1_3repE0EEENS1_30default_config_static_selectorELNS0_4arch9wavefront6targetE0EEEvSP_.has_dyn_sized_stack, 0
	.set _ZN7rocprim17ROCPRIM_400000_NS6detail17trampoline_kernelINS0_14default_configENS1_32segmented_reduce_config_selectorIfEEZNS1_21segmented_reduce_implIS3_PKfPfPKlfN6hipcub16HIPCUB_304000_NS6detail27convert_result_type_wrapperIS8_S9_N2at6native12_GLOBAL__N_19CustomMaxEEEEE10hipError_tPvRmT0_T1_jT2_SQ_T4_T3_P12ihipStream_tbEUlT_E_NS1_11comp_targetILNS1_3genE3ELNS1_11target_archE908ELNS1_3gpuE7ELNS1_3repE0EEENS1_30default_config_static_selectorELNS0_4arch9wavefront6targetE0EEEvSP_.has_recursion, 0
	.set _ZN7rocprim17ROCPRIM_400000_NS6detail17trampoline_kernelINS0_14default_configENS1_32segmented_reduce_config_selectorIfEEZNS1_21segmented_reduce_implIS3_PKfPfPKlfN6hipcub16HIPCUB_304000_NS6detail27convert_result_type_wrapperIS8_S9_N2at6native12_GLOBAL__N_19CustomMaxEEEEE10hipError_tPvRmT0_T1_jT2_SQ_T4_T3_P12ihipStream_tbEUlT_E_NS1_11comp_targetILNS1_3genE3ELNS1_11target_archE908ELNS1_3gpuE7ELNS1_3repE0EEENS1_30default_config_static_selectorELNS0_4arch9wavefront6targetE0EEEvSP_.has_indirect_call, 0
	.section	.AMDGPU.csdata,"",@progbits
; Kernel info:
; codeLenInByte = 0
; TotalNumSgprs: 0
; NumVgprs: 0
; ScratchSize: 0
; MemoryBound: 0
; FloatMode: 240
; IeeeMode: 1
; LDSByteSize: 0 bytes/workgroup (compile time only)
; SGPRBlocks: 0
; VGPRBlocks: 0
; NumSGPRsForWavesPerEU: 1
; NumVGPRsForWavesPerEU: 1
; Occupancy: 16
; WaveLimiterHint : 0
; COMPUTE_PGM_RSRC2:SCRATCH_EN: 0
; COMPUTE_PGM_RSRC2:USER_SGPR: 6
; COMPUTE_PGM_RSRC2:TRAP_HANDLER: 0
; COMPUTE_PGM_RSRC2:TGID_X_EN: 1
; COMPUTE_PGM_RSRC2:TGID_Y_EN: 0
; COMPUTE_PGM_RSRC2:TGID_Z_EN: 0
; COMPUTE_PGM_RSRC2:TIDIG_COMP_CNT: 0
	.section	.text._ZN7rocprim17ROCPRIM_400000_NS6detail17trampoline_kernelINS0_14default_configENS1_32segmented_reduce_config_selectorIfEEZNS1_21segmented_reduce_implIS3_PKfPfPKlfN6hipcub16HIPCUB_304000_NS6detail27convert_result_type_wrapperIS8_S9_N2at6native12_GLOBAL__N_19CustomMaxEEEEE10hipError_tPvRmT0_T1_jT2_SQ_T4_T3_P12ihipStream_tbEUlT_E_NS1_11comp_targetILNS1_3genE2ELNS1_11target_archE906ELNS1_3gpuE6ELNS1_3repE0EEENS1_30default_config_static_selectorELNS0_4arch9wavefront6targetE0EEEvSP_,"axG",@progbits,_ZN7rocprim17ROCPRIM_400000_NS6detail17trampoline_kernelINS0_14default_configENS1_32segmented_reduce_config_selectorIfEEZNS1_21segmented_reduce_implIS3_PKfPfPKlfN6hipcub16HIPCUB_304000_NS6detail27convert_result_type_wrapperIS8_S9_N2at6native12_GLOBAL__N_19CustomMaxEEEEE10hipError_tPvRmT0_T1_jT2_SQ_T4_T3_P12ihipStream_tbEUlT_E_NS1_11comp_targetILNS1_3genE2ELNS1_11target_archE906ELNS1_3gpuE6ELNS1_3repE0EEENS1_30default_config_static_selectorELNS0_4arch9wavefront6targetE0EEEvSP_,comdat
	.globl	_ZN7rocprim17ROCPRIM_400000_NS6detail17trampoline_kernelINS0_14default_configENS1_32segmented_reduce_config_selectorIfEEZNS1_21segmented_reduce_implIS3_PKfPfPKlfN6hipcub16HIPCUB_304000_NS6detail27convert_result_type_wrapperIS8_S9_N2at6native12_GLOBAL__N_19CustomMaxEEEEE10hipError_tPvRmT0_T1_jT2_SQ_T4_T3_P12ihipStream_tbEUlT_E_NS1_11comp_targetILNS1_3genE2ELNS1_11target_archE906ELNS1_3gpuE6ELNS1_3repE0EEENS1_30default_config_static_selectorELNS0_4arch9wavefront6targetE0EEEvSP_ ; -- Begin function _ZN7rocprim17ROCPRIM_400000_NS6detail17trampoline_kernelINS0_14default_configENS1_32segmented_reduce_config_selectorIfEEZNS1_21segmented_reduce_implIS3_PKfPfPKlfN6hipcub16HIPCUB_304000_NS6detail27convert_result_type_wrapperIS8_S9_N2at6native12_GLOBAL__N_19CustomMaxEEEEE10hipError_tPvRmT0_T1_jT2_SQ_T4_T3_P12ihipStream_tbEUlT_E_NS1_11comp_targetILNS1_3genE2ELNS1_11target_archE906ELNS1_3gpuE6ELNS1_3repE0EEENS1_30default_config_static_selectorELNS0_4arch9wavefront6targetE0EEEvSP_
	.p2align	8
	.type	_ZN7rocprim17ROCPRIM_400000_NS6detail17trampoline_kernelINS0_14default_configENS1_32segmented_reduce_config_selectorIfEEZNS1_21segmented_reduce_implIS3_PKfPfPKlfN6hipcub16HIPCUB_304000_NS6detail27convert_result_type_wrapperIS8_S9_N2at6native12_GLOBAL__N_19CustomMaxEEEEE10hipError_tPvRmT0_T1_jT2_SQ_T4_T3_P12ihipStream_tbEUlT_E_NS1_11comp_targetILNS1_3genE2ELNS1_11target_archE906ELNS1_3gpuE6ELNS1_3repE0EEENS1_30default_config_static_selectorELNS0_4arch9wavefront6targetE0EEEvSP_,@function
_ZN7rocprim17ROCPRIM_400000_NS6detail17trampoline_kernelINS0_14default_configENS1_32segmented_reduce_config_selectorIfEEZNS1_21segmented_reduce_implIS3_PKfPfPKlfN6hipcub16HIPCUB_304000_NS6detail27convert_result_type_wrapperIS8_S9_N2at6native12_GLOBAL__N_19CustomMaxEEEEE10hipError_tPvRmT0_T1_jT2_SQ_T4_T3_P12ihipStream_tbEUlT_E_NS1_11comp_targetILNS1_3genE2ELNS1_11target_archE906ELNS1_3gpuE6ELNS1_3repE0EEENS1_30default_config_static_selectorELNS0_4arch9wavefront6targetE0EEEvSP_: ; @_ZN7rocprim17ROCPRIM_400000_NS6detail17trampoline_kernelINS0_14default_configENS1_32segmented_reduce_config_selectorIfEEZNS1_21segmented_reduce_implIS3_PKfPfPKlfN6hipcub16HIPCUB_304000_NS6detail27convert_result_type_wrapperIS8_S9_N2at6native12_GLOBAL__N_19CustomMaxEEEEE10hipError_tPvRmT0_T1_jT2_SQ_T4_T3_P12ihipStream_tbEUlT_E_NS1_11comp_targetILNS1_3genE2ELNS1_11target_archE906ELNS1_3gpuE6ELNS1_3repE0EEENS1_30default_config_static_selectorELNS0_4arch9wavefront6targetE0EEEvSP_
; %bb.0:
	.section	.rodata,"a",@progbits
	.p2align	6, 0x0
	.amdhsa_kernel _ZN7rocprim17ROCPRIM_400000_NS6detail17trampoline_kernelINS0_14default_configENS1_32segmented_reduce_config_selectorIfEEZNS1_21segmented_reduce_implIS3_PKfPfPKlfN6hipcub16HIPCUB_304000_NS6detail27convert_result_type_wrapperIS8_S9_N2at6native12_GLOBAL__N_19CustomMaxEEEEE10hipError_tPvRmT0_T1_jT2_SQ_T4_T3_P12ihipStream_tbEUlT_E_NS1_11comp_targetILNS1_3genE2ELNS1_11target_archE906ELNS1_3gpuE6ELNS1_3repE0EEENS1_30default_config_static_selectorELNS0_4arch9wavefront6targetE0EEEvSP_
		.amdhsa_group_segment_fixed_size 0
		.amdhsa_private_segment_fixed_size 0
		.amdhsa_kernarg_size 48
		.amdhsa_user_sgpr_count 6
		.amdhsa_user_sgpr_private_segment_buffer 1
		.amdhsa_user_sgpr_dispatch_ptr 0
		.amdhsa_user_sgpr_queue_ptr 0
		.amdhsa_user_sgpr_kernarg_segment_ptr 1
		.amdhsa_user_sgpr_dispatch_id 0
		.amdhsa_user_sgpr_flat_scratch_init 0
		.amdhsa_user_sgpr_private_segment_size 0
		.amdhsa_wavefront_size32 1
		.amdhsa_uses_dynamic_stack 0
		.amdhsa_system_sgpr_private_segment_wavefront_offset 0
		.amdhsa_system_sgpr_workgroup_id_x 1
		.amdhsa_system_sgpr_workgroup_id_y 0
		.amdhsa_system_sgpr_workgroup_id_z 0
		.amdhsa_system_sgpr_workgroup_info 0
		.amdhsa_system_vgpr_workitem_id 0
		.amdhsa_next_free_vgpr 1
		.amdhsa_next_free_sgpr 1
		.amdhsa_reserve_vcc 0
		.amdhsa_reserve_flat_scratch 0
		.amdhsa_float_round_mode_32 0
		.amdhsa_float_round_mode_16_64 0
		.amdhsa_float_denorm_mode_32 3
		.amdhsa_float_denorm_mode_16_64 3
		.amdhsa_dx10_clamp 1
		.amdhsa_ieee_mode 1
		.amdhsa_fp16_overflow 0
		.amdhsa_workgroup_processor_mode 1
		.amdhsa_memory_ordered 1
		.amdhsa_forward_progress 1
		.amdhsa_shared_vgpr_count 0
		.amdhsa_exception_fp_ieee_invalid_op 0
		.amdhsa_exception_fp_denorm_src 0
		.amdhsa_exception_fp_ieee_div_zero 0
		.amdhsa_exception_fp_ieee_overflow 0
		.amdhsa_exception_fp_ieee_underflow 0
		.amdhsa_exception_fp_ieee_inexact 0
		.amdhsa_exception_int_div_zero 0
	.end_amdhsa_kernel
	.section	.text._ZN7rocprim17ROCPRIM_400000_NS6detail17trampoline_kernelINS0_14default_configENS1_32segmented_reduce_config_selectorIfEEZNS1_21segmented_reduce_implIS3_PKfPfPKlfN6hipcub16HIPCUB_304000_NS6detail27convert_result_type_wrapperIS8_S9_N2at6native12_GLOBAL__N_19CustomMaxEEEEE10hipError_tPvRmT0_T1_jT2_SQ_T4_T3_P12ihipStream_tbEUlT_E_NS1_11comp_targetILNS1_3genE2ELNS1_11target_archE906ELNS1_3gpuE6ELNS1_3repE0EEENS1_30default_config_static_selectorELNS0_4arch9wavefront6targetE0EEEvSP_,"axG",@progbits,_ZN7rocprim17ROCPRIM_400000_NS6detail17trampoline_kernelINS0_14default_configENS1_32segmented_reduce_config_selectorIfEEZNS1_21segmented_reduce_implIS3_PKfPfPKlfN6hipcub16HIPCUB_304000_NS6detail27convert_result_type_wrapperIS8_S9_N2at6native12_GLOBAL__N_19CustomMaxEEEEE10hipError_tPvRmT0_T1_jT2_SQ_T4_T3_P12ihipStream_tbEUlT_E_NS1_11comp_targetILNS1_3genE2ELNS1_11target_archE906ELNS1_3gpuE6ELNS1_3repE0EEENS1_30default_config_static_selectorELNS0_4arch9wavefront6targetE0EEEvSP_,comdat
.Lfunc_end184:
	.size	_ZN7rocprim17ROCPRIM_400000_NS6detail17trampoline_kernelINS0_14default_configENS1_32segmented_reduce_config_selectorIfEEZNS1_21segmented_reduce_implIS3_PKfPfPKlfN6hipcub16HIPCUB_304000_NS6detail27convert_result_type_wrapperIS8_S9_N2at6native12_GLOBAL__N_19CustomMaxEEEEE10hipError_tPvRmT0_T1_jT2_SQ_T4_T3_P12ihipStream_tbEUlT_E_NS1_11comp_targetILNS1_3genE2ELNS1_11target_archE906ELNS1_3gpuE6ELNS1_3repE0EEENS1_30default_config_static_selectorELNS0_4arch9wavefront6targetE0EEEvSP_, .Lfunc_end184-_ZN7rocprim17ROCPRIM_400000_NS6detail17trampoline_kernelINS0_14default_configENS1_32segmented_reduce_config_selectorIfEEZNS1_21segmented_reduce_implIS3_PKfPfPKlfN6hipcub16HIPCUB_304000_NS6detail27convert_result_type_wrapperIS8_S9_N2at6native12_GLOBAL__N_19CustomMaxEEEEE10hipError_tPvRmT0_T1_jT2_SQ_T4_T3_P12ihipStream_tbEUlT_E_NS1_11comp_targetILNS1_3genE2ELNS1_11target_archE906ELNS1_3gpuE6ELNS1_3repE0EEENS1_30default_config_static_selectorELNS0_4arch9wavefront6targetE0EEEvSP_
                                        ; -- End function
	.set _ZN7rocprim17ROCPRIM_400000_NS6detail17trampoline_kernelINS0_14default_configENS1_32segmented_reduce_config_selectorIfEEZNS1_21segmented_reduce_implIS3_PKfPfPKlfN6hipcub16HIPCUB_304000_NS6detail27convert_result_type_wrapperIS8_S9_N2at6native12_GLOBAL__N_19CustomMaxEEEEE10hipError_tPvRmT0_T1_jT2_SQ_T4_T3_P12ihipStream_tbEUlT_E_NS1_11comp_targetILNS1_3genE2ELNS1_11target_archE906ELNS1_3gpuE6ELNS1_3repE0EEENS1_30default_config_static_selectorELNS0_4arch9wavefront6targetE0EEEvSP_.num_vgpr, 0
	.set _ZN7rocprim17ROCPRIM_400000_NS6detail17trampoline_kernelINS0_14default_configENS1_32segmented_reduce_config_selectorIfEEZNS1_21segmented_reduce_implIS3_PKfPfPKlfN6hipcub16HIPCUB_304000_NS6detail27convert_result_type_wrapperIS8_S9_N2at6native12_GLOBAL__N_19CustomMaxEEEEE10hipError_tPvRmT0_T1_jT2_SQ_T4_T3_P12ihipStream_tbEUlT_E_NS1_11comp_targetILNS1_3genE2ELNS1_11target_archE906ELNS1_3gpuE6ELNS1_3repE0EEENS1_30default_config_static_selectorELNS0_4arch9wavefront6targetE0EEEvSP_.num_agpr, 0
	.set _ZN7rocprim17ROCPRIM_400000_NS6detail17trampoline_kernelINS0_14default_configENS1_32segmented_reduce_config_selectorIfEEZNS1_21segmented_reduce_implIS3_PKfPfPKlfN6hipcub16HIPCUB_304000_NS6detail27convert_result_type_wrapperIS8_S9_N2at6native12_GLOBAL__N_19CustomMaxEEEEE10hipError_tPvRmT0_T1_jT2_SQ_T4_T3_P12ihipStream_tbEUlT_E_NS1_11comp_targetILNS1_3genE2ELNS1_11target_archE906ELNS1_3gpuE6ELNS1_3repE0EEENS1_30default_config_static_selectorELNS0_4arch9wavefront6targetE0EEEvSP_.numbered_sgpr, 0
	.set _ZN7rocprim17ROCPRIM_400000_NS6detail17trampoline_kernelINS0_14default_configENS1_32segmented_reduce_config_selectorIfEEZNS1_21segmented_reduce_implIS3_PKfPfPKlfN6hipcub16HIPCUB_304000_NS6detail27convert_result_type_wrapperIS8_S9_N2at6native12_GLOBAL__N_19CustomMaxEEEEE10hipError_tPvRmT0_T1_jT2_SQ_T4_T3_P12ihipStream_tbEUlT_E_NS1_11comp_targetILNS1_3genE2ELNS1_11target_archE906ELNS1_3gpuE6ELNS1_3repE0EEENS1_30default_config_static_selectorELNS0_4arch9wavefront6targetE0EEEvSP_.num_named_barrier, 0
	.set _ZN7rocprim17ROCPRIM_400000_NS6detail17trampoline_kernelINS0_14default_configENS1_32segmented_reduce_config_selectorIfEEZNS1_21segmented_reduce_implIS3_PKfPfPKlfN6hipcub16HIPCUB_304000_NS6detail27convert_result_type_wrapperIS8_S9_N2at6native12_GLOBAL__N_19CustomMaxEEEEE10hipError_tPvRmT0_T1_jT2_SQ_T4_T3_P12ihipStream_tbEUlT_E_NS1_11comp_targetILNS1_3genE2ELNS1_11target_archE906ELNS1_3gpuE6ELNS1_3repE0EEENS1_30default_config_static_selectorELNS0_4arch9wavefront6targetE0EEEvSP_.private_seg_size, 0
	.set _ZN7rocprim17ROCPRIM_400000_NS6detail17trampoline_kernelINS0_14default_configENS1_32segmented_reduce_config_selectorIfEEZNS1_21segmented_reduce_implIS3_PKfPfPKlfN6hipcub16HIPCUB_304000_NS6detail27convert_result_type_wrapperIS8_S9_N2at6native12_GLOBAL__N_19CustomMaxEEEEE10hipError_tPvRmT0_T1_jT2_SQ_T4_T3_P12ihipStream_tbEUlT_E_NS1_11comp_targetILNS1_3genE2ELNS1_11target_archE906ELNS1_3gpuE6ELNS1_3repE0EEENS1_30default_config_static_selectorELNS0_4arch9wavefront6targetE0EEEvSP_.uses_vcc, 0
	.set _ZN7rocprim17ROCPRIM_400000_NS6detail17trampoline_kernelINS0_14default_configENS1_32segmented_reduce_config_selectorIfEEZNS1_21segmented_reduce_implIS3_PKfPfPKlfN6hipcub16HIPCUB_304000_NS6detail27convert_result_type_wrapperIS8_S9_N2at6native12_GLOBAL__N_19CustomMaxEEEEE10hipError_tPvRmT0_T1_jT2_SQ_T4_T3_P12ihipStream_tbEUlT_E_NS1_11comp_targetILNS1_3genE2ELNS1_11target_archE906ELNS1_3gpuE6ELNS1_3repE0EEENS1_30default_config_static_selectorELNS0_4arch9wavefront6targetE0EEEvSP_.uses_flat_scratch, 0
	.set _ZN7rocprim17ROCPRIM_400000_NS6detail17trampoline_kernelINS0_14default_configENS1_32segmented_reduce_config_selectorIfEEZNS1_21segmented_reduce_implIS3_PKfPfPKlfN6hipcub16HIPCUB_304000_NS6detail27convert_result_type_wrapperIS8_S9_N2at6native12_GLOBAL__N_19CustomMaxEEEEE10hipError_tPvRmT0_T1_jT2_SQ_T4_T3_P12ihipStream_tbEUlT_E_NS1_11comp_targetILNS1_3genE2ELNS1_11target_archE906ELNS1_3gpuE6ELNS1_3repE0EEENS1_30default_config_static_selectorELNS0_4arch9wavefront6targetE0EEEvSP_.has_dyn_sized_stack, 0
	.set _ZN7rocprim17ROCPRIM_400000_NS6detail17trampoline_kernelINS0_14default_configENS1_32segmented_reduce_config_selectorIfEEZNS1_21segmented_reduce_implIS3_PKfPfPKlfN6hipcub16HIPCUB_304000_NS6detail27convert_result_type_wrapperIS8_S9_N2at6native12_GLOBAL__N_19CustomMaxEEEEE10hipError_tPvRmT0_T1_jT2_SQ_T4_T3_P12ihipStream_tbEUlT_E_NS1_11comp_targetILNS1_3genE2ELNS1_11target_archE906ELNS1_3gpuE6ELNS1_3repE0EEENS1_30default_config_static_selectorELNS0_4arch9wavefront6targetE0EEEvSP_.has_recursion, 0
	.set _ZN7rocprim17ROCPRIM_400000_NS6detail17trampoline_kernelINS0_14default_configENS1_32segmented_reduce_config_selectorIfEEZNS1_21segmented_reduce_implIS3_PKfPfPKlfN6hipcub16HIPCUB_304000_NS6detail27convert_result_type_wrapperIS8_S9_N2at6native12_GLOBAL__N_19CustomMaxEEEEE10hipError_tPvRmT0_T1_jT2_SQ_T4_T3_P12ihipStream_tbEUlT_E_NS1_11comp_targetILNS1_3genE2ELNS1_11target_archE906ELNS1_3gpuE6ELNS1_3repE0EEENS1_30default_config_static_selectorELNS0_4arch9wavefront6targetE0EEEvSP_.has_indirect_call, 0
	.section	.AMDGPU.csdata,"",@progbits
; Kernel info:
; codeLenInByte = 0
; TotalNumSgprs: 0
; NumVgprs: 0
; ScratchSize: 0
; MemoryBound: 0
; FloatMode: 240
; IeeeMode: 1
; LDSByteSize: 0 bytes/workgroup (compile time only)
; SGPRBlocks: 0
; VGPRBlocks: 0
; NumSGPRsForWavesPerEU: 1
; NumVGPRsForWavesPerEU: 1
; Occupancy: 16
; WaveLimiterHint : 0
; COMPUTE_PGM_RSRC2:SCRATCH_EN: 0
; COMPUTE_PGM_RSRC2:USER_SGPR: 6
; COMPUTE_PGM_RSRC2:TRAP_HANDLER: 0
; COMPUTE_PGM_RSRC2:TGID_X_EN: 1
; COMPUTE_PGM_RSRC2:TGID_Y_EN: 0
; COMPUTE_PGM_RSRC2:TGID_Z_EN: 0
; COMPUTE_PGM_RSRC2:TIDIG_COMP_CNT: 0
	.section	.text._ZN7rocprim17ROCPRIM_400000_NS6detail17trampoline_kernelINS0_14default_configENS1_32segmented_reduce_config_selectorIfEEZNS1_21segmented_reduce_implIS3_PKfPfPKlfN6hipcub16HIPCUB_304000_NS6detail27convert_result_type_wrapperIS8_S9_N2at6native12_GLOBAL__N_19CustomMaxEEEEE10hipError_tPvRmT0_T1_jT2_SQ_T4_T3_P12ihipStream_tbEUlT_E_NS1_11comp_targetILNS1_3genE9ELNS1_11target_archE1100ELNS1_3gpuE3ELNS1_3repE0EEENS1_30default_config_static_selectorELNS0_4arch9wavefront6targetE0EEEvSP_,"axG",@progbits,_ZN7rocprim17ROCPRIM_400000_NS6detail17trampoline_kernelINS0_14default_configENS1_32segmented_reduce_config_selectorIfEEZNS1_21segmented_reduce_implIS3_PKfPfPKlfN6hipcub16HIPCUB_304000_NS6detail27convert_result_type_wrapperIS8_S9_N2at6native12_GLOBAL__N_19CustomMaxEEEEE10hipError_tPvRmT0_T1_jT2_SQ_T4_T3_P12ihipStream_tbEUlT_E_NS1_11comp_targetILNS1_3genE9ELNS1_11target_archE1100ELNS1_3gpuE3ELNS1_3repE0EEENS1_30default_config_static_selectorELNS0_4arch9wavefront6targetE0EEEvSP_,comdat
	.globl	_ZN7rocprim17ROCPRIM_400000_NS6detail17trampoline_kernelINS0_14default_configENS1_32segmented_reduce_config_selectorIfEEZNS1_21segmented_reduce_implIS3_PKfPfPKlfN6hipcub16HIPCUB_304000_NS6detail27convert_result_type_wrapperIS8_S9_N2at6native12_GLOBAL__N_19CustomMaxEEEEE10hipError_tPvRmT0_T1_jT2_SQ_T4_T3_P12ihipStream_tbEUlT_E_NS1_11comp_targetILNS1_3genE9ELNS1_11target_archE1100ELNS1_3gpuE3ELNS1_3repE0EEENS1_30default_config_static_selectorELNS0_4arch9wavefront6targetE0EEEvSP_ ; -- Begin function _ZN7rocprim17ROCPRIM_400000_NS6detail17trampoline_kernelINS0_14default_configENS1_32segmented_reduce_config_selectorIfEEZNS1_21segmented_reduce_implIS3_PKfPfPKlfN6hipcub16HIPCUB_304000_NS6detail27convert_result_type_wrapperIS8_S9_N2at6native12_GLOBAL__N_19CustomMaxEEEEE10hipError_tPvRmT0_T1_jT2_SQ_T4_T3_P12ihipStream_tbEUlT_E_NS1_11comp_targetILNS1_3genE9ELNS1_11target_archE1100ELNS1_3gpuE3ELNS1_3repE0EEENS1_30default_config_static_selectorELNS0_4arch9wavefront6targetE0EEEvSP_
	.p2align	8
	.type	_ZN7rocprim17ROCPRIM_400000_NS6detail17trampoline_kernelINS0_14default_configENS1_32segmented_reduce_config_selectorIfEEZNS1_21segmented_reduce_implIS3_PKfPfPKlfN6hipcub16HIPCUB_304000_NS6detail27convert_result_type_wrapperIS8_S9_N2at6native12_GLOBAL__N_19CustomMaxEEEEE10hipError_tPvRmT0_T1_jT2_SQ_T4_T3_P12ihipStream_tbEUlT_E_NS1_11comp_targetILNS1_3genE9ELNS1_11target_archE1100ELNS1_3gpuE3ELNS1_3repE0EEENS1_30default_config_static_selectorELNS0_4arch9wavefront6targetE0EEEvSP_,@function
_ZN7rocprim17ROCPRIM_400000_NS6detail17trampoline_kernelINS0_14default_configENS1_32segmented_reduce_config_selectorIfEEZNS1_21segmented_reduce_implIS3_PKfPfPKlfN6hipcub16HIPCUB_304000_NS6detail27convert_result_type_wrapperIS8_S9_N2at6native12_GLOBAL__N_19CustomMaxEEEEE10hipError_tPvRmT0_T1_jT2_SQ_T4_T3_P12ihipStream_tbEUlT_E_NS1_11comp_targetILNS1_3genE9ELNS1_11target_archE1100ELNS1_3gpuE3ELNS1_3repE0EEENS1_30default_config_static_selectorELNS0_4arch9wavefront6targetE0EEEvSP_: ; @_ZN7rocprim17ROCPRIM_400000_NS6detail17trampoline_kernelINS0_14default_configENS1_32segmented_reduce_config_selectorIfEEZNS1_21segmented_reduce_implIS3_PKfPfPKlfN6hipcub16HIPCUB_304000_NS6detail27convert_result_type_wrapperIS8_S9_N2at6native12_GLOBAL__N_19CustomMaxEEEEE10hipError_tPvRmT0_T1_jT2_SQ_T4_T3_P12ihipStream_tbEUlT_E_NS1_11comp_targetILNS1_3genE9ELNS1_11target_archE1100ELNS1_3gpuE3ELNS1_3repE0EEENS1_30default_config_static_selectorELNS0_4arch9wavefront6targetE0EEEvSP_
; %bb.0:
	.section	.rodata,"a",@progbits
	.p2align	6, 0x0
	.amdhsa_kernel _ZN7rocprim17ROCPRIM_400000_NS6detail17trampoline_kernelINS0_14default_configENS1_32segmented_reduce_config_selectorIfEEZNS1_21segmented_reduce_implIS3_PKfPfPKlfN6hipcub16HIPCUB_304000_NS6detail27convert_result_type_wrapperIS8_S9_N2at6native12_GLOBAL__N_19CustomMaxEEEEE10hipError_tPvRmT0_T1_jT2_SQ_T4_T3_P12ihipStream_tbEUlT_E_NS1_11comp_targetILNS1_3genE9ELNS1_11target_archE1100ELNS1_3gpuE3ELNS1_3repE0EEENS1_30default_config_static_selectorELNS0_4arch9wavefront6targetE0EEEvSP_
		.amdhsa_group_segment_fixed_size 0
		.amdhsa_private_segment_fixed_size 0
		.amdhsa_kernarg_size 48
		.amdhsa_user_sgpr_count 6
		.amdhsa_user_sgpr_private_segment_buffer 1
		.amdhsa_user_sgpr_dispatch_ptr 0
		.amdhsa_user_sgpr_queue_ptr 0
		.amdhsa_user_sgpr_kernarg_segment_ptr 1
		.amdhsa_user_sgpr_dispatch_id 0
		.amdhsa_user_sgpr_flat_scratch_init 0
		.amdhsa_user_sgpr_private_segment_size 0
		.amdhsa_wavefront_size32 1
		.amdhsa_uses_dynamic_stack 0
		.amdhsa_system_sgpr_private_segment_wavefront_offset 0
		.amdhsa_system_sgpr_workgroup_id_x 1
		.amdhsa_system_sgpr_workgroup_id_y 0
		.amdhsa_system_sgpr_workgroup_id_z 0
		.amdhsa_system_sgpr_workgroup_info 0
		.amdhsa_system_vgpr_workitem_id 0
		.amdhsa_next_free_vgpr 1
		.amdhsa_next_free_sgpr 1
		.amdhsa_reserve_vcc 0
		.amdhsa_reserve_flat_scratch 0
		.amdhsa_float_round_mode_32 0
		.amdhsa_float_round_mode_16_64 0
		.amdhsa_float_denorm_mode_32 3
		.amdhsa_float_denorm_mode_16_64 3
		.amdhsa_dx10_clamp 1
		.amdhsa_ieee_mode 1
		.amdhsa_fp16_overflow 0
		.amdhsa_workgroup_processor_mode 1
		.amdhsa_memory_ordered 1
		.amdhsa_forward_progress 1
		.amdhsa_shared_vgpr_count 0
		.amdhsa_exception_fp_ieee_invalid_op 0
		.amdhsa_exception_fp_denorm_src 0
		.amdhsa_exception_fp_ieee_div_zero 0
		.amdhsa_exception_fp_ieee_overflow 0
		.amdhsa_exception_fp_ieee_underflow 0
		.amdhsa_exception_fp_ieee_inexact 0
		.amdhsa_exception_int_div_zero 0
	.end_amdhsa_kernel
	.section	.text._ZN7rocprim17ROCPRIM_400000_NS6detail17trampoline_kernelINS0_14default_configENS1_32segmented_reduce_config_selectorIfEEZNS1_21segmented_reduce_implIS3_PKfPfPKlfN6hipcub16HIPCUB_304000_NS6detail27convert_result_type_wrapperIS8_S9_N2at6native12_GLOBAL__N_19CustomMaxEEEEE10hipError_tPvRmT0_T1_jT2_SQ_T4_T3_P12ihipStream_tbEUlT_E_NS1_11comp_targetILNS1_3genE9ELNS1_11target_archE1100ELNS1_3gpuE3ELNS1_3repE0EEENS1_30default_config_static_selectorELNS0_4arch9wavefront6targetE0EEEvSP_,"axG",@progbits,_ZN7rocprim17ROCPRIM_400000_NS6detail17trampoline_kernelINS0_14default_configENS1_32segmented_reduce_config_selectorIfEEZNS1_21segmented_reduce_implIS3_PKfPfPKlfN6hipcub16HIPCUB_304000_NS6detail27convert_result_type_wrapperIS8_S9_N2at6native12_GLOBAL__N_19CustomMaxEEEEE10hipError_tPvRmT0_T1_jT2_SQ_T4_T3_P12ihipStream_tbEUlT_E_NS1_11comp_targetILNS1_3genE9ELNS1_11target_archE1100ELNS1_3gpuE3ELNS1_3repE0EEENS1_30default_config_static_selectorELNS0_4arch9wavefront6targetE0EEEvSP_,comdat
.Lfunc_end185:
	.size	_ZN7rocprim17ROCPRIM_400000_NS6detail17trampoline_kernelINS0_14default_configENS1_32segmented_reduce_config_selectorIfEEZNS1_21segmented_reduce_implIS3_PKfPfPKlfN6hipcub16HIPCUB_304000_NS6detail27convert_result_type_wrapperIS8_S9_N2at6native12_GLOBAL__N_19CustomMaxEEEEE10hipError_tPvRmT0_T1_jT2_SQ_T4_T3_P12ihipStream_tbEUlT_E_NS1_11comp_targetILNS1_3genE9ELNS1_11target_archE1100ELNS1_3gpuE3ELNS1_3repE0EEENS1_30default_config_static_selectorELNS0_4arch9wavefront6targetE0EEEvSP_, .Lfunc_end185-_ZN7rocprim17ROCPRIM_400000_NS6detail17trampoline_kernelINS0_14default_configENS1_32segmented_reduce_config_selectorIfEEZNS1_21segmented_reduce_implIS3_PKfPfPKlfN6hipcub16HIPCUB_304000_NS6detail27convert_result_type_wrapperIS8_S9_N2at6native12_GLOBAL__N_19CustomMaxEEEEE10hipError_tPvRmT0_T1_jT2_SQ_T4_T3_P12ihipStream_tbEUlT_E_NS1_11comp_targetILNS1_3genE9ELNS1_11target_archE1100ELNS1_3gpuE3ELNS1_3repE0EEENS1_30default_config_static_selectorELNS0_4arch9wavefront6targetE0EEEvSP_
                                        ; -- End function
	.set _ZN7rocprim17ROCPRIM_400000_NS6detail17trampoline_kernelINS0_14default_configENS1_32segmented_reduce_config_selectorIfEEZNS1_21segmented_reduce_implIS3_PKfPfPKlfN6hipcub16HIPCUB_304000_NS6detail27convert_result_type_wrapperIS8_S9_N2at6native12_GLOBAL__N_19CustomMaxEEEEE10hipError_tPvRmT0_T1_jT2_SQ_T4_T3_P12ihipStream_tbEUlT_E_NS1_11comp_targetILNS1_3genE9ELNS1_11target_archE1100ELNS1_3gpuE3ELNS1_3repE0EEENS1_30default_config_static_selectorELNS0_4arch9wavefront6targetE0EEEvSP_.num_vgpr, 0
	.set _ZN7rocprim17ROCPRIM_400000_NS6detail17trampoline_kernelINS0_14default_configENS1_32segmented_reduce_config_selectorIfEEZNS1_21segmented_reduce_implIS3_PKfPfPKlfN6hipcub16HIPCUB_304000_NS6detail27convert_result_type_wrapperIS8_S9_N2at6native12_GLOBAL__N_19CustomMaxEEEEE10hipError_tPvRmT0_T1_jT2_SQ_T4_T3_P12ihipStream_tbEUlT_E_NS1_11comp_targetILNS1_3genE9ELNS1_11target_archE1100ELNS1_3gpuE3ELNS1_3repE0EEENS1_30default_config_static_selectorELNS0_4arch9wavefront6targetE0EEEvSP_.num_agpr, 0
	.set _ZN7rocprim17ROCPRIM_400000_NS6detail17trampoline_kernelINS0_14default_configENS1_32segmented_reduce_config_selectorIfEEZNS1_21segmented_reduce_implIS3_PKfPfPKlfN6hipcub16HIPCUB_304000_NS6detail27convert_result_type_wrapperIS8_S9_N2at6native12_GLOBAL__N_19CustomMaxEEEEE10hipError_tPvRmT0_T1_jT2_SQ_T4_T3_P12ihipStream_tbEUlT_E_NS1_11comp_targetILNS1_3genE9ELNS1_11target_archE1100ELNS1_3gpuE3ELNS1_3repE0EEENS1_30default_config_static_selectorELNS0_4arch9wavefront6targetE0EEEvSP_.numbered_sgpr, 0
	.set _ZN7rocprim17ROCPRIM_400000_NS6detail17trampoline_kernelINS0_14default_configENS1_32segmented_reduce_config_selectorIfEEZNS1_21segmented_reduce_implIS3_PKfPfPKlfN6hipcub16HIPCUB_304000_NS6detail27convert_result_type_wrapperIS8_S9_N2at6native12_GLOBAL__N_19CustomMaxEEEEE10hipError_tPvRmT0_T1_jT2_SQ_T4_T3_P12ihipStream_tbEUlT_E_NS1_11comp_targetILNS1_3genE9ELNS1_11target_archE1100ELNS1_3gpuE3ELNS1_3repE0EEENS1_30default_config_static_selectorELNS0_4arch9wavefront6targetE0EEEvSP_.num_named_barrier, 0
	.set _ZN7rocprim17ROCPRIM_400000_NS6detail17trampoline_kernelINS0_14default_configENS1_32segmented_reduce_config_selectorIfEEZNS1_21segmented_reduce_implIS3_PKfPfPKlfN6hipcub16HIPCUB_304000_NS6detail27convert_result_type_wrapperIS8_S9_N2at6native12_GLOBAL__N_19CustomMaxEEEEE10hipError_tPvRmT0_T1_jT2_SQ_T4_T3_P12ihipStream_tbEUlT_E_NS1_11comp_targetILNS1_3genE9ELNS1_11target_archE1100ELNS1_3gpuE3ELNS1_3repE0EEENS1_30default_config_static_selectorELNS0_4arch9wavefront6targetE0EEEvSP_.private_seg_size, 0
	.set _ZN7rocprim17ROCPRIM_400000_NS6detail17trampoline_kernelINS0_14default_configENS1_32segmented_reduce_config_selectorIfEEZNS1_21segmented_reduce_implIS3_PKfPfPKlfN6hipcub16HIPCUB_304000_NS6detail27convert_result_type_wrapperIS8_S9_N2at6native12_GLOBAL__N_19CustomMaxEEEEE10hipError_tPvRmT0_T1_jT2_SQ_T4_T3_P12ihipStream_tbEUlT_E_NS1_11comp_targetILNS1_3genE9ELNS1_11target_archE1100ELNS1_3gpuE3ELNS1_3repE0EEENS1_30default_config_static_selectorELNS0_4arch9wavefront6targetE0EEEvSP_.uses_vcc, 0
	.set _ZN7rocprim17ROCPRIM_400000_NS6detail17trampoline_kernelINS0_14default_configENS1_32segmented_reduce_config_selectorIfEEZNS1_21segmented_reduce_implIS3_PKfPfPKlfN6hipcub16HIPCUB_304000_NS6detail27convert_result_type_wrapperIS8_S9_N2at6native12_GLOBAL__N_19CustomMaxEEEEE10hipError_tPvRmT0_T1_jT2_SQ_T4_T3_P12ihipStream_tbEUlT_E_NS1_11comp_targetILNS1_3genE9ELNS1_11target_archE1100ELNS1_3gpuE3ELNS1_3repE0EEENS1_30default_config_static_selectorELNS0_4arch9wavefront6targetE0EEEvSP_.uses_flat_scratch, 0
	.set _ZN7rocprim17ROCPRIM_400000_NS6detail17trampoline_kernelINS0_14default_configENS1_32segmented_reduce_config_selectorIfEEZNS1_21segmented_reduce_implIS3_PKfPfPKlfN6hipcub16HIPCUB_304000_NS6detail27convert_result_type_wrapperIS8_S9_N2at6native12_GLOBAL__N_19CustomMaxEEEEE10hipError_tPvRmT0_T1_jT2_SQ_T4_T3_P12ihipStream_tbEUlT_E_NS1_11comp_targetILNS1_3genE9ELNS1_11target_archE1100ELNS1_3gpuE3ELNS1_3repE0EEENS1_30default_config_static_selectorELNS0_4arch9wavefront6targetE0EEEvSP_.has_dyn_sized_stack, 0
	.set _ZN7rocprim17ROCPRIM_400000_NS6detail17trampoline_kernelINS0_14default_configENS1_32segmented_reduce_config_selectorIfEEZNS1_21segmented_reduce_implIS3_PKfPfPKlfN6hipcub16HIPCUB_304000_NS6detail27convert_result_type_wrapperIS8_S9_N2at6native12_GLOBAL__N_19CustomMaxEEEEE10hipError_tPvRmT0_T1_jT2_SQ_T4_T3_P12ihipStream_tbEUlT_E_NS1_11comp_targetILNS1_3genE9ELNS1_11target_archE1100ELNS1_3gpuE3ELNS1_3repE0EEENS1_30default_config_static_selectorELNS0_4arch9wavefront6targetE0EEEvSP_.has_recursion, 0
	.set _ZN7rocprim17ROCPRIM_400000_NS6detail17trampoline_kernelINS0_14default_configENS1_32segmented_reduce_config_selectorIfEEZNS1_21segmented_reduce_implIS3_PKfPfPKlfN6hipcub16HIPCUB_304000_NS6detail27convert_result_type_wrapperIS8_S9_N2at6native12_GLOBAL__N_19CustomMaxEEEEE10hipError_tPvRmT0_T1_jT2_SQ_T4_T3_P12ihipStream_tbEUlT_E_NS1_11comp_targetILNS1_3genE9ELNS1_11target_archE1100ELNS1_3gpuE3ELNS1_3repE0EEENS1_30default_config_static_selectorELNS0_4arch9wavefront6targetE0EEEvSP_.has_indirect_call, 0
	.section	.AMDGPU.csdata,"",@progbits
; Kernel info:
; codeLenInByte = 0
; TotalNumSgprs: 0
; NumVgprs: 0
; ScratchSize: 0
; MemoryBound: 0
; FloatMode: 240
; IeeeMode: 1
; LDSByteSize: 0 bytes/workgroup (compile time only)
; SGPRBlocks: 0
; VGPRBlocks: 0
; NumSGPRsForWavesPerEU: 1
; NumVGPRsForWavesPerEU: 1
; Occupancy: 16
; WaveLimiterHint : 0
; COMPUTE_PGM_RSRC2:SCRATCH_EN: 0
; COMPUTE_PGM_RSRC2:USER_SGPR: 6
; COMPUTE_PGM_RSRC2:TRAP_HANDLER: 0
; COMPUTE_PGM_RSRC2:TGID_X_EN: 1
; COMPUTE_PGM_RSRC2:TGID_Y_EN: 0
; COMPUTE_PGM_RSRC2:TGID_Z_EN: 0
; COMPUTE_PGM_RSRC2:TIDIG_COMP_CNT: 0
	.section	.text._ZN7rocprim17ROCPRIM_400000_NS6detail17trampoline_kernelINS0_14default_configENS1_32segmented_reduce_config_selectorIfEEZNS1_21segmented_reduce_implIS3_PKfPfPKlfN6hipcub16HIPCUB_304000_NS6detail27convert_result_type_wrapperIS8_S9_N2at6native12_GLOBAL__N_19CustomMaxEEEEE10hipError_tPvRmT0_T1_jT2_SQ_T4_T3_P12ihipStream_tbEUlT_E_NS1_11comp_targetILNS1_3genE8ELNS1_11target_archE1030ELNS1_3gpuE2ELNS1_3repE0EEENS1_30default_config_static_selectorELNS0_4arch9wavefront6targetE0EEEvSP_,"axG",@progbits,_ZN7rocprim17ROCPRIM_400000_NS6detail17trampoline_kernelINS0_14default_configENS1_32segmented_reduce_config_selectorIfEEZNS1_21segmented_reduce_implIS3_PKfPfPKlfN6hipcub16HIPCUB_304000_NS6detail27convert_result_type_wrapperIS8_S9_N2at6native12_GLOBAL__N_19CustomMaxEEEEE10hipError_tPvRmT0_T1_jT2_SQ_T4_T3_P12ihipStream_tbEUlT_E_NS1_11comp_targetILNS1_3genE8ELNS1_11target_archE1030ELNS1_3gpuE2ELNS1_3repE0EEENS1_30default_config_static_selectorELNS0_4arch9wavefront6targetE0EEEvSP_,comdat
	.globl	_ZN7rocprim17ROCPRIM_400000_NS6detail17trampoline_kernelINS0_14default_configENS1_32segmented_reduce_config_selectorIfEEZNS1_21segmented_reduce_implIS3_PKfPfPKlfN6hipcub16HIPCUB_304000_NS6detail27convert_result_type_wrapperIS8_S9_N2at6native12_GLOBAL__N_19CustomMaxEEEEE10hipError_tPvRmT0_T1_jT2_SQ_T4_T3_P12ihipStream_tbEUlT_E_NS1_11comp_targetILNS1_3genE8ELNS1_11target_archE1030ELNS1_3gpuE2ELNS1_3repE0EEENS1_30default_config_static_selectorELNS0_4arch9wavefront6targetE0EEEvSP_ ; -- Begin function _ZN7rocprim17ROCPRIM_400000_NS6detail17trampoline_kernelINS0_14default_configENS1_32segmented_reduce_config_selectorIfEEZNS1_21segmented_reduce_implIS3_PKfPfPKlfN6hipcub16HIPCUB_304000_NS6detail27convert_result_type_wrapperIS8_S9_N2at6native12_GLOBAL__N_19CustomMaxEEEEE10hipError_tPvRmT0_T1_jT2_SQ_T4_T3_P12ihipStream_tbEUlT_E_NS1_11comp_targetILNS1_3genE8ELNS1_11target_archE1030ELNS1_3gpuE2ELNS1_3repE0EEENS1_30default_config_static_selectorELNS0_4arch9wavefront6targetE0EEEvSP_
	.p2align	8
	.type	_ZN7rocprim17ROCPRIM_400000_NS6detail17trampoline_kernelINS0_14default_configENS1_32segmented_reduce_config_selectorIfEEZNS1_21segmented_reduce_implIS3_PKfPfPKlfN6hipcub16HIPCUB_304000_NS6detail27convert_result_type_wrapperIS8_S9_N2at6native12_GLOBAL__N_19CustomMaxEEEEE10hipError_tPvRmT0_T1_jT2_SQ_T4_T3_P12ihipStream_tbEUlT_E_NS1_11comp_targetILNS1_3genE8ELNS1_11target_archE1030ELNS1_3gpuE2ELNS1_3repE0EEENS1_30default_config_static_selectorELNS0_4arch9wavefront6targetE0EEEvSP_,@function
_ZN7rocprim17ROCPRIM_400000_NS6detail17trampoline_kernelINS0_14default_configENS1_32segmented_reduce_config_selectorIfEEZNS1_21segmented_reduce_implIS3_PKfPfPKlfN6hipcub16HIPCUB_304000_NS6detail27convert_result_type_wrapperIS8_S9_N2at6native12_GLOBAL__N_19CustomMaxEEEEE10hipError_tPvRmT0_T1_jT2_SQ_T4_T3_P12ihipStream_tbEUlT_E_NS1_11comp_targetILNS1_3genE8ELNS1_11target_archE1030ELNS1_3gpuE2ELNS1_3repE0EEENS1_30default_config_static_selectorELNS0_4arch9wavefront6targetE0EEEvSP_: ; @_ZN7rocprim17ROCPRIM_400000_NS6detail17trampoline_kernelINS0_14default_configENS1_32segmented_reduce_config_selectorIfEEZNS1_21segmented_reduce_implIS3_PKfPfPKlfN6hipcub16HIPCUB_304000_NS6detail27convert_result_type_wrapperIS8_S9_N2at6native12_GLOBAL__N_19CustomMaxEEEEE10hipError_tPvRmT0_T1_jT2_SQ_T4_T3_P12ihipStream_tbEUlT_E_NS1_11comp_targetILNS1_3genE8ELNS1_11target_archE1030ELNS1_3gpuE2ELNS1_3repE0EEENS1_30default_config_static_selectorELNS0_4arch9wavefront6targetE0EEEvSP_
; %bb.0:
	s_clause 0x2
	s_load_dwordx8 s[8:15], s[4:5], 0x0
	s_load_dwordx2 s[0:1], s[4:5], 0x20
	s_load_dword s16, s[4:5], 0x2c
	s_mov_b32 s7, 0
	s_mov_b32 s17, s7
	s_waitcnt lgkmcnt(0)
	s_lshl_b64 s[2:3], s[12:13], 3
	s_add_u32 s4, s14, s2
	s_addc_u32 s5, s15, s3
	s_add_u32 s14, s0, s2
	s_addc_u32 s15, s1, s3
	s_lshl_b64 s[0:1], s[6:7], 3
	s_add_u32 s2, s4, s0
	s_addc_u32 s3, s5, s1
	s_add_u32 s0, s14, s0
	s_addc_u32 s1, s15, s1
	s_load_dwordx2 s[4:5], s[2:3], 0x0
	s_load_dwordx2 s[2:3], s[0:1], 0x0
	s_mov_b32 s1, -1
	s_waitcnt lgkmcnt(0)
	v_cmp_gt_i64_e64 s0, s[2:3], s[4:5]
	s_and_b32 vcc_lo, exec_lo, s0
	v_cmp_eq_u32_e64 s0, 0, v0
	s_cbranch_vccnz .LBB186_2
; %bb.1:
	s_mov_b32 s1, 0
	s_and_b32 s17, s0, exec_lo
.LBB186_2:
	s_andn2_b32 vcc_lo, exec_lo, s1
	s_cbranch_vccnz .LBB186_132
; %bb.3:
	s_add_u32 s0, s4, 0x1000
	s_addc_u32 s1, s5, 0
	v_cmp_le_i64_e64 s14, s[0:1], s[2:3]
	s_and_b32 vcc_lo, exec_lo, s14
	s_cbranch_vccz .LBB186_133
; %bb.4:
	v_lshlrev_b32_e32 v20, 2, v0
	s_lshl_b64 s[14:15], s[4:5], 2
	s_add_u32 s18, s8, s14
	s_addc_u32 s19, s9, s15
	v_add_co_u32 v11, s20, s18, v20
	v_add_co_ci_u32_e64 v13, null, s19, 0, s20
	v_add_co_u32 v1, vcc_lo, 0x800, v11
	v_add_co_ci_u32_e64 v2, null, 0, v13, vcc_lo
	v_add_co_u32 v3, vcc_lo, v11, 0x1000
	v_add_co_ci_u32_e64 v4, null, 0, v13, vcc_lo
	;; [unrolled: 2-line block ×9, first 2 shown]
	s_clause 0x7
	global_load_dword v19, v20, s[18:19]
	global_load_dword v18, v20, s[18:19] offset:1024
	global_load_dword v16, v[1:2], off offset:1024
	global_load_dword v14, v[5:6], off offset:1024
	;; [unrolled: 1-line block ×6, first 2 shown]
	v_add_co_u32 v1, vcc_lo, 0x3800, v11
	v_add_co_ci_u32_e64 v2, null, 0, v13, vcc_lo
	s_clause 0x7
	global_load_dword v17, v[3:4], off offset:-2048
	global_load_dword v15, v[3:4], off
	global_load_dword v13, v[21:22], off offset:-2048
	global_load_dword v11, v[21:22], off
	global_load_dword v9, v[25:26], off offset:-2048
	global_load_dword v6, v[25:26], off
	global_load_dword v4, v[1:2], off
	global_load_dword v3, v[1:2], off offset:1024
	s_mov_b32 s18, exec_lo
	s_waitcnt vmcnt(15)
	v_mov_b32_e32 v8, v19
	v_cmpx_o_f32_e32 v19, v19
	s_cbranch_execz .LBB186_8
; %bb.5:
	s_waitcnt vmcnt(14)
	v_mov_b32_e32 v8, v18
	s_mov_b32 s19, exec_lo
	v_cmpx_o_f32_e32 v18, v18
; %bb.6:
	v_cmp_lt_f32_e32 vcc_lo, v19, v18
	v_cndmask_b32_e32 v8, v19, v18, vcc_lo
; %bb.7:
	s_or_b32 exec_lo, exec_lo, s19
.LBB186_8:
	s_or_b32 exec_lo, exec_lo, s18
	s_mov_b32 s18, exec_lo
	v_cmpx_o_f32_e32 v8, v8
	s_cbranch_execz .LBB186_12
; %bb.9:
	s_waitcnt vmcnt(7)
	v_mov_b32_e32 v1, v17
	s_mov_b32 s19, exec_lo
	v_cmpx_o_f32_e32 v17, v17
; %bb.10:
	v_cmp_lt_f32_e32 vcc_lo, v8, v17
	v_cndmask_b32_e32 v1, v8, v17, vcc_lo
; %bb.11:
	s_or_b32 exec_lo, exec_lo, s19
	v_mov_b32_e32 v8, v1
.LBB186_12:
	s_or_b32 exec_lo, exec_lo, s18
	s_mov_b32 s18, exec_lo
	v_cmpx_o_f32_e32 v8, v8
	s_cbranch_execz .LBB186_16
; %bb.13:
	s_waitcnt vmcnt(13)
	v_mov_b32_e32 v1, v16
	s_mov_b32 s19, exec_lo
	v_cmpx_o_f32_e32 v16, v16
; %bb.14:
	v_cmp_lt_f32_e32 vcc_lo, v8, v16
	v_cndmask_b32_e32 v1, v8, v16, vcc_lo
; %bb.15:
	s_or_b32 exec_lo, exec_lo, s19
	v_mov_b32_e32 v8, v1
.LBB186_16:
	;; [unrolled: 16-line block ×14, first 2 shown]
	s_or_b32 exec_lo, exec_lo, s18
	s_add_u32 s18, s4, 0x2000
	s_addc_u32 s19, s5, 0
	v_cmp_ge_i64_e64 s18, s[18:19], s[2:3]
	s_and_b32 vcc_lo, exec_lo, s18
	s_cbranch_vccnz .LBB186_134
; %bb.65:
	s_add_u32 s14, s8, s14
	s_addc_u32 s15, s9, s15
	v_add_co_u32 v1, s14, s14, v20
	v_add_co_ci_u32_e64 v2, null, s15, 0, s14
	v_add_co_u32 v1, vcc_lo, 0x4000, v1
	v_add_co_ci_u32_e64 v2, null, 0, v2, vcc_lo
.LBB186_66:                             ; =>This Inner Loop Header: Depth=1
	s_waitcnt vmcnt(0)
	v_add_co_u32 v3, vcc_lo, 0x800, v1
	v_add_co_ci_u32_e64 v4, null, 0, v2, vcc_lo
	v_add_co_u32 v5, vcc_lo, v1, 0x1000
	v_add_co_ci_u32_e64 v6, null, 0, v2, vcc_lo
	v_add_co_u32 v21, vcc_lo, 0x1000, v1
	v_add_co_ci_u32_e64 v22, null, 0, v2, vcc_lo
	v_add_co_u32 v23, vcc_lo, 0x1800, v1
	v_add_co_ci_u32_e64 v24, null, 0, v2, vcc_lo
	v_add_co_u32 v9, vcc_lo, v1, 0x2000
	v_add_co_ci_u32_e64 v10, null, 0, v2, vcc_lo
	v_add_co_u32 v25, vcc_lo, 0x2000, v1
	v_add_co_ci_u32_e64 v26, null, 0, v2, vcc_lo
	v_add_co_u32 v27, vcc_lo, 0x2800, v1
	v_add_co_ci_u32_e64 v28, null, 0, v2, vcc_lo
	v_add_co_u32 v29, vcc_lo, v1, 0x3000
	v_add_co_ci_u32_e64 v30, null, 0, v2, vcc_lo
	v_add_co_u32 v31, vcc_lo, 0x3000, v1
	v_add_co_ci_u32_e64 v32, null, 0, v2, vcc_lo
	s_clause 0x7
	global_load_dword v19, v[1:2], off
	global_load_dword v18, v[1:2], off offset:1024
	global_load_dword v17, v[5:6], off offset:-2048
	global_load_dword v15, v[5:6], off
	global_load_dword v13, v[9:10], off offset:-2048
	global_load_dword v11, v[9:10], off
	;; [unrolled: 2-line block ×3, first 2 shown]
	v_add_co_u32 v29, vcc_lo, 0x3800, v1
	v_add_co_ci_u32_e64 v30, null, 0, v2, vcc_lo
	s_clause 0x7
	global_load_dword v16, v[3:4], off offset:1024
	global_load_dword v14, v[21:22], off offset:1024
	;; [unrolled: 1-line block ×6, first 2 shown]
	global_load_dword v4, v[29:30], off
	global_load_dword v3, v[29:30], off offset:1024
	s_mov_b32 s14, exec_lo
	v_cmpx_o_f32_e32 v8, v8
	s_cbranch_execz .LBB186_70
; %bb.67:                               ;   in Loop: Header=BB186_66 Depth=1
	s_waitcnt vmcnt(15)
	v_mov_b32_e32 v21, v19
	s_mov_b32 s15, exec_lo
	v_cmpx_o_f32_e32 v19, v19
; %bb.68:                               ;   in Loop: Header=BB186_66 Depth=1
	v_cmp_lt_f32_e32 vcc_lo, v8, v19
	v_cndmask_b32_e32 v21, v8, v19, vcc_lo
; %bb.69:                               ;   in Loop: Header=BB186_66 Depth=1
	s_or_b32 exec_lo, exec_lo, s15
	v_mov_b32_e32 v8, v21
.LBB186_70:                             ;   in Loop: Header=BB186_66 Depth=1
	s_or_b32 exec_lo, exec_lo, s14
	s_mov_b32 s14, exec_lo
	v_cmpx_o_f32_e32 v8, v8
	s_cbranch_execz .LBB186_74
; %bb.71:                               ;   in Loop: Header=BB186_66 Depth=1
	s_waitcnt vmcnt(14)
	v_mov_b32_e32 v21, v18
	s_mov_b32 s15, exec_lo
	v_cmpx_o_f32_e32 v18, v18
; %bb.72:                               ;   in Loop: Header=BB186_66 Depth=1
	v_cmp_lt_f32_e32 vcc_lo, v8, v18
	v_cndmask_b32_e32 v21, v8, v18, vcc_lo
; %bb.73:                               ;   in Loop: Header=BB186_66 Depth=1
	s_or_b32 exec_lo, exec_lo, s15
	v_mov_b32_e32 v8, v21
.LBB186_74:                             ;   in Loop: Header=BB186_66 Depth=1
	s_or_b32 exec_lo, exec_lo, s14
	;; [unrolled: 16-line block ×8, first 2 shown]
	s_mov_b32 s14, exec_lo
	v_cmpx_o_f32_e32 v8, v8
	s_cbranch_execz .LBB186_102
; %bb.99:                               ;   in Loop: Header=BB186_66 Depth=1
	s_waitcnt vmcnt(10)
	v_mov_b32_e32 v21, v11
	s_mov_b32 s15, exec_lo
	v_cmpx_o_f32_e32 v11, v11
; %bb.100:                              ;   in Loop: Header=BB186_66 Depth=1
	v_cmp_lt_f32_e32 vcc_lo, v8, v11
	v_cndmask_b32_e32 v21, v8, v11, vcc_lo
; %bb.101:                              ;   in Loop: Header=BB186_66 Depth=1
	s_or_b32 exec_lo, exec_lo, s15
	v_mov_b32_e32 v8, v21
.LBB186_102:                            ;   in Loop: Header=BB186_66 Depth=1
	s_or_b32 exec_lo, exec_lo, s14
	s_mov_b32 s14, exec_lo
	v_cmpx_o_f32_e32 v8, v8
	s_cbranch_execz .LBB186_106
; %bb.103:                              ;   in Loop: Header=BB186_66 Depth=1
	s_waitcnt vmcnt(4)
	v_mov_b32_e32 v21, v10
	s_mov_b32 s15, exec_lo
	v_cmpx_o_f32_e32 v10, v10
; %bb.104:                              ;   in Loop: Header=BB186_66 Depth=1
	v_cmp_lt_f32_e32 vcc_lo, v8, v10
	v_cndmask_b32_e32 v21, v8, v10, vcc_lo
; %bb.105:                              ;   in Loop: Header=BB186_66 Depth=1
	s_or_b32 exec_lo, exec_lo, s15
	v_mov_b32_e32 v8, v21
.LBB186_106:                            ;   in Loop: Header=BB186_66 Depth=1
	s_or_b32 exec_lo, exec_lo, s14
	s_mov_b32 s14, exec_lo
	v_cmpx_o_f32_e32 v8, v8
	s_cbranch_execz .LBB186_110
; %bb.107:                              ;   in Loop: Header=BB186_66 Depth=1
	s_waitcnt vmcnt(9)
	v_mov_b32_e32 v21, v9
	s_mov_b32 s15, exec_lo
	v_cmpx_o_f32_e32 v9, v9
; %bb.108:                              ;   in Loop: Header=BB186_66 Depth=1
	v_cmp_lt_f32_e32 vcc_lo, v8, v9
	v_cndmask_b32_e32 v21, v8, v9, vcc_lo
; %bb.109:                              ;   in Loop: Header=BB186_66 Depth=1
	s_or_b32 exec_lo, exec_lo, s15
	v_mov_b32_e32 v8, v21
.LBB186_110:                            ;   in Loop: Header=BB186_66 Depth=1
	;; [unrolled: 16-line block ×7, first 2 shown]
	s_or_b32 exec_lo, exec_lo, s14
	s_add_u32 s14, s0, 0x1000
	s_addc_u32 s15, s1, 0
	s_add_u32 s0, s0, 0x2000
	s_addc_u32 s1, s1, 0
	v_add_co_u32 v1, vcc_lo, 0x4000, v1
	v_cmp_lt_i64_e64 s0, s[0:1], s[2:3]
	v_add_co_ci_u32_e64 v2, null, 0, v2, vcc_lo
	s_and_b32 vcc_lo, exec_lo, s0
	s_cbranch_vccz .LBB186_135
; %bb.131:                              ;   in Loop: Header=BB186_66 Depth=1
	s_mov_b64 s[0:1], s[14:15]
	s_branch .LBB186_66
.LBB186_132:
	v_mov_b32_e32 v2, s16
	s_and_saveexec_b32 s0, s17
	s_cbranch_execnz .LBB186_373
	s_branch .LBB186_374
.LBB186_133:
                                        ; implicit-def: $vgpr1
	s_cbranch_execnz .LBB186_268
	s_branch .LBB186_366
.LBB186_134:
	s_mov_b64 s[14:15], s[0:1]
.LBB186_135:
	s_lshl_b64 s[0:1], s[14:15], 2
	s_sub_i32 s18, s2, s14
	s_add_u32 s0, s8, s0
	s_addc_u32 s1, s9, s1
	s_mov_b32 s14, exec_lo
	v_cmpx_gt_u32_e64 s18, v0
	s_cbranch_execz .LBB186_137
; %bb.136:
	global_load_dword v19, v20, s[0:1]
.LBB186_137:
	s_or_b32 exec_lo, exec_lo, s14
	v_or_b32_e32 v32, 0x100, v0
	s_mov_b32 s14, exec_lo
	v_cmpx_gt_u32_e64 s18, v32
	s_cbranch_execz .LBB186_139
; %bb.138:
	global_load_dword v18, v20, s[0:1] offset:1024
.LBB186_139:
	s_or_b32 exec_lo, exec_lo, s14
	v_or_b32_e32 v31, 0x200, v0
	s_mov_b32 s14, exec_lo
	v_cmpx_gt_u32_e64 s18, v31
	s_cbranch_execz .LBB186_141
; %bb.140:
	v_lshlrev_b32_e32 v1, 2, v31
	global_load_dword v17, v1, s[0:1]
.LBB186_141:
	s_or_b32 exec_lo, exec_lo, s14
	v_or_b32_e32 v30, 0x300, v0
	s_mov_b32 s14, exec_lo
	v_cmpx_gt_u32_e64 s18, v30
	s_cbranch_execz .LBB186_143
; %bb.142:
	v_lshlrev_b32_e32 v1, 2, v30
	global_load_dword v16, v1, s[0:1]
.LBB186_143:
	s_or_b32 exec_lo, exec_lo, s14
	v_or_b32_e32 v29, 0x400, v0
	s_mov_b32 s14, exec_lo
	v_cmpx_gt_u32_e64 s18, v29
	s_cbranch_execz .LBB186_145
; %bb.144:
	v_lshlrev_b32_e32 v1, 2, v29
	global_load_dword v15, v1, s[0:1]
.LBB186_145:
	s_or_b32 exec_lo, exec_lo, s14
	v_or_b32_e32 v28, 0x500, v0
	s_mov_b32 s14, exec_lo
	v_cmpx_gt_u32_e64 s18, v28
	s_cbranch_execz .LBB186_147
; %bb.146:
	v_lshlrev_b32_e32 v1, 2, v28
	global_load_dword v14, v1, s[0:1]
.LBB186_147:
	s_or_b32 exec_lo, exec_lo, s14
	v_or_b32_e32 v27, 0x600, v0
	s_mov_b32 s14, exec_lo
	v_cmpx_gt_u32_e64 s18, v27
	s_cbranch_execz .LBB186_149
; %bb.148:
	v_lshlrev_b32_e32 v1, 2, v27
	global_load_dword v13, v1, s[0:1]
.LBB186_149:
	s_or_b32 exec_lo, exec_lo, s14
	v_or_b32_e32 v26, 0x700, v0
	s_mov_b32 s14, exec_lo
	v_cmpx_gt_u32_e64 s18, v26
	s_cbranch_execz .LBB186_151
; %bb.150:
	v_lshlrev_b32_e32 v1, 2, v26
	global_load_dword v12, v1, s[0:1]
.LBB186_151:
	s_or_b32 exec_lo, exec_lo, s14
	v_or_b32_e32 v25, 0x800, v0
	s_mov_b32 s14, exec_lo
	v_cmpx_gt_u32_e64 s18, v25
	s_cbranch_execz .LBB186_153
; %bb.152:
	v_lshlrev_b32_e32 v1, 2, v25
	global_load_dword v11, v1, s[0:1]
.LBB186_153:
	s_or_b32 exec_lo, exec_lo, s14
	v_or_b32_e32 v24, 0x900, v0
	s_mov_b32 s14, exec_lo
	v_cmpx_gt_u32_e64 s18, v24
	s_cbranch_execz .LBB186_155
; %bb.154:
	v_lshlrev_b32_e32 v1, 2, v24
	global_load_dword v10, v1, s[0:1]
.LBB186_155:
	s_or_b32 exec_lo, exec_lo, s14
	v_or_b32_e32 v23, 0xa00, v0
	s_mov_b32 s14, exec_lo
	v_cmpx_gt_u32_e64 s18, v23
	s_cbranch_execz .LBB186_157
; %bb.156:
	v_lshlrev_b32_e32 v1, 2, v23
	global_load_dword v9, v1, s[0:1]
.LBB186_157:
	s_or_b32 exec_lo, exec_lo, s14
	v_or_b32_e32 v22, 0xb00, v0
	s_mov_b32 s14, exec_lo
	v_cmpx_gt_u32_e64 s18, v22
	s_cbranch_execz .LBB186_159
; %bb.158:
	v_lshlrev_b32_e32 v1, 2, v22
	global_load_dword v7, v1, s[0:1]
.LBB186_159:
	s_or_b32 exec_lo, exec_lo, s14
	v_or_b32_e32 v21, 0xc00, v0
	s_mov_b32 s14, exec_lo
	v_cmpx_gt_u32_e64 s18, v21
	s_cbranch_execz .LBB186_161
; %bb.160:
	v_lshlrev_b32_e32 v1, 2, v21
	global_load_dword v6, v1, s[0:1]
.LBB186_161:
	s_or_b32 exec_lo, exec_lo, s14
	v_or_b32_e32 v20, 0xd00, v0
	s_mov_b32 s14, exec_lo
	v_cmpx_gt_u32_e64 s18, v20
	s_cbranch_execz .LBB186_163
; %bb.162:
	v_lshlrev_b32_e32 v1, 2, v20
	global_load_dword v5, v1, s[0:1]
.LBB186_163:
	s_or_b32 exec_lo, exec_lo, s14
	v_or_b32_e32 v2, 0xe00, v0
	s_mov_b32 s14, exec_lo
	v_cmpx_gt_u32_e64 s18, v2
	s_cbranch_execz .LBB186_165
; %bb.164:
	v_lshlrev_b32_e32 v1, 2, v2
	global_load_dword v4, v1, s[0:1]
.LBB186_165:
	s_or_b32 exec_lo, exec_lo, s14
	v_or_b32_e32 v1, 0xf00, v0
	s_mov_b32 s14, exec_lo
	v_cmpx_gt_u32_e64 s18, v1
	s_cbranch_execz .LBB186_167
; %bb.166:
	s_waitcnt vmcnt(0)
	v_lshlrev_b32_e32 v3, 2, v1
	global_load_dword v3, v3, s[0:1]
.LBB186_167:
	s_or_b32 exec_lo, exec_lo, s14
	v_cmp_gt_u32_e32 vcc_lo, s18, v0
	v_cmp_o_f32_e64 s0, v8, v8
	s_and_b32 s1, vcc_lo, s0
	s_and_saveexec_b32 s0, s1
	s_cbranch_execz .LBB186_171
; %bb.168:
	s_mov_b32 s1, exec_lo
	s_waitcnt vmcnt(0)
	v_cmpx_o_f32_e32 v19, v19
; %bb.169:
	v_cmp_lt_f32_e32 vcc_lo, v8, v19
	v_cndmask_b32_e32 v19, v8, v19, vcc_lo
; %bb.170:
	s_or_b32 exec_lo, exec_lo, s1
	v_mov_b32_e32 v8, v19
.LBB186_171:
	s_or_b32 exec_lo, exec_lo, s0
	v_cmp_gt_u32_e32 vcc_lo, s18, v32
	v_cmp_o_f32_e64 s0, v8, v8
	s_and_b32 s1, vcc_lo, s0
	s_and_saveexec_b32 s0, s1
	s_cbranch_execz .LBB186_175
; %bb.172:
	s_mov_b32 s1, exec_lo
	s_waitcnt vmcnt(0)
	v_cmpx_o_f32_e32 v18, v18
; %bb.173:
	v_cmp_lt_f32_e32 vcc_lo, v8, v18
	v_cndmask_b32_e32 v18, v8, v18, vcc_lo
; %bb.174:
	s_or_b32 exec_lo, exec_lo, s1
	v_mov_b32_e32 v8, v18
.LBB186_175:
	;; [unrolled: 17-line block ×16, first 2 shown]
	s_or_b32 exec_lo, exec_lo, s0
	v_mov_b32_dpp v1, v8 quad_perm:[1,0,3,2] row_mask:0xf bank_mask:0xf
	s_mov_b32 s0, exec_lo
	v_cmpx_o_f32_e32 v1, v1
	s_xor_b32 s0, exec_lo, s0
	s_cbranch_execz .LBB186_235
; %bb.232:
	s_mov_b32 s1, exec_lo
	v_cmpx_o_f32_e32 v8, v8
; %bb.233:
	v_cmp_gt_f32_e32 vcc_lo, v8, v1
	v_cndmask_b32_e32 v8, v1, v8, vcc_lo
; %bb.234:
	s_or_b32 exec_lo, exec_lo, s1
	v_mov_b32_e32 v1, v8
.LBB186_235:
	s_or_b32 exec_lo, exec_lo, s0
	v_mov_b32_dpp v2, v1 quad_perm:[2,3,0,1] row_mask:0xf bank_mask:0xf
	s_mov_b32 s0, exec_lo
	v_cmpx_o_f32_e32 v2, v2
	s_cbranch_execz .LBB186_239
; %bb.236:
	s_mov_b32 s1, exec_lo
	v_cmpx_o_f32_e32 v1, v1
; %bb.237:
	v_cmp_gt_f32_e32 vcc_lo, v1, v2
	v_cndmask_b32_e32 v1, v2, v1, vcc_lo
; %bb.238:
	s_or_b32 exec_lo, exec_lo, s1
	v_mov_b32_e32 v2, v1
.LBB186_239:
	s_or_b32 exec_lo, exec_lo, s0
	v_mov_b32_dpp v1, v2 row_ror:4 row_mask:0xf bank_mask:0xf
	s_mov_b32 s0, exec_lo
	v_cmpx_o_f32_e32 v1, v1
	s_cbranch_execz .LBB186_243
; %bb.240:
	s_mov_b32 s1, exec_lo
	v_cmpx_o_f32_e32 v2, v2
; %bb.241:
	v_cmp_gt_f32_e32 vcc_lo, v2, v1
	v_cndmask_b32_e32 v2, v1, v2, vcc_lo
; %bb.242:
	s_or_b32 exec_lo, exec_lo, s1
	v_mov_b32_e32 v1, v2
.LBB186_243:
	s_or_b32 exec_lo, exec_lo, s0
	v_mov_b32_dpp v2, v1 row_ror:8 row_mask:0xf bank_mask:0xf
	s_mov_b32 s0, exec_lo
	v_cmpx_o_f32_e32 v2, v2
	s_cbranch_execz .LBB186_247
; %bb.244:
	s_mov_b32 s1, exec_lo
	v_cmpx_o_f32_e32 v1, v1
; %bb.245:
	v_cmp_gt_f32_e32 vcc_lo, v1, v2
	v_cndmask_b32_e32 v1, v2, v1, vcc_lo
; %bb.246:
	s_or_b32 exec_lo, exec_lo, s1
	v_mov_b32_e32 v2, v1
.LBB186_247:
	s_or_b32 exec_lo, exec_lo, s0
	ds_swizzle_b32 v1, v2 offset:swizzle(BROADCAST,32,15)
	s_mov_b32 s0, exec_lo
	s_waitcnt lgkmcnt(0)
	v_cmpx_o_f32_e32 v1, v1
	s_cbranch_execz .LBB186_251
; %bb.248:
	s_mov_b32 s1, exec_lo
	v_cmpx_o_f32_e32 v2, v2
; %bb.249:
	v_cmp_gt_f32_e32 vcc_lo, v2, v1
	v_cndmask_b32_e32 v2, v1, v2, vcc_lo
; %bb.250:
	s_or_b32 exec_lo, exec_lo, s1
	v_mov_b32_e32 v1, v2
.LBB186_251:
	s_or_b32 exec_lo, exec_lo, s0
	v_mov_b32_e32 v2, 0
	s_mov_b32 s0, exec_lo
	ds_bpermute_b32 v1, v2, v1 offset:124
	v_mbcnt_lo_u32_b32 v2, -1, 0
	v_cmpx_eq_u32_e32 0, v2
	s_cbranch_execz .LBB186_253
; %bb.252:
	s_waitcnt vmcnt(0)
	v_lshrrev_b32_e32 v3, 3, v0
	v_and_b32_e32 v3, 28, v3
	s_waitcnt lgkmcnt(0)
	ds_write_b32 v3, v1
.LBB186_253:
	s_or_b32 exec_lo, exec_lo, s0
	s_mov_b32 s0, exec_lo
	s_waitcnt vmcnt(0) lgkmcnt(0)
	s_barrier
	buffer_gl0_inv
	v_cmpx_gt_u32_e32 32, v0
	s_cbranch_execz .LBB186_267
; %bb.254:
	v_and_b32_e32 v3, 7, v2
	s_mov_b32 s1, exec_lo
	v_lshlrev_b32_e32 v1, 2, v3
	v_cmp_ne_u32_e32 vcc_lo, 7, v3
	ds_read_b32 v1, v1
	v_add_co_ci_u32_e64 v4, null, 0, v2, vcc_lo
	v_lshlrev_b32_e32 v4, 2, v4
	s_waitcnt lgkmcnt(0)
	ds_bpermute_b32 v4, v4, v1
	v_cmpx_o_f32_e32 v1, v1
	s_cbranch_execz .LBB186_258
; %bb.255:
	s_mov_b32 s14, exec_lo
	s_waitcnt lgkmcnt(0)
	v_cmpx_o_f32_e32 v4, v4
; %bb.256:
	v_cmp_lt_f32_e32 vcc_lo, v1, v4
	v_cndmask_b32_e32 v4, v1, v4, vcc_lo
; %bb.257:
	s_or_b32 exec_lo, exec_lo, s14
	v_mov_b32_e32 v1, v4
.LBB186_258:
	s_or_b32 exec_lo, exec_lo, s1
	v_cmp_gt_u32_e32 vcc_lo, 6, v3
	s_mov_b32 s1, exec_lo
	v_cndmask_b32_e64 v3, 0, 2, vcc_lo
	v_add_lshl_u32 v3, v3, v2, 2
	v_lshlrev_b32_e32 v2, 2, v2
	ds_bpermute_b32 v3, v3, v1
	v_cmpx_o_f32_e32 v1, v1
	s_cbranch_execz .LBB186_262
; %bb.259:
	s_mov_b32 s14, exec_lo
	s_waitcnt lgkmcnt(0)
	v_cmpx_o_f32_e32 v3, v3
; %bb.260:
	v_cmp_lt_f32_e32 vcc_lo, v1, v3
	v_cndmask_b32_e32 v3, v1, v3, vcc_lo
; %bb.261:
	s_or_b32 exec_lo, exec_lo, s14
	v_mov_b32_e32 v1, v3
.LBB186_262:
	s_or_b32 exec_lo, exec_lo, s1
	v_or_b32_e32 v2, 16, v2
	s_mov_b32 s1, exec_lo
	ds_bpermute_b32 v2, v2, v1
	v_cmpx_o_f32_e32 v1, v1
	s_cbranch_execz .LBB186_266
; %bb.263:
	s_mov_b32 s14, exec_lo
	s_waitcnt lgkmcnt(0)
	v_cmpx_o_f32_e32 v2, v2
; %bb.264:
	v_cmp_lt_f32_e32 vcc_lo, v1, v2
	v_cndmask_b32_e32 v2, v1, v2, vcc_lo
; %bb.265:
	s_or_b32 exec_lo, exec_lo, s14
	v_mov_b32_e32 v1, v2
.LBB186_266:
	s_or_b32 exec_lo, exec_lo, s1
.LBB186_267:
	s_or_b32 exec_lo, exec_lo, s0
	s_branch .LBB186_366
.LBB186_268:
	s_sub_i32 s1, s2, s4
	s_mov_b32 s14, exec_lo
                                        ; implicit-def: $vgpr5
	v_cmpx_gt_u32_e64 s1, v0
	s_cbranch_execz .LBB186_278
; %bb.269:
	v_add_co_u32 v1, s0, s4, v0
	s_waitcnt lgkmcnt(0)
	v_add_co_ci_u32_e64 v2, null, s5, 0, s0
	s_mov_b32 s4, exec_lo
	v_lshlrev_b64 v[3:4], 2, v[1:2]
	v_add_co_u32 v3, vcc_lo, s8, v3
	v_add_co_ci_u32_e64 v4, null, s9, v4, vcc_lo
	v_add_co_u32 v1, vcc_lo, 0x100, v1
	v_add_co_ci_u32_e64 v2, null, 0, v2, vcc_lo
	global_load_dword v5, v[3:4], off
	v_cmpx_gt_i64_e64 s[2:3], v[1:2]
	s_cbranch_execz .LBB186_277
; %bb.270:
	v_add_co_u32 v3, vcc_lo, 0x400, v3
	v_add_co_ci_u32_e64 v4, null, 0, v4, vcc_lo
	s_mov_b32 s5, 0
	s_inst_prefetch 0x1
	s_branch .LBB186_273
	.p2align	6
.LBB186_271:                            ;   in Loop: Header=BB186_273 Depth=1
	s_or_b32 exec_lo, exec_lo, s8
	v_mov_b32_e32 v5, v6
.LBB186_272:                            ;   in Loop: Header=BB186_273 Depth=1
	s_or_b32 exec_lo, exec_lo, s0
	v_add_co_u32 v1, vcc_lo, 0x100, v1
	v_add_co_ci_u32_e64 v2, null, 0, v2, vcc_lo
	v_add_co_u32 v3, s0, 0x400, v3
	v_add_co_ci_u32_e64 v4, null, 0, v4, s0
	v_cmp_le_i64_e32 vcc_lo, s[2:3], v[1:2]
	s_or_b32 s5, vcc_lo, s5
	s_andn2_b32 exec_lo, exec_lo, s5
	s_cbranch_execz .LBB186_276
.LBB186_273:                            ; =>This Inner Loop Header: Depth=1
	s_mov_b32 s0, exec_lo
	s_waitcnt vmcnt(0)
	v_cmpx_o_f32_e32 v5, v5
	s_cbranch_execz .LBB186_272
; %bb.274:                              ;   in Loop: Header=BB186_273 Depth=1
	global_load_dword v6, v[3:4], off
	s_mov_b32 s8, exec_lo
	s_waitcnt vmcnt(0)
	v_cmpx_o_f32_e32 v6, v6
	s_cbranch_execz .LBB186_271
; %bb.275:                              ;   in Loop: Header=BB186_273 Depth=1
	v_cmp_lt_f32_e32 vcc_lo, v5, v6
	v_cndmask_b32_e32 v6, v5, v6, vcc_lo
	s_branch .LBB186_271
.LBB186_276:
	s_inst_prefetch 0x2
	s_or_b32 exec_lo, exec_lo, s5
.LBB186_277:
	s_or_b32 exec_lo, exec_lo, s4
.LBB186_278:
	s_or_b32 exec_lo, exec_lo, s14
	s_waitcnt lgkmcnt(1)
	v_lshrrev_b32_e32 v3, 5, v0
	s_waitcnt lgkmcnt(0)
	v_mbcnt_lo_u32_b32 v2, -1, 0
	s_cmpk_lt_u32 s1, 0x100
	s_mov_b32 s0, -1
                                        ; implicit-def: $vgpr1
	s_cbranch_scc0 .LBB186_328
; %bb.279:
	v_cmp_ne_u32_e32 vcc_lo, 31, v2
	v_add_co_ci_u32_e64 v1, null, 0, v2, vcc_lo
	v_lshlrev_b32_e32 v1, 2, v1
	s_waitcnt vmcnt(0)
	ds_bpermute_b32 v6, v1, v5
	v_and_b32_e32 v1, 0xe0, v0
	v_sub_nc_u32_e64 v4, s1, v1 clamp
	v_add_nc_u32_e32 v1, 1, v2
	v_cmp_lt_u32_e32 vcc_lo, v1, v4
	v_mov_b32_e32 v1, v5
	s_and_saveexec_b32 s0, vcc_lo
	s_cbranch_execz .LBB186_285
; %bb.280:
	v_mov_b32_e32 v1, v5
	s_mov_b32 s2, exec_lo
	v_cmpx_o_f32_e32 v5, v5
	s_cbranch_execz .LBB186_284
; %bb.281:
	s_mov_b32 s3, exec_lo
	s_waitcnt lgkmcnt(0)
	v_cmpx_o_f32_e32 v6, v6
; %bb.282:
	v_cmp_lt_f32_e32 vcc_lo, v5, v6
	v_cndmask_b32_e32 v6, v5, v6, vcc_lo
; %bb.283:
	s_or_b32 exec_lo, exec_lo, s3
	v_mov_b32_e32 v1, v6
.LBB186_284:
	s_or_b32 exec_lo, exec_lo, s2
.LBB186_285:
	s_or_b32 exec_lo, exec_lo, s0
	v_cmp_gt_u32_e32 vcc_lo, 30, v2
	v_add_nc_u32_e32 v7, 2, v2
	s_mov_b32 s0, exec_lo
	s_waitcnt lgkmcnt(0)
	v_cndmask_b32_e64 v6, 0, 2, vcc_lo
	v_add_lshl_u32 v6, v6, v2, 2
	ds_bpermute_b32 v6, v6, v1
	v_cmpx_lt_u32_e64 v7, v4
	s_cbranch_execz .LBB186_291
; %bb.286:
	s_mov_b32 s2, exec_lo
	v_cmpx_o_f32_e32 v1, v1
	s_cbranch_execz .LBB186_290
; %bb.287:
	s_mov_b32 s3, exec_lo
	s_waitcnt lgkmcnt(0)
	v_cmpx_o_f32_e32 v6, v6
; %bb.288:
	v_cmp_lt_f32_e32 vcc_lo, v1, v6
	v_cndmask_b32_e32 v6, v1, v6, vcc_lo
; %bb.289:
	s_or_b32 exec_lo, exec_lo, s3
	v_mov_b32_e32 v1, v6
.LBB186_290:
	s_or_b32 exec_lo, exec_lo, s2
.LBB186_291:
	s_or_b32 exec_lo, exec_lo, s0
	v_cmp_gt_u32_e32 vcc_lo, 28, v2
	v_add_nc_u32_e32 v7, 4, v2
	s_mov_b32 s0, exec_lo
	s_waitcnt lgkmcnt(0)
	v_cndmask_b32_e64 v6, 0, 4, vcc_lo
	v_add_lshl_u32 v6, v6, v2, 2
	ds_bpermute_b32 v6, v6, v1
	v_cmpx_lt_u32_e64 v7, v4
	s_cbranch_execz .LBB186_297
; %bb.292:
	s_mov_b32 s2, exec_lo
	v_cmpx_o_f32_e32 v1, v1
	s_cbranch_execz .LBB186_296
; %bb.293:
	s_mov_b32 s3, exec_lo
	s_waitcnt lgkmcnt(0)
	v_cmpx_o_f32_e32 v6, v6
; %bb.294:
	v_cmp_lt_f32_e32 vcc_lo, v1, v6
	v_cndmask_b32_e32 v6, v1, v6, vcc_lo
; %bb.295:
	s_or_b32 exec_lo, exec_lo, s3
	v_mov_b32_e32 v1, v6
.LBB186_296:
	s_or_b32 exec_lo, exec_lo, s2
.LBB186_297:
	s_or_b32 exec_lo, exec_lo, s0
	v_cmp_gt_u32_e32 vcc_lo, 24, v2
	v_add_nc_u32_e32 v7, 8, v2
	s_mov_b32 s0, exec_lo
	s_waitcnt lgkmcnt(0)
	v_cndmask_b32_e64 v6, 0, 8, vcc_lo
	v_add_lshl_u32 v6, v6, v2, 2
	ds_bpermute_b32 v6, v6, v1
	v_cmpx_lt_u32_e64 v7, v4
	s_cbranch_execz .LBB186_303
; %bb.298:
	s_mov_b32 s2, exec_lo
	v_cmpx_o_f32_e32 v1, v1
	s_cbranch_execz .LBB186_302
; %bb.299:
	s_mov_b32 s3, exec_lo
	s_waitcnt lgkmcnt(0)
	v_cmpx_o_f32_e32 v6, v6
; %bb.300:
	v_cmp_lt_f32_e32 vcc_lo, v1, v6
	v_cndmask_b32_e32 v6, v1, v6, vcc_lo
; %bb.301:
	s_or_b32 exec_lo, exec_lo, s3
	v_mov_b32_e32 v1, v6
.LBB186_302:
	s_or_b32 exec_lo, exec_lo, s2
.LBB186_303:
	s_or_b32 exec_lo, exec_lo, s0
	s_waitcnt lgkmcnt(0)
	v_lshlrev_b32_e32 v6, 2, v2
	v_add_nc_u32_e32 v8, 16, v2
	v_cmp_o_f32_e64 s0, v1, v1
	v_or_b32_e32 v7, 64, v6
	v_cmp_lt_u32_e32 vcc_lo, v8, v4
	ds_bpermute_b32 v7, v7, v1
	s_and_b32 s2, vcc_lo, s0
	s_and_saveexec_b32 s0, s2
	s_cbranch_execz .LBB186_307
; %bb.304:
	s_mov_b32 s2, exec_lo
	s_waitcnt lgkmcnt(0)
	v_cmpx_o_f32_e32 v7, v7
; %bb.305:
	v_cmp_lt_f32_e32 vcc_lo, v1, v7
	v_cndmask_b32_e32 v7, v1, v7, vcc_lo
; %bb.306:
	s_or_b32 exec_lo, exec_lo, s2
	v_mov_b32_e32 v1, v7
.LBB186_307:
	s_or_b32 exec_lo, exec_lo, s0
	s_mov_b32 s0, exec_lo
	v_cmpx_eq_u32_e32 0, v2
; %bb.308:
	v_lshlrev_b32_e32 v4, 2, v3
	ds_write_b32 v4, v1
; %bb.309:
	s_or_b32 exec_lo, exec_lo, s0
	s_mov_b32 s2, exec_lo
	s_waitcnt lgkmcnt(0)
	s_barrier
	buffer_gl0_inv
	v_cmpx_gt_u32_e32 8, v0
	s_cbranch_execz .LBB186_327
; %bb.310:
	ds_read_b32 v1, v6
	v_and_b32_e32 v4, 7, v2
	s_add_i32 s1, s1, 31
	s_lshr_b32 s0, s1, 5
	s_mov_b32 s1, exec_lo
	v_cmp_ne_u32_e32 vcc_lo, 7, v4
	v_add_nc_u32_e32 v8, 1, v4
	v_add_co_ci_u32_e64 v7, null, 0, v2, vcc_lo
	v_lshlrev_b32_e32 v7, 2, v7
	s_waitcnt lgkmcnt(0)
	ds_bpermute_b32 v7, v7, v1
	v_cmpx_gt_u32_e64 s0, v8
	s_cbranch_execz .LBB186_316
; %bb.311:
	s_mov_b32 s3, exec_lo
	v_cmpx_o_f32_e32 v1, v1
	s_cbranch_execz .LBB186_315
; %bb.312:
	s_mov_b32 s4, exec_lo
	s_waitcnt lgkmcnt(0)
	v_cmpx_o_f32_e32 v7, v7
; %bb.313:
	v_cmp_lt_f32_e32 vcc_lo, v1, v7
	v_cndmask_b32_e32 v7, v1, v7, vcc_lo
; %bb.314:
	s_or_b32 exec_lo, exec_lo, s4
	v_mov_b32_e32 v1, v7
.LBB186_315:
	s_or_b32 exec_lo, exec_lo, s3
.LBB186_316:
	s_or_b32 exec_lo, exec_lo, s1
	v_cmp_gt_u32_e32 vcc_lo, 6, v4
	v_add_nc_u32_e32 v8, 2, v4
	s_mov_b32 s1, exec_lo
	s_waitcnt lgkmcnt(0)
	v_cndmask_b32_e64 v7, 0, 2, vcc_lo
	v_add_lshl_u32 v7, v7, v2, 2
	ds_bpermute_b32 v7, v7, v1
	v_cmpx_gt_u32_e64 s0, v8
	s_cbranch_execz .LBB186_322
; %bb.317:
	s_mov_b32 s3, exec_lo
	v_cmpx_o_f32_e32 v1, v1
	s_cbranch_execz .LBB186_321
; %bb.318:
	s_mov_b32 s4, exec_lo
	s_waitcnt lgkmcnt(0)
	v_cmpx_o_f32_e32 v7, v7
; %bb.319:
	v_cmp_lt_f32_e32 vcc_lo, v1, v7
	v_cndmask_b32_e32 v7, v1, v7, vcc_lo
; %bb.320:
	s_or_b32 exec_lo, exec_lo, s4
	v_mov_b32_e32 v1, v7
.LBB186_321:
	s_or_b32 exec_lo, exec_lo, s3
.LBB186_322:
	s_or_b32 exec_lo, exec_lo, s1
	v_or_b32_e32 v6, 16, v6
	v_add_nc_u32_e32 v4, 4, v4
	ds_bpermute_b32 v6, v6, v1
	v_cmp_gt_u32_e32 vcc_lo, s0, v4
	v_cmp_o_f32_e64 s0, v1, v1
	s_and_b32 s1, vcc_lo, s0
	s_and_saveexec_b32 s0, s1
	s_cbranch_execz .LBB186_326
; %bb.323:
	s_mov_b32 s1, exec_lo
	s_waitcnt lgkmcnt(0)
	v_cmpx_o_f32_e32 v6, v6
; %bb.324:
	v_cmp_lt_f32_e32 vcc_lo, v1, v6
	v_cndmask_b32_e32 v6, v1, v6, vcc_lo
; %bb.325:
	s_or_b32 exec_lo, exec_lo, s1
	v_mov_b32_e32 v1, v6
.LBB186_326:
	s_or_b32 exec_lo, exec_lo, s0
.LBB186_327:
	s_or_b32 exec_lo, exec_lo, s2
	s_mov_b32 s0, 0
.LBB186_328:
	s_and_b32 vcc_lo, exec_lo, s0
	s_cbranch_vccz .LBB186_366
; %bb.329:
	s_waitcnt vmcnt(0)
	v_mov_b32_dpp v1, v5 quad_perm:[1,0,3,2] row_mask:0xf bank_mask:0xf
	s_mov_b32 s0, exec_lo
	v_cmpx_o_f32_e32 v1, v1
	s_cbranch_execz .LBB186_333
; %bb.330:
	s_mov_b32 s1, exec_lo
	v_cmpx_o_f32_e32 v5, v5
; %bb.331:
	v_cmp_gt_f32_e32 vcc_lo, v5, v1
	v_cndmask_b32_e32 v5, v1, v5, vcc_lo
; %bb.332:
	s_or_b32 exec_lo, exec_lo, s1
	v_mov_b32_e32 v1, v5
.LBB186_333:
	s_or_b32 exec_lo, exec_lo, s0
	v_mov_b32_dpp v4, v1 quad_perm:[2,3,0,1] row_mask:0xf bank_mask:0xf
	s_mov_b32 s0, exec_lo
	v_cmpx_o_f32_e32 v4, v4
	s_cbranch_execz .LBB186_337
; %bb.334:
	s_mov_b32 s1, exec_lo
	v_cmpx_o_f32_e32 v1, v1
; %bb.335:
	v_cmp_gt_f32_e32 vcc_lo, v1, v4
	v_cndmask_b32_e32 v1, v4, v1, vcc_lo
; %bb.336:
	s_or_b32 exec_lo, exec_lo, s1
	v_mov_b32_e32 v4, v1
.LBB186_337:
	s_or_b32 exec_lo, exec_lo, s0
	v_mov_b32_dpp v1, v4 row_ror:4 row_mask:0xf bank_mask:0xf
	s_mov_b32 s0, exec_lo
	v_cmpx_o_f32_e32 v1, v1
	s_cbranch_execz .LBB186_341
; %bb.338:
	s_mov_b32 s1, exec_lo
	v_cmpx_o_f32_e32 v4, v4
; %bb.339:
	v_cmp_gt_f32_e32 vcc_lo, v4, v1
	v_cndmask_b32_e32 v4, v1, v4, vcc_lo
; %bb.340:
	s_or_b32 exec_lo, exec_lo, s1
	v_mov_b32_e32 v1, v4
.LBB186_341:
	s_or_b32 exec_lo, exec_lo, s0
	v_mov_b32_dpp v4, v1 row_ror:8 row_mask:0xf bank_mask:0xf
	s_mov_b32 s0, exec_lo
	v_cmpx_o_f32_e32 v4, v4
	s_cbranch_execz .LBB186_345
; %bb.342:
	s_mov_b32 s1, exec_lo
	v_cmpx_o_f32_e32 v1, v1
; %bb.343:
	v_cmp_gt_f32_e32 vcc_lo, v1, v4
	v_cndmask_b32_e32 v1, v4, v1, vcc_lo
; %bb.344:
	s_or_b32 exec_lo, exec_lo, s1
	v_mov_b32_e32 v4, v1
.LBB186_345:
	s_or_b32 exec_lo, exec_lo, s0
	ds_swizzle_b32 v1, v4 offset:swizzle(BROADCAST,32,15)
	s_mov_b32 s0, exec_lo
	s_waitcnt lgkmcnt(0)
	v_cmpx_o_f32_e32 v1, v1
	s_cbranch_execz .LBB186_349
; %bb.346:
	s_mov_b32 s1, exec_lo
	v_cmpx_o_f32_e32 v4, v4
; %bb.347:
	v_cmp_gt_f32_e32 vcc_lo, v4, v1
	v_cndmask_b32_e32 v4, v1, v4, vcc_lo
; %bb.348:
	s_or_b32 exec_lo, exec_lo, s1
	v_mov_b32_e32 v1, v4
.LBB186_349:
	s_or_b32 exec_lo, exec_lo, s0
	v_mov_b32_e32 v4, 0
	s_mov_b32 s0, exec_lo
	ds_bpermute_b32 v1, v4, v1 offset:124
	v_cmpx_eq_u32_e32 0, v2
	s_cbranch_execz .LBB186_351
; %bb.350:
	v_lshlrev_b32_e32 v3, 2, v3
	s_waitcnt lgkmcnt(0)
	ds_write_b32 v3, v1
.LBB186_351:
	s_or_b32 exec_lo, exec_lo, s0
	s_mov_b32 s0, exec_lo
	s_waitcnt lgkmcnt(0)
	s_barrier
	buffer_gl0_inv
	v_cmpx_gt_u32_e32 32, v0
	s_cbranch_execz .LBB186_365
; %bb.352:
	v_and_b32_e32 v3, 7, v2
	s_mov_b32 s1, exec_lo
	v_lshlrev_b32_e32 v1, 2, v3
	v_cmp_ne_u32_e32 vcc_lo, 7, v3
	ds_read_b32 v1, v1
	v_add_co_ci_u32_e64 v4, null, 0, v2, vcc_lo
	v_lshlrev_b32_e32 v4, 2, v4
	s_waitcnt lgkmcnt(0)
	ds_bpermute_b32 v4, v4, v1
	v_cmpx_o_f32_e32 v1, v1
	s_cbranch_execz .LBB186_356
; %bb.353:
	s_mov_b32 s2, exec_lo
	s_waitcnt lgkmcnt(0)
	v_cmpx_o_f32_e32 v4, v4
; %bb.354:
	v_cmp_lt_f32_e32 vcc_lo, v1, v4
	v_cndmask_b32_e32 v4, v1, v4, vcc_lo
; %bb.355:
	s_or_b32 exec_lo, exec_lo, s2
	v_mov_b32_e32 v1, v4
.LBB186_356:
	s_or_b32 exec_lo, exec_lo, s1
	v_cmp_gt_u32_e32 vcc_lo, 6, v3
	s_mov_b32 s1, exec_lo
	v_cndmask_b32_e64 v3, 0, 2, vcc_lo
	v_add_lshl_u32 v3, v3, v2, 2
	v_lshlrev_b32_e32 v2, 2, v2
	ds_bpermute_b32 v3, v3, v1
	v_cmpx_o_f32_e32 v1, v1
	s_cbranch_execz .LBB186_360
; %bb.357:
	s_mov_b32 s2, exec_lo
	s_waitcnt lgkmcnt(0)
	v_cmpx_o_f32_e32 v3, v3
; %bb.358:
	v_cmp_lt_f32_e32 vcc_lo, v1, v3
	v_cndmask_b32_e32 v3, v1, v3, vcc_lo
; %bb.359:
	s_or_b32 exec_lo, exec_lo, s2
	v_mov_b32_e32 v1, v3
.LBB186_360:
	s_or_b32 exec_lo, exec_lo, s1
	v_or_b32_e32 v2, 16, v2
	s_mov_b32 s1, exec_lo
	ds_bpermute_b32 v2, v2, v1
	v_cmpx_o_f32_e32 v1, v1
	s_cbranch_execz .LBB186_364
; %bb.361:
	s_mov_b32 s2, exec_lo
	s_waitcnt lgkmcnt(0)
	v_cmpx_o_f32_e32 v2, v2
; %bb.362:
	v_cmp_lt_f32_e32 vcc_lo, v1, v2
	v_cndmask_b32_e32 v2, v1, v2, vcc_lo
; %bb.363:
	s_or_b32 exec_lo, exec_lo, s2
	v_mov_b32_e32 v1, v2
.LBB186_364:
	s_or_b32 exec_lo, exec_lo, s1
.LBB186_365:
	s_or_b32 exec_lo, exec_lo, s0
.LBB186_366:
	s_mov_b32 s0, exec_lo
                                        ; implicit-def: $vgpr2
	v_cmpx_eq_u32_e32 0, v0
	s_cbranch_execz .LBB186_372
; %bb.367:
	v_cmp_u_f32_e64 s1, s16, s16
	s_waitcnt lgkmcnt(0)
	v_mov_b32_e32 v2, s16
	s_and_b32 vcc_lo, exec_lo, s1
	s_cbranch_vccnz .LBB186_371
; %bb.368:
	s_mov_b32 s1, exec_lo
	v_cmpx_o_f32_e32 v1, v1
; %bb.369:
	v_cmp_lt_f32_e32 vcc_lo, s16, v1
	v_cndmask_b32_e32 v1, s16, v1, vcc_lo
; %bb.370:
	s_or_b32 exec_lo, exec_lo, s1
	v_mov_b32_e32 v2, v1
.LBB186_371:
	s_or_b32 s17, s17, exec_lo
.LBB186_372:
	s_or_b32 exec_lo, exec_lo, s0
	s_and_saveexec_b32 s0, s17
	s_cbranch_execz .LBB186_374
.LBB186_373:
	s_lshl_b64 s[0:1], s[12:13], 2
	v_mov_b32_e32 v0, 0
	s_add_u32 s2, s10, s0
	s_addc_u32 s3, s11, s1
	s_lshl_b64 s[0:1], s[6:7], 2
	s_add_u32 s0, s2, s0
	s_addc_u32 s1, s3, s1
	s_waitcnt lgkmcnt(0)
	global_store_dword v0, v2, s[0:1]
.LBB186_374:
	s_endpgm
	.section	.rodata,"a",@progbits
	.p2align	6, 0x0
	.amdhsa_kernel _ZN7rocprim17ROCPRIM_400000_NS6detail17trampoline_kernelINS0_14default_configENS1_32segmented_reduce_config_selectorIfEEZNS1_21segmented_reduce_implIS3_PKfPfPKlfN6hipcub16HIPCUB_304000_NS6detail27convert_result_type_wrapperIS8_S9_N2at6native12_GLOBAL__N_19CustomMaxEEEEE10hipError_tPvRmT0_T1_jT2_SQ_T4_T3_P12ihipStream_tbEUlT_E_NS1_11comp_targetILNS1_3genE8ELNS1_11target_archE1030ELNS1_3gpuE2ELNS1_3repE0EEENS1_30default_config_static_selectorELNS0_4arch9wavefront6targetE0EEEvSP_
		.amdhsa_group_segment_fixed_size 32
		.amdhsa_private_segment_fixed_size 0
		.amdhsa_kernarg_size 48
		.amdhsa_user_sgpr_count 6
		.amdhsa_user_sgpr_private_segment_buffer 1
		.amdhsa_user_sgpr_dispatch_ptr 0
		.amdhsa_user_sgpr_queue_ptr 0
		.amdhsa_user_sgpr_kernarg_segment_ptr 1
		.amdhsa_user_sgpr_dispatch_id 0
		.amdhsa_user_sgpr_flat_scratch_init 0
		.amdhsa_user_sgpr_private_segment_size 0
		.amdhsa_wavefront_size32 1
		.amdhsa_uses_dynamic_stack 0
		.amdhsa_system_sgpr_private_segment_wavefront_offset 0
		.amdhsa_system_sgpr_workgroup_id_x 1
		.amdhsa_system_sgpr_workgroup_id_y 0
		.amdhsa_system_sgpr_workgroup_id_z 0
		.amdhsa_system_sgpr_workgroup_info 0
		.amdhsa_system_vgpr_workitem_id 0
		.amdhsa_next_free_vgpr 33
		.amdhsa_next_free_sgpr 21
		.amdhsa_reserve_vcc 1
		.amdhsa_reserve_flat_scratch 0
		.amdhsa_float_round_mode_32 0
		.amdhsa_float_round_mode_16_64 0
		.amdhsa_float_denorm_mode_32 3
		.amdhsa_float_denorm_mode_16_64 3
		.amdhsa_dx10_clamp 1
		.amdhsa_ieee_mode 1
		.amdhsa_fp16_overflow 0
		.amdhsa_workgroup_processor_mode 1
		.amdhsa_memory_ordered 1
		.amdhsa_forward_progress 1
		.amdhsa_shared_vgpr_count 0
		.amdhsa_exception_fp_ieee_invalid_op 0
		.amdhsa_exception_fp_denorm_src 0
		.amdhsa_exception_fp_ieee_div_zero 0
		.amdhsa_exception_fp_ieee_overflow 0
		.amdhsa_exception_fp_ieee_underflow 0
		.amdhsa_exception_fp_ieee_inexact 0
		.amdhsa_exception_int_div_zero 0
	.end_amdhsa_kernel
	.section	.text._ZN7rocprim17ROCPRIM_400000_NS6detail17trampoline_kernelINS0_14default_configENS1_32segmented_reduce_config_selectorIfEEZNS1_21segmented_reduce_implIS3_PKfPfPKlfN6hipcub16HIPCUB_304000_NS6detail27convert_result_type_wrapperIS8_S9_N2at6native12_GLOBAL__N_19CustomMaxEEEEE10hipError_tPvRmT0_T1_jT2_SQ_T4_T3_P12ihipStream_tbEUlT_E_NS1_11comp_targetILNS1_3genE8ELNS1_11target_archE1030ELNS1_3gpuE2ELNS1_3repE0EEENS1_30default_config_static_selectorELNS0_4arch9wavefront6targetE0EEEvSP_,"axG",@progbits,_ZN7rocprim17ROCPRIM_400000_NS6detail17trampoline_kernelINS0_14default_configENS1_32segmented_reduce_config_selectorIfEEZNS1_21segmented_reduce_implIS3_PKfPfPKlfN6hipcub16HIPCUB_304000_NS6detail27convert_result_type_wrapperIS8_S9_N2at6native12_GLOBAL__N_19CustomMaxEEEEE10hipError_tPvRmT0_T1_jT2_SQ_T4_T3_P12ihipStream_tbEUlT_E_NS1_11comp_targetILNS1_3genE8ELNS1_11target_archE1030ELNS1_3gpuE2ELNS1_3repE0EEENS1_30default_config_static_selectorELNS0_4arch9wavefront6targetE0EEEvSP_,comdat
.Lfunc_end186:
	.size	_ZN7rocprim17ROCPRIM_400000_NS6detail17trampoline_kernelINS0_14default_configENS1_32segmented_reduce_config_selectorIfEEZNS1_21segmented_reduce_implIS3_PKfPfPKlfN6hipcub16HIPCUB_304000_NS6detail27convert_result_type_wrapperIS8_S9_N2at6native12_GLOBAL__N_19CustomMaxEEEEE10hipError_tPvRmT0_T1_jT2_SQ_T4_T3_P12ihipStream_tbEUlT_E_NS1_11comp_targetILNS1_3genE8ELNS1_11target_archE1030ELNS1_3gpuE2ELNS1_3repE0EEENS1_30default_config_static_selectorELNS0_4arch9wavefront6targetE0EEEvSP_, .Lfunc_end186-_ZN7rocprim17ROCPRIM_400000_NS6detail17trampoline_kernelINS0_14default_configENS1_32segmented_reduce_config_selectorIfEEZNS1_21segmented_reduce_implIS3_PKfPfPKlfN6hipcub16HIPCUB_304000_NS6detail27convert_result_type_wrapperIS8_S9_N2at6native12_GLOBAL__N_19CustomMaxEEEEE10hipError_tPvRmT0_T1_jT2_SQ_T4_T3_P12ihipStream_tbEUlT_E_NS1_11comp_targetILNS1_3genE8ELNS1_11target_archE1030ELNS1_3gpuE2ELNS1_3repE0EEENS1_30default_config_static_selectorELNS0_4arch9wavefront6targetE0EEEvSP_
                                        ; -- End function
	.set _ZN7rocprim17ROCPRIM_400000_NS6detail17trampoline_kernelINS0_14default_configENS1_32segmented_reduce_config_selectorIfEEZNS1_21segmented_reduce_implIS3_PKfPfPKlfN6hipcub16HIPCUB_304000_NS6detail27convert_result_type_wrapperIS8_S9_N2at6native12_GLOBAL__N_19CustomMaxEEEEE10hipError_tPvRmT0_T1_jT2_SQ_T4_T3_P12ihipStream_tbEUlT_E_NS1_11comp_targetILNS1_3genE8ELNS1_11target_archE1030ELNS1_3gpuE2ELNS1_3repE0EEENS1_30default_config_static_selectorELNS0_4arch9wavefront6targetE0EEEvSP_.num_vgpr, 33
	.set _ZN7rocprim17ROCPRIM_400000_NS6detail17trampoline_kernelINS0_14default_configENS1_32segmented_reduce_config_selectorIfEEZNS1_21segmented_reduce_implIS3_PKfPfPKlfN6hipcub16HIPCUB_304000_NS6detail27convert_result_type_wrapperIS8_S9_N2at6native12_GLOBAL__N_19CustomMaxEEEEE10hipError_tPvRmT0_T1_jT2_SQ_T4_T3_P12ihipStream_tbEUlT_E_NS1_11comp_targetILNS1_3genE8ELNS1_11target_archE1030ELNS1_3gpuE2ELNS1_3repE0EEENS1_30default_config_static_selectorELNS0_4arch9wavefront6targetE0EEEvSP_.num_agpr, 0
	.set _ZN7rocprim17ROCPRIM_400000_NS6detail17trampoline_kernelINS0_14default_configENS1_32segmented_reduce_config_selectorIfEEZNS1_21segmented_reduce_implIS3_PKfPfPKlfN6hipcub16HIPCUB_304000_NS6detail27convert_result_type_wrapperIS8_S9_N2at6native12_GLOBAL__N_19CustomMaxEEEEE10hipError_tPvRmT0_T1_jT2_SQ_T4_T3_P12ihipStream_tbEUlT_E_NS1_11comp_targetILNS1_3genE8ELNS1_11target_archE1030ELNS1_3gpuE2ELNS1_3repE0EEENS1_30default_config_static_selectorELNS0_4arch9wavefront6targetE0EEEvSP_.numbered_sgpr, 21
	.set _ZN7rocprim17ROCPRIM_400000_NS6detail17trampoline_kernelINS0_14default_configENS1_32segmented_reduce_config_selectorIfEEZNS1_21segmented_reduce_implIS3_PKfPfPKlfN6hipcub16HIPCUB_304000_NS6detail27convert_result_type_wrapperIS8_S9_N2at6native12_GLOBAL__N_19CustomMaxEEEEE10hipError_tPvRmT0_T1_jT2_SQ_T4_T3_P12ihipStream_tbEUlT_E_NS1_11comp_targetILNS1_3genE8ELNS1_11target_archE1030ELNS1_3gpuE2ELNS1_3repE0EEENS1_30default_config_static_selectorELNS0_4arch9wavefront6targetE0EEEvSP_.num_named_barrier, 0
	.set _ZN7rocprim17ROCPRIM_400000_NS6detail17trampoline_kernelINS0_14default_configENS1_32segmented_reduce_config_selectorIfEEZNS1_21segmented_reduce_implIS3_PKfPfPKlfN6hipcub16HIPCUB_304000_NS6detail27convert_result_type_wrapperIS8_S9_N2at6native12_GLOBAL__N_19CustomMaxEEEEE10hipError_tPvRmT0_T1_jT2_SQ_T4_T3_P12ihipStream_tbEUlT_E_NS1_11comp_targetILNS1_3genE8ELNS1_11target_archE1030ELNS1_3gpuE2ELNS1_3repE0EEENS1_30default_config_static_selectorELNS0_4arch9wavefront6targetE0EEEvSP_.private_seg_size, 0
	.set _ZN7rocprim17ROCPRIM_400000_NS6detail17trampoline_kernelINS0_14default_configENS1_32segmented_reduce_config_selectorIfEEZNS1_21segmented_reduce_implIS3_PKfPfPKlfN6hipcub16HIPCUB_304000_NS6detail27convert_result_type_wrapperIS8_S9_N2at6native12_GLOBAL__N_19CustomMaxEEEEE10hipError_tPvRmT0_T1_jT2_SQ_T4_T3_P12ihipStream_tbEUlT_E_NS1_11comp_targetILNS1_3genE8ELNS1_11target_archE1030ELNS1_3gpuE2ELNS1_3repE0EEENS1_30default_config_static_selectorELNS0_4arch9wavefront6targetE0EEEvSP_.uses_vcc, 1
	.set _ZN7rocprim17ROCPRIM_400000_NS6detail17trampoline_kernelINS0_14default_configENS1_32segmented_reduce_config_selectorIfEEZNS1_21segmented_reduce_implIS3_PKfPfPKlfN6hipcub16HIPCUB_304000_NS6detail27convert_result_type_wrapperIS8_S9_N2at6native12_GLOBAL__N_19CustomMaxEEEEE10hipError_tPvRmT0_T1_jT2_SQ_T4_T3_P12ihipStream_tbEUlT_E_NS1_11comp_targetILNS1_3genE8ELNS1_11target_archE1030ELNS1_3gpuE2ELNS1_3repE0EEENS1_30default_config_static_selectorELNS0_4arch9wavefront6targetE0EEEvSP_.uses_flat_scratch, 0
	.set _ZN7rocprim17ROCPRIM_400000_NS6detail17trampoline_kernelINS0_14default_configENS1_32segmented_reduce_config_selectorIfEEZNS1_21segmented_reduce_implIS3_PKfPfPKlfN6hipcub16HIPCUB_304000_NS6detail27convert_result_type_wrapperIS8_S9_N2at6native12_GLOBAL__N_19CustomMaxEEEEE10hipError_tPvRmT0_T1_jT2_SQ_T4_T3_P12ihipStream_tbEUlT_E_NS1_11comp_targetILNS1_3genE8ELNS1_11target_archE1030ELNS1_3gpuE2ELNS1_3repE0EEENS1_30default_config_static_selectorELNS0_4arch9wavefront6targetE0EEEvSP_.has_dyn_sized_stack, 0
	.set _ZN7rocprim17ROCPRIM_400000_NS6detail17trampoline_kernelINS0_14default_configENS1_32segmented_reduce_config_selectorIfEEZNS1_21segmented_reduce_implIS3_PKfPfPKlfN6hipcub16HIPCUB_304000_NS6detail27convert_result_type_wrapperIS8_S9_N2at6native12_GLOBAL__N_19CustomMaxEEEEE10hipError_tPvRmT0_T1_jT2_SQ_T4_T3_P12ihipStream_tbEUlT_E_NS1_11comp_targetILNS1_3genE8ELNS1_11target_archE1030ELNS1_3gpuE2ELNS1_3repE0EEENS1_30default_config_static_selectorELNS0_4arch9wavefront6targetE0EEEvSP_.has_recursion, 0
	.set _ZN7rocprim17ROCPRIM_400000_NS6detail17trampoline_kernelINS0_14default_configENS1_32segmented_reduce_config_selectorIfEEZNS1_21segmented_reduce_implIS3_PKfPfPKlfN6hipcub16HIPCUB_304000_NS6detail27convert_result_type_wrapperIS8_S9_N2at6native12_GLOBAL__N_19CustomMaxEEEEE10hipError_tPvRmT0_T1_jT2_SQ_T4_T3_P12ihipStream_tbEUlT_E_NS1_11comp_targetILNS1_3genE8ELNS1_11target_archE1030ELNS1_3gpuE2ELNS1_3repE0EEENS1_30default_config_static_selectorELNS0_4arch9wavefront6targetE0EEEvSP_.has_indirect_call, 0
	.section	.AMDGPU.csdata,"",@progbits
; Kernel info:
; codeLenInByte = 6484
; TotalNumSgprs: 23
; NumVgprs: 33
; ScratchSize: 0
; MemoryBound: 0
; FloatMode: 240
; IeeeMode: 1
; LDSByteSize: 32 bytes/workgroup (compile time only)
; SGPRBlocks: 0
; VGPRBlocks: 4
; NumSGPRsForWavesPerEU: 23
; NumVGPRsForWavesPerEU: 33
; Occupancy: 16
; WaveLimiterHint : 1
; COMPUTE_PGM_RSRC2:SCRATCH_EN: 0
; COMPUTE_PGM_RSRC2:USER_SGPR: 6
; COMPUTE_PGM_RSRC2:TRAP_HANDLER: 0
; COMPUTE_PGM_RSRC2:TGID_X_EN: 1
; COMPUTE_PGM_RSRC2:TGID_Y_EN: 0
; COMPUTE_PGM_RSRC2:TGID_Z_EN: 0
; COMPUTE_PGM_RSRC2:TIDIG_COMP_CNT: 0
	.section	.text._ZN7rocprim17ROCPRIM_400000_NS6detail17trampoline_kernelINS0_14default_configENS1_32segmented_reduce_config_selectorIfEEZNS1_21segmented_reduce_implIS3_PKfPfPKlfN6hipcub16HIPCUB_304000_NS6detail27convert_result_type_wrapperIS8_S9_N2at6native12_GLOBAL__N_19CustomSumEEEEE10hipError_tPvRmT0_T1_jT2_SQ_T4_T3_P12ihipStream_tbEUlT_E_NS1_11comp_targetILNS1_3genE0ELNS1_11target_archE4294967295ELNS1_3gpuE0ELNS1_3repE0EEENS1_30default_config_static_selectorELNS0_4arch9wavefront6targetE0EEEvSP_,"axG",@progbits,_ZN7rocprim17ROCPRIM_400000_NS6detail17trampoline_kernelINS0_14default_configENS1_32segmented_reduce_config_selectorIfEEZNS1_21segmented_reduce_implIS3_PKfPfPKlfN6hipcub16HIPCUB_304000_NS6detail27convert_result_type_wrapperIS8_S9_N2at6native12_GLOBAL__N_19CustomSumEEEEE10hipError_tPvRmT0_T1_jT2_SQ_T4_T3_P12ihipStream_tbEUlT_E_NS1_11comp_targetILNS1_3genE0ELNS1_11target_archE4294967295ELNS1_3gpuE0ELNS1_3repE0EEENS1_30default_config_static_selectorELNS0_4arch9wavefront6targetE0EEEvSP_,comdat
	.globl	_ZN7rocprim17ROCPRIM_400000_NS6detail17trampoline_kernelINS0_14default_configENS1_32segmented_reduce_config_selectorIfEEZNS1_21segmented_reduce_implIS3_PKfPfPKlfN6hipcub16HIPCUB_304000_NS6detail27convert_result_type_wrapperIS8_S9_N2at6native12_GLOBAL__N_19CustomSumEEEEE10hipError_tPvRmT0_T1_jT2_SQ_T4_T3_P12ihipStream_tbEUlT_E_NS1_11comp_targetILNS1_3genE0ELNS1_11target_archE4294967295ELNS1_3gpuE0ELNS1_3repE0EEENS1_30default_config_static_selectorELNS0_4arch9wavefront6targetE0EEEvSP_ ; -- Begin function _ZN7rocprim17ROCPRIM_400000_NS6detail17trampoline_kernelINS0_14default_configENS1_32segmented_reduce_config_selectorIfEEZNS1_21segmented_reduce_implIS3_PKfPfPKlfN6hipcub16HIPCUB_304000_NS6detail27convert_result_type_wrapperIS8_S9_N2at6native12_GLOBAL__N_19CustomSumEEEEE10hipError_tPvRmT0_T1_jT2_SQ_T4_T3_P12ihipStream_tbEUlT_E_NS1_11comp_targetILNS1_3genE0ELNS1_11target_archE4294967295ELNS1_3gpuE0ELNS1_3repE0EEENS1_30default_config_static_selectorELNS0_4arch9wavefront6targetE0EEEvSP_
	.p2align	8
	.type	_ZN7rocprim17ROCPRIM_400000_NS6detail17trampoline_kernelINS0_14default_configENS1_32segmented_reduce_config_selectorIfEEZNS1_21segmented_reduce_implIS3_PKfPfPKlfN6hipcub16HIPCUB_304000_NS6detail27convert_result_type_wrapperIS8_S9_N2at6native12_GLOBAL__N_19CustomSumEEEEE10hipError_tPvRmT0_T1_jT2_SQ_T4_T3_P12ihipStream_tbEUlT_E_NS1_11comp_targetILNS1_3genE0ELNS1_11target_archE4294967295ELNS1_3gpuE0ELNS1_3repE0EEENS1_30default_config_static_selectorELNS0_4arch9wavefront6targetE0EEEvSP_,@function
_ZN7rocprim17ROCPRIM_400000_NS6detail17trampoline_kernelINS0_14default_configENS1_32segmented_reduce_config_selectorIfEEZNS1_21segmented_reduce_implIS3_PKfPfPKlfN6hipcub16HIPCUB_304000_NS6detail27convert_result_type_wrapperIS8_S9_N2at6native12_GLOBAL__N_19CustomSumEEEEE10hipError_tPvRmT0_T1_jT2_SQ_T4_T3_P12ihipStream_tbEUlT_E_NS1_11comp_targetILNS1_3genE0ELNS1_11target_archE4294967295ELNS1_3gpuE0ELNS1_3repE0EEENS1_30default_config_static_selectorELNS0_4arch9wavefront6targetE0EEEvSP_: ; @_ZN7rocprim17ROCPRIM_400000_NS6detail17trampoline_kernelINS0_14default_configENS1_32segmented_reduce_config_selectorIfEEZNS1_21segmented_reduce_implIS3_PKfPfPKlfN6hipcub16HIPCUB_304000_NS6detail27convert_result_type_wrapperIS8_S9_N2at6native12_GLOBAL__N_19CustomSumEEEEE10hipError_tPvRmT0_T1_jT2_SQ_T4_T3_P12ihipStream_tbEUlT_E_NS1_11comp_targetILNS1_3genE0ELNS1_11target_archE4294967295ELNS1_3gpuE0ELNS1_3repE0EEENS1_30default_config_static_selectorELNS0_4arch9wavefront6targetE0EEEvSP_
; %bb.0:
	.section	.rodata,"a",@progbits
	.p2align	6, 0x0
	.amdhsa_kernel _ZN7rocprim17ROCPRIM_400000_NS6detail17trampoline_kernelINS0_14default_configENS1_32segmented_reduce_config_selectorIfEEZNS1_21segmented_reduce_implIS3_PKfPfPKlfN6hipcub16HIPCUB_304000_NS6detail27convert_result_type_wrapperIS8_S9_N2at6native12_GLOBAL__N_19CustomSumEEEEE10hipError_tPvRmT0_T1_jT2_SQ_T4_T3_P12ihipStream_tbEUlT_E_NS1_11comp_targetILNS1_3genE0ELNS1_11target_archE4294967295ELNS1_3gpuE0ELNS1_3repE0EEENS1_30default_config_static_selectorELNS0_4arch9wavefront6targetE0EEEvSP_
		.amdhsa_group_segment_fixed_size 0
		.amdhsa_private_segment_fixed_size 0
		.amdhsa_kernarg_size 48
		.amdhsa_user_sgpr_count 6
		.amdhsa_user_sgpr_private_segment_buffer 1
		.amdhsa_user_sgpr_dispatch_ptr 0
		.amdhsa_user_sgpr_queue_ptr 0
		.amdhsa_user_sgpr_kernarg_segment_ptr 1
		.amdhsa_user_sgpr_dispatch_id 0
		.amdhsa_user_sgpr_flat_scratch_init 0
		.amdhsa_user_sgpr_private_segment_size 0
		.amdhsa_wavefront_size32 1
		.amdhsa_uses_dynamic_stack 0
		.amdhsa_system_sgpr_private_segment_wavefront_offset 0
		.amdhsa_system_sgpr_workgroup_id_x 1
		.amdhsa_system_sgpr_workgroup_id_y 0
		.amdhsa_system_sgpr_workgroup_id_z 0
		.amdhsa_system_sgpr_workgroup_info 0
		.amdhsa_system_vgpr_workitem_id 0
		.amdhsa_next_free_vgpr 1
		.amdhsa_next_free_sgpr 1
		.amdhsa_reserve_vcc 0
		.amdhsa_reserve_flat_scratch 0
		.amdhsa_float_round_mode_32 0
		.amdhsa_float_round_mode_16_64 0
		.amdhsa_float_denorm_mode_32 3
		.amdhsa_float_denorm_mode_16_64 3
		.amdhsa_dx10_clamp 1
		.amdhsa_ieee_mode 1
		.amdhsa_fp16_overflow 0
		.amdhsa_workgroup_processor_mode 1
		.amdhsa_memory_ordered 1
		.amdhsa_forward_progress 1
		.amdhsa_shared_vgpr_count 0
		.amdhsa_exception_fp_ieee_invalid_op 0
		.amdhsa_exception_fp_denorm_src 0
		.amdhsa_exception_fp_ieee_div_zero 0
		.amdhsa_exception_fp_ieee_overflow 0
		.amdhsa_exception_fp_ieee_underflow 0
		.amdhsa_exception_fp_ieee_inexact 0
		.amdhsa_exception_int_div_zero 0
	.end_amdhsa_kernel
	.section	.text._ZN7rocprim17ROCPRIM_400000_NS6detail17trampoline_kernelINS0_14default_configENS1_32segmented_reduce_config_selectorIfEEZNS1_21segmented_reduce_implIS3_PKfPfPKlfN6hipcub16HIPCUB_304000_NS6detail27convert_result_type_wrapperIS8_S9_N2at6native12_GLOBAL__N_19CustomSumEEEEE10hipError_tPvRmT0_T1_jT2_SQ_T4_T3_P12ihipStream_tbEUlT_E_NS1_11comp_targetILNS1_3genE0ELNS1_11target_archE4294967295ELNS1_3gpuE0ELNS1_3repE0EEENS1_30default_config_static_selectorELNS0_4arch9wavefront6targetE0EEEvSP_,"axG",@progbits,_ZN7rocprim17ROCPRIM_400000_NS6detail17trampoline_kernelINS0_14default_configENS1_32segmented_reduce_config_selectorIfEEZNS1_21segmented_reduce_implIS3_PKfPfPKlfN6hipcub16HIPCUB_304000_NS6detail27convert_result_type_wrapperIS8_S9_N2at6native12_GLOBAL__N_19CustomSumEEEEE10hipError_tPvRmT0_T1_jT2_SQ_T4_T3_P12ihipStream_tbEUlT_E_NS1_11comp_targetILNS1_3genE0ELNS1_11target_archE4294967295ELNS1_3gpuE0ELNS1_3repE0EEENS1_30default_config_static_selectorELNS0_4arch9wavefront6targetE0EEEvSP_,comdat
.Lfunc_end187:
	.size	_ZN7rocprim17ROCPRIM_400000_NS6detail17trampoline_kernelINS0_14default_configENS1_32segmented_reduce_config_selectorIfEEZNS1_21segmented_reduce_implIS3_PKfPfPKlfN6hipcub16HIPCUB_304000_NS6detail27convert_result_type_wrapperIS8_S9_N2at6native12_GLOBAL__N_19CustomSumEEEEE10hipError_tPvRmT0_T1_jT2_SQ_T4_T3_P12ihipStream_tbEUlT_E_NS1_11comp_targetILNS1_3genE0ELNS1_11target_archE4294967295ELNS1_3gpuE0ELNS1_3repE0EEENS1_30default_config_static_selectorELNS0_4arch9wavefront6targetE0EEEvSP_, .Lfunc_end187-_ZN7rocprim17ROCPRIM_400000_NS6detail17trampoline_kernelINS0_14default_configENS1_32segmented_reduce_config_selectorIfEEZNS1_21segmented_reduce_implIS3_PKfPfPKlfN6hipcub16HIPCUB_304000_NS6detail27convert_result_type_wrapperIS8_S9_N2at6native12_GLOBAL__N_19CustomSumEEEEE10hipError_tPvRmT0_T1_jT2_SQ_T4_T3_P12ihipStream_tbEUlT_E_NS1_11comp_targetILNS1_3genE0ELNS1_11target_archE4294967295ELNS1_3gpuE0ELNS1_3repE0EEENS1_30default_config_static_selectorELNS0_4arch9wavefront6targetE0EEEvSP_
                                        ; -- End function
	.set _ZN7rocprim17ROCPRIM_400000_NS6detail17trampoline_kernelINS0_14default_configENS1_32segmented_reduce_config_selectorIfEEZNS1_21segmented_reduce_implIS3_PKfPfPKlfN6hipcub16HIPCUB_304000_NS6detail27convert_result_type_wrapperIS8_S9_N2at6native12_GLOBAL__N_19CustomSumEEEEE10hipError_tPvRmT0_T1_jT2_SQ_T4_T3_P12ihipStream_tbEUlT_E_NS1_11comp_targetILNS1_3genE0ELNS1_11target_archE4294967295ELNS1_3gpuE0ELNS1_3repE0EEENS1_30default_config_static_selectorELNS0_4arch9wavefront6targetE0EEEvSP_.num_vgpr, 0
	.set _ZN7rocprim17ROCPRIM_400000_NS6detail17trampoline_kernelINS0_14default_configENS1_32segmented_reduce_config_selectorIfEEZNS1_21segmented_reduce_implIS3_PKfPfPKlfN6hipcub16HIPCUB_304000_NS6detail27convert_result_type_wrapperIS8_S9_N2at6native12_GLOBAL__N_19CustomSumEEEEE10hipError_tPvRmT0_T1_jT2_SQ_T4_T3_P12ihipStream_tbEUlT_E_NS1_11comp_targetILNS1_3genE0ELNS1_11target_archE4294967295ELNS1_3gpuE0ELNS1_3repE0EEENS1_30default_config_static_selectorELNS0_4arch9wavefront6targetE0EEEvSP_.num_agpr, 0
	.set _ZN7rocprim17ROCPRIM_400000_NS6detail17trampoline_kernelINS0_14default_configENS1_32segmented_reduce_config_selectorIfEEZNS1_21segmented_reduce_implIS3_PKfPfPKlfN6hipcub16HIPCUB_304000_NS6detail27convert_result_type_wrapperIS8_S9_N2at6native12_GLOBAL__N_19CustomSumEEEEE10hipError_tPvRmT0_T1_jT2_SQ_T4_T3_P12ihipStream_tbEUlT_E_NS1_11comp_targetILNS1_3genE0ELNS1_11target_archE4294967295ELNS1_3gpuE0ELNS1_3repE0EEENS1_30default_config_static_selectorELNS0_4arch9wavefront6targetE0EEEvSP_.numbered_sgpr, 0
	.set _ZN7rocprim17ROCPRIM_400000_NS6detail17trampoline_kernelINS0_14default_configENS1_32segmented_reduce_config_selectorIfEEZNS1_21segmented_reduce_implIS3_PKfPfPKlfN6hipcub16HIPCUB_304000_NS6detail27convert_result_type_wrapperIS8_S9_N2at6native12_GLOBAL__N_19CustomSumEEEEE10hipError_tPvRmT0_T1_jT2_SQ_T4_T3_P12ihipStream_tbEUlT_E_NS1_11comp_targetILNS1_3genE0ELNS1_11target_archE4294967295ELNS1_3gpuE0ELNS1_3repE0EEENS1_30default_config_static_selectorELNS0_4arch9wavefront6targetE0EEEvSP_.num_named_barrier, 0
	.set _ZN7rocprim17ROCPRIM_400000_NS6detail17trampoline_kernelINS0_14default_configENS1_32segmented_reduce_config_selectorIfEEZNS1_21segmented_reduce_implIS3_PKfPfPKlfN6hipcub16HIPCUB_304000_NS6detail27convert_result_type_wrapperIS8_S9_N2at6native12_GLOBAL__N_19CustomSumEEEEE10hipError_tPvRmT0_T1_jT2_SQ_T4_T3_P12ihipStream_tbEUlT_E_NS1_11comp_targetILNS1_3genE0ELNS1_11target_archE4294967295ELNS1_3gpuE0ELNS1_3repE0EEENS1_30default_config_static_selectorELNS0_4arch9wavefront6targetE0EEEvSP_.private_seg_size, 0
	.set _ZN7rocprim17ROCPRIM_400000_NS6detail17trampoline_kernelINS0_14default_configENS1_32segmented_reduce_config_selectorIfEEZNS1_21segmented_reduce_implIS3_PKfPfPKlfN6hipcub16HIPCUB_304000_NS6detail27convert_result_type_wrapperIS8_S9_N2at6native12_GLOBAL__N_19CustomSumEEEEE10hipError_tPvRmT0_T1_jT2_SQ_T4_T3_P12ihipStream_tbEUlT_E_NS1_11comp_targetILNS1_3genE0ELNS1_11target_archE4294967295ELNS1_3gpuE0ELNS1_3repE0EEENS1_30default_config_static_selectorELNS0_4arch9wavefront6targetE0EEEvSP_.uses_vcc, 0
	.set _ZN7rocprim17ROCPRIM_400000_NS6detail17trampoline_kernelINS0_14default_configENS1_32segmented_reduce_config_selectorIfEEZNS1_21segmented_reduce_implIS3_PKfPfPKlfN6hipcub16HIPCUB_304000_NS6detail27convert_result_type_wrapperIS8_S9_N2at6native12_GLOBAL__N_19CustomSumEEEEE10hipError_tPvRmT0_T1_jT2_SQ_T4_T3_P12ihipStream_tbEUlT_E_NS1_11comp_targetILNS1_3genE0ELNS1_11target_archE4294967295ELNS1_3gpuE0ELNS1_3repE0EEENS1_30default_config_static_selectorELNS0_4arch9wavefront6targetE0EEEvSP_.uses_flat_scratch, 0
	.set _ZN7rocprim17ROCPRIM_400000_NS6detail17trampoline_kernelINS0_14default_configENS1_32segmented_reduce_config_selectorIfEEZNS1_21segmented_reduce_implIS3_PKfPfPKlfN6hipcub16HIPCUB_304000_NS6detail27convert_result_type_wrapperIS8_S9_N2at6native12_GLOBAL__N_19CustomSumEEEEE10hipError_tPvRmT0_T1_jT2_SQ_T4_T3_P12ihipStream_tbEUlT_E_NS1_11comp_targetILNS1_3genE0ELNS1_11target_archE4294967295ELNS1_3gpuE0ELNS1_3repE0EEENS1_30default_config_static_selectorELNS0_4arch9wavefront6targetE0EEEvSP_.has_dyn_sized_stack, 0
	.set _ZN7rocprim17ROCPRIM_400000_NS6detail17trampoline_kernelINS0_14default_configENS1_32segmented_reduce_config_selectorIfEEZNS1_21segmented_reduce_implIS3_PKfPfPKlfN6hipcub16HIPCUB_304000_NS6detail27convert_result_type_wrapperIS8_S9_N2at6native12_GLOBAL__N_19CustomSumEEEEE10hipError_tPvRmT0_T1_jT2_SQ_T4_T3_P12ihipStream_tbEUlT_E_NS1_11comp_targetILNS1_3genE0ELNS1_11target_archE4294967295ELNS1_3gpuE0ELNS1_3repE0EEENS1_30default_config_static_selectorELNS0_4arch9wavefront6targetE0EEEvSP_.has_recursion, 0
	.set _ZN7rocprim17ROCPRIM_400000_NS6detail17trampoline_kernelINS0_14default_configENS1_32segmented_reduce_config_selectorIfEEZNS1_21segmented_reduce_implIS3_PKfPfPKlfN6hipcub16HIPCUB_304000_NS6detail27convert_result_type_wrapperIS8_S9_N2at6native12_GLOBAL__N_19CustomSumEEEEE10hipError_tPvRmT0_T1_jT2_SQ_T4_T3_P12ihipStream_tbEUlT_E_NS1_11comp_targetILNS1_3genE0ELNS1_11target_archE4294967295ELNS1_3gpuE0ELNS1_3repE0EEENS1_30default_config_static_selectorELNS0_4arch9wavefront6targetE0EEEvSP_.has_indirect_call, 0
	.section	.AMDGPU.csdata,"",@progbits
; Kernel info:
; codeLenInByte = 0
; TotalNumSgprs: 0
; NumVgprs: 0
; ScratchSize: 0
; MemoryBound: 0
; FloatMode: 240
; IeeeMode: 1
; LDSByteSize: 0 bytes/workgroup (compile time only)
; SGPRBlocks: 0
; VGPRBlocks: 0
; NumSGPRsForWavesPerEU: 1
; NumVGPRsForWavesPerEU: 1
; Occupancy: 16
; WaveLimiterHint : 0
; COMPUTE_PGM_RSRC2:SCRATCH_EN: 0
; COMPUTE_PGM_RSRC2:USER_SGPR: 6
; COMPUTE_PGM_RSRC2:TRAP_HANDLER: 0
; COMPUTE_PGM_RSRC2:TGID_X_EN: 1
; COMPUTE_PGM_RSRC2:TGID_Y_EN: 0
; COMPUTE_PGM_RSRC2:TGID_Z_EN: 0
; COMPUTE_PGM_RSRC2:TIDIG_COMP_CNT: 0
	.section	.text._ZN7rocprim17ROCPRIM_400000_NS6detail17trampoline_kernelINS0_14default_configENS1_32segmented_reduce_config_selectorIfEEZNS1_21segmented_reduce_implIS3_PKfPfPKlfN6hipcub16HIPCUB_304000_NS6detail27convert_result_type_wrapperIS8_S9_N2at6native12_GLOBAL__N_19CustomSumEEEEE10hipError_tPvRmT0_T1_jT2_SQ_T4_T3_P12ihipStream_tbEUlT_E_NS1_11comp_targetILNS1_3genE5ELNS1_11target_archE942ELNS1_3gpuE9ELNS1_3repE0EEENS1_30default_config_static_selectorELNS0_4arch9wavefront6targetE0EEEvSP_,"axG",@progbits,_ZN7rocprim17ROCPRIM_400000_NS6detail17trampoline_kernelINS0_14default_configENS1_32segmented_reduce_config_selectorIfEEZNS1_21segmented_reduce_implIS3_PKfPfPKlfN6hipcub16HIPCUB_304000_NS6detail27convert_result_type_wrapperIS8_S9_N2at6native12_GLOBAL__N_19CustomSumEEEEE10hipError_tPvRmT0_T1_jT2_SQ_T4_T3_P12ihipStream_tbEUlT_E_NS1_11comp_targetILNS1_3genE5ELNS1_11target_archE942ELNS1_3gpuE9ELNS1_3repE0EEENS1_30default_config_static_selectorELNS0_4arch9wavefront6targetE0EEEvSP_,comdat
	.globl	_ZN7rocprim17ROCPRIM_400000_NS6detail17trampoline_kernelINS0_14default_configENS1_32segmented_reduce_config_selectorIfEEZNS1_21segmented_reduce_implIS3_PKfPfPKlfN6hipcub16HIPCUB_304000_NS6detail27convert_result_type_wrapperIS8_S9_N2at6native12_GLOBAL__N_19CustomSumEEEEE10hipError_tPvRmT0_T1_jT2_SQ_T4_T3_P12ihipStream_tbEUlT_E_NS1_11comp_targetILNS1_3genE5ELNS1_11target_archE942ELNS1_3gpuE9ELNS1_3repE0EEENS1_30default_config_static_selectorELNS0_4arch9wavefront6targetE0EEEvSP_ ; -- Begin function _ZN7rocprim17ROCPRIM_400000_NS6detail17trampoline_kernelINS0_14default_configENS1_32segmented_reduce_config_selectorIfEEZNS1_21segmented_reduce_implIS3_PKfPfPKlfN6hipcub16HIPCUB_304000_NS6detail27convert_result_type_wrapperIS8_S9_N2at6native12_GLOBAL__N_19CustomSumEEEEE10hipError_tPvRmT0_T1_jT2_SQ_T4_T3_P12ihipStream_tbEUlT_E_NS1_11comp_targetILNS1_3genE5ELNS1_11target_archE942ELNS1_3gpuE9ELNS1_3repE0EEENS1_30default_config_static_selectorELNS0_4arch9wavefront6targetE0EEEvSP_
	.p2align	8
	.type	_ZN7rocprim17ROCPRIM_400000_NS6detail17trampoline_kernelINS0_14default_configENS1_32segmented_reduce_config_selectorIfEEZNS1_21segmented_reduce_implIS3_PKfPfPKlfN6hipcub16HIPCUB_304000_NS6detail27convert_result_type_wrapperIS8_S9_N2at6native12_GLOBAL__N_19CustomSumEEEEE10hipError_tPvRmT0_T1_jT2_SQ_T4_T3_P12ihipStream_tbEUlT_E_NS1_11comp_targetILNS1_3genE5ELNS1_11target_archE942ELNS1_3gpuE9ELNS1_3repE0EEENS1_30default_config_static_selectorELNS0_4arch9wavefront6targetE0EEEvSP_,@function
_ZN7rocprim17ROCPRIM_400000_NS6detail17trampoline_kernelINS0_14default_configENS1_32segmented_reduce_config_selectorIfEEZNS1_21segmented_reduce_implIS3_PKfPfPKlfN6hipcub16HIPCUB_304000_NS6detail27convert_result_type_wrapperIS8_S9_N2at6native12_GLOBAL__N_19CustomSumEEEEE10hipError_tPvRmT0_T1_jT2_SQ_T4_T3_P12ihipStream_tbEUlT_E_NS1_11comp_targetILNS1_3genE5ELNS1_11target_archE942ELNS1_3gpuE9ELNS1_3repE0EEENS1_30default_config_static_selectorELNS0_4arch9wavefront6targetE0EEEvSP_: ; @_ZN7rocprim17ROCPRIM_400000_NS6detail17trampoline_kernelINS0_14default_configENS1_32segmented_reduce_config_selectorIfEEZNS1_21segmented_reduce_implIS3_PKfPfPKlfN6hipcub16HIPCUB_304000_NS6detail27convert_result_type_wrapperIS8_S9_N2at6native12_GLOBAL__N_19CustomSumEEEEE10hipError_tPvRmT0_T1_jT2_SQ_T4_T3_P12ihipStream_tbEUlT_E_NS1_11comp_targetILNS1_3genE5ELNS1_11target_archE942ELNS1_3gpuE9ELNS1_3repE0EEENS1_30default_config_static_selectorELNS0_4arch9wavefront6targetE0EEEvSP_
; %bb.0:
	.section	.rodata,"a",@progbits
	.p2align	6, 0x0
	.amdhsa_kernel _ZN7rocprim17ROCPRIM_400000_NS6detail17trampoline_kernelINS0_14default_configENS1_32segmented_reduce_config_selectorIfEEZNS1_21segmented_reduce_implIS3_PKfPfPKlfN6hipcub16HIPCUB_304000_NS6detail27convert_result_type_wrapperIS8_S9_N2at6native12_GLOBAL__N_19CustomSumEEEEE10hipError_tPvRmT0_T1_jT2_SQ_T4_T3_P12ihipStream_tbEUlT_E_NS1_11comp_targetILNS1_3genE5ELNS1_11target_archE942ELNS1_3gpuE9ELNS1_3repE0EEENS1_30default_config_static_selectorELNS0_4arch9wavefront6targetE0EEEvSP_
		.amdhsa_group_segment_fixed_size 0
		.amdhsa_private_segment_fixed_size 0
		.amdhsa_kernarg_size 48
		.amdhsa_user_sgpr_count 6
		.amdhsa_user_sgpr_private_segment_buffer 1
		.amdhsa_user_sgpr_dispatch_ptr 0
		.amdhsa_user_sgpr_queue_ptr 0
		.amdhsa_user_sgpr_kernarg_segment_ptr 1
		.amdhsa_user_sgpr_dispatch_id 0
		.amdhsa_user_sgpr_flat_scratch_init 0
		.amdhsa_user_sgpr_private_segment_size 0
		.amdhsa_wavefront_size32 1
		.amdhsa_uses_dynamic_stack 0
		.amdhsa_system_sgpr_private_segment_wavefront_offset 0
		.amdhsa_system_sgpr_workgroup_id_x 1
		.amdhsa_system_sgpr_workgroup_id_y 0
		.amdhsa_system_sgpr_workgroup_id_z 0
		.amdhsa_system_sgpr_workgroup_info 0
		.amdhsa_system_vgpr_workitem_id 0
		.amdhsa_next_free_vgpr 1
		.amdhsa_next_free_sgpr 1
		.amdhsa_reserve_vcc 0
		.amdhsa_reserve_flat_scratch 0
		.amdhsa_float_round_mode_32 0
		.amdhsa_float_round_mode_16_64 0
		.amdhsa_float_denorm_mode_32 3
		.amdhsa_float_denorm_mode_16_64 3
		.amdhsa_dx10_clamp 1
		.amdhsa_ieee_mode 1
		.amdhsa_fp16_overflow 0
		.amdhsa_workgroup_processor_mode 1
		.amdhsa_memory_ordered 1
		.amdhsa_forward_progress 1
		.amdhsa_shared_vgpr_count 0
		.amdhsa_exception_fp_ieee_invalid_op 0
		.amdhsa_exception_fp_denorm_src 0
		.amdhsa_exception_fp_ieee_div_zero 0
		.amdhsa_exception_fp_ieee_overflow 0
		.amdhsa_exception_fp_ieee_underflow 0
		.amdhsa_exception_fp_ieee_inexact 0
		.amdhsa_exception_int_div_zero 0
	.end_amdhsa_kernel
	.section	.text._ZN7rocprim17ROCPRIM_400000_NS6detail17trampoline_kernelINS0_14default_configENS1_32segmented_reduce_config_selectorIfEEZNS1_21segmented_reduce_implIS3_PKfPfPKlfN6hipcub16HIPCUB_304000_NS6detail27convert_result_type_wrapperIS8_S9_N2at6native12_GLOBAL__N_19CustomSumEEEEE10hipError_tPvRmT0_T1_jT2_SQ_T4_T3_P12ihipStream_tbEUlT_E_NS1_11comp_targetILNS1_3genE5ELNS1_11target_archE942ELNS1_3gpuE9ELNS1_3repE0EEENS1_30default_config_static_selectorELNS0_4arch9wavefront6targetE0EEEvSP_,"axG",@progbits,_ZN7rocprim17ROCPRIM_400000_NS6detail17trampoline_kernelINS0_14default_configENS1_32segmented_reduce_config_selectorIfEEZNS1_21segmented_reduce_implIS3_PKfPfPKlfN6hipcub16HIPCUB_304000_NS6detail27convert_result_type_wrapperIS8_S9_N2at6native12_GLOBAL__N_19CustomSumEEEEE10hipError_tPvRmT0_T1_jT2_SQ_T4_T3_P12ihipStream_tbEUlT_E_NS1_11comp_targetILNS1_3genE5ELNS1_11target_archE942ELNS1_3gpuE9ELNS1_3repE0EEENS1_30default_config_static_selectorELNS0_4arch9wavefront6targetE0EEEvSP_,comdat
.Lfunc_end188:
	.size	_ZN7rocprim17ROCPRIM_400000_NS6detail17trampoline_kernelINS0_14default_configENS1_32segmented_reduce_config_selectorIfEEZNS1_21segmented_reduce_implIS3_PKfPfPKlfN6hipcub16HIPCUB_304000_NS6detail27convert_result_type_wrapperIS8_S9_N2at6native12_GLOBAL__N_19CustomSumEEEEE10hipError_tPvRmT0_T1_jT2_SQ_T4_T3_P12ihipStream_tbEUlT_E_NS1_11comp_targetILNS1_3genE5ELNS1_11target_archE942ELNS1_3gpuE9ELNS1_3repE0EEENS1_30default_config_static_selectorELNS0_4arch9wavefront6targetE0EEEvSP_, .Lfunc_end188-_ZN7rocprim17ROCPRIM_400000_NS6detail17trampoline_kernelINS0_14default_configENS1_32segmented_reduce_config_selectorIfEEZNS1_21segmented_reduce_implIS3_PKfPfPKlfN6hipcub16HIPCUB_304000_NS6detail27convert_result_type_wrapperIS8_S9_N2at6native12_GLOBAL__N_19CustomSumEEEEE10hipError_tPvRmT0_T1_jT2_SQ_T4_T3_P12ihipStream_tbEUlT_E_NS1_11comp_targetILNS1_3genE5ELNS1_11target_archE942ELNS1_3gpuE9ELNS1_3repE0EEENS1_30default_config_static_selectorELNS0_4arch9wavefront6targetE0EEEvSP_
                                        ; -- End function
	.set _ZN7rocprim17ROCPRIM_400000_NS6detail17trampoline_kernelINS0_14default_configENS1_32segmented_reduce_config_selectorIfEEZNS1_21segmented_reduce_implIS3_PKfPfPKlfN6hipcub16HIPCUB_304000_NS6detail27convert_result_type_wrapperIS8_S9_N2at6native12_GLOBAL__N_19CustomSumEEEEE10hipError_tPvRmT0_T1_jT2_SQ_T4_T3_P12ihipStream_tbEUlT_E_NS1_11comp_targetILNS1_3genE5ELNS1_11target_archE942ELNS1_3gpuE9ELNS1_3repE0EEENS1_30default_config_static_selectorELNS0_4arch9wavefront6targetE0EEEvSP_.num_vgpr, 0
	.set _ZN7rocprim17ROCPRIM_400000_NS6detail17trampoline_kernelINS0_14default_configENS1_32segmented_reduce_config_selectorIfEEZNS1_21segmented_reduce_implIS3_PKfPfPKlfN6hipcub16HIPCUB_304000_NS6detail27convert_result_type_wrapperIS8_S9_N2at6native12_GLOBAL__N_19CustomSumEEEEE10hipError_tPvRmT0_T1_jT2_SQ_T4_T3_P12ihipStream_tbEUlT_E_NS1_11comp_targetILNS1_3genE5ELNS1_11target_archE942ELNS1_3gpuE9ELNS1_3repE0EEENS1_30default_config_static_selectorELNS0_4arch9wavefront6targetE0EEEvSP_.num_agpr, 0
	.set _ZN7rocprim17ROCPRIM_400000_NS6detail17trampoline_kernelINS0_14default_configENS1_32segmented_reduce_config_selectorIfEEZNS1_21segmented_reduce_implIS3_PKfPfPKlfN6hipcub16HIPCUB_304000_NS6detail27convert_result_type_wrapperIS8_S9_N2at6native12_GLOBAL__N_19CustomSumEEEEE10hipError_tPvRmT0_T1_jT2_SQ_T4_T3_P12ihipStream_tbEUlT_E_NS1_11comp_targetILNS1_3genE5ELNS1_11target_archE942ELNS1_3gpuE9ELNS1_3repE0EEENS1_30default_config_static_selectorELNS0_4arch9wavefront6targetE0EEEvSP_.numbered_sgpr, 0
	.set _ZN7rocprim17ROCPRIM_400000_NS6detail17trampoline_kernelINS0_14default_configENS1_32segmented_reduce_config_selectorIfEEZNS1_21segmented_reduce_implIS3_PKfPfPKlfN6hipcub16HIPCUB_304000_NS6detail27convert_result_type_wrapperIS8_S9_N2at6native12_GLOBAL__N_19CustomSumEEEEE10hipError_tPvRmT0_T1_jT2_SQ_T4_T3_P12ihipStream_tbEUlT_E_NS1_11comp_targetILNS1_3genE5ELNS1_11target_archE942ELNS1_3gpuE9ELNS1_3repE0EEENS1_30default_config_static_selectorELNS0_4arch9wavefront6targetE0EEEvSP_.num_named_barrier, 0
	.set _ZN7rocprim17ROCPRIM_400000_NS6detail17trampoline_kernelINS0_14default_configENS1_32segmented_reduce_config_selectorIfEEZNS1_21segmented_reduce_implIS3_PKfPfPKlfN6hipcub16HIPCUB_304000_NS6detail27convert_result_type_wrapperIS8_S9_N2at6native12_GLOBAL__N_19CustomSumEEEEE10hipError_tPvRmT0_T1_jT2_SQ_T4_T3_P12ihipStream_tbEUlT_E_NS1_11comp_targetILNS1_3genE5ELNS1_11target_archE942ELNS1_3gpuE9ELNS1_3repE0EEENS1_30default_config_static_selectorELNS0_4arch9wavefront6targetE0EEEvSP_.private_seg_size, 0
	.set _ZN7rocprim17ROCPRIM_400000_NS6detail17trampoline_kernelINS0_14default_configENS1_32segmented_reduce_config_selectorIfEEZNS1_21segmented_reduce_implIS3_PKfPfPKlfN6hipcub16HIPCUB_304000_NS6detail27convert_result_type_wrapperIS8_S9_N2at6native12_GLOBAL__N_19CustomSumEEEEE10hipError_tPvRmT0_T1_jT2_SQ_T4_T3_P12ihipStream_tbEUlT_E_NS1_11comp_targetILNS1_3genE5ELNS1_11target_archE942ELNS1_3gpuE9ELNS1_3repE0EEENS1_30default_config_static_selectorELNS0_4arch9wavefront6targetE0EEEvSP_.uses_vcc, 0
	.set _ZN7rocprim17ROCPRIM_400000_NS6detail17trampoline_kernelINS0_14default_configENS1_32segmented_reduce_config_selectorIfEEZNS1_21segmented_reduce_implIS3_PKfPfPKlfN6hipcub16HIPCUB_304000_NS6detail27convert_result_type_wrapperIS8_S9_N2at6native12_GLOBAL__N_19CustomSumEEEEE10hipError_tPvRmT0_T1_jT2_SQ_T4_T3_P12ihipStream_tbEUlT_E_NS1_11comp_targetILNS1_3genE5ELNS1_11target_archE942ELNS1_3gpuE9ELNS1_3repE0EEENS1_30default_config_static_selectorELNS0_4arch9wavefront6targetE0EEEvSP_.uses_flat_scratch, 0
	.set _ZN7rocprim17ROCPRIM_400000_NS6detail17trampoline_kernelINS0_14default_configENS1_32segmented_reduce_config_selectorIfEEZNS1_21segmented_reduce_implIS3_PKfPfPKlfN6hipcub16HIPCUB_304000_NS6detail27convert_result_type_wrapperIS8_S9_N2at6native12_GLOBAL__N_19CustomSumEEEEE10hipError_tPvRmT0_T1_jT2_SQ_T4_T3_P12ihipStream_tbEUlT_E_NS1_11comp_targetILNS1_3genE5ELNS1_11target_archE942ELNS1_3gpuE9ELNS1_3repE0EEENS1_30default_config_static_selectorELNS0_4arch9wavefront6targetE0EEEvSP_.has_dyn_sized_stack, 0
	.set _ZN7rocprim17ROCPRIM_400000_NS6detail17trampoline_kernelINS0_14default_configENS1_32segmented_reduce_config_selectorIfEEZNS1_21segmented_reduce_implIS3_PKfPfPKlfN6hipcub16HIPCUB_304000_NS6detail27convert_result_type_wrapperIS8_S9_N2at6native12_GLOBAL__N_19CustomSumEEEEE10hipError_tPvRmT0_T1_jT2_SQ_T4_T3_P12ihipStream_tbEUlT_E_NS1_11comp_targetILNS1_3genE5ELNS1_11target_archE942ELNS1_3gpuE9ELNS1_3repE0EEENS1_30default_config_static_selectorELNS0_4arch9wavefront6targetE0EEEvSP_.has_recursion, 0
	.set _ZN7rocprim17ROCPRIM_400000_NS6detail17trampoline_kernelINS0_14default_configENS1_32segmented_reduce_config_selectorIfEEZNS1_21segmented_reduce_implIS3_PKfPfPKlfN6hipcub16HIPCUB_304000_NS6detail27convert_result_type_wrapperIS8_S9_N2at6native12_GLOBAL__N_19CustomSumEEEEE10hipError_tPvRmT0_T1_jT2_SQ_T4_T3_P12ihipStream_tbEUlT_E_NS1_11comp_targetILNS1_3genE5ELNS1_11target_archE942ELNS1_3gpuE9ELNS1_3repE0EEENS1_30default_config_static_selectorELNS0_4arch9wavefront6targetE0EEEvSP_.has_indirect_call, 0
	.section	.AMDGPU.csdata,"",@progbits
; Kernel info:
; codeLenInByte = 0
; TotalNumSgprs: 0
; NumVgprs: 0
; ScratchSize: 0
; MemoryBound: 0
; FloatMode: 240
; IeeeMode: 1
; LDSByteSize: 0 bytes/workgroup (compile time only)
; SGPRBlocks: 0
; VGPRBlocks: 0
; NumSGPRsForWavesPerEU: 1
; NumVGPRsForWavesPerEU: 1
; Occupancy: 16
; WaveLimiterHint : 0
; COMPUTE_PGM_RSRC2:SCRATCH_EN: 0
; COMPUTE_PGM_RSRC2:USER_SGPR: 6
; COMPUTE_PGM_RSRC2:TRAP_HANDLER: 0
; COMPUTE_PGM_RSRC2:TGID_X_EN: 1
; COMPUTE_PGM_RSRC2:TGID_Y_EN: 0
; COMPUTE_PGM_RSRC2:TGID_Z_EN: 0
; COMPUTE_PGM_RSRC2:TIDIG_COMP_CNT: 0
	.section	.text._ZN7rocprim17ROCPRIM_400000_NS6detail17trampoline_kernelINS0_14default_configENS1_32segmented_reduce_config_selectorIfEEZNS1_21segmented_reduce_implIS3_PKfPfPKlfN6hipcub16HIPCUB_304000_NS6detail27convert_result_type_wrapperIS8_S9_N2at6native12_GLOBAL__N_19CustomSumEEEEE10hipError_tPvRmT0_T1_jT2_SQ_T4_T3_P12ihipStream_tbEUlT_E_NS1_11comp_targetILNS1_3genE10ELNS1_11target_archE1201ELNS1_3gpuE5ELNS1_3repE0EEENS1_30default_config_static_selectorELNS0_4arch9wavefront6targetE0EEEvSP_,"axG",@progbits,_ZN7rocprim17ROCPRIM_400000_NS6detail17trampoline_kernelINS0_14default_configENS1_32segmented_reduce_config_selectorIfEEZNS1_21segmented_reduce_implIS3_PKfPfPKlfN6hipcub16HIPCUB_304000_NS6detail27convert_result_type_wrapperIS8_S9_N2at6native12_GLOBAL__N_19CustomSumEEEEE10hipError_tPvRmT0_T1_jT2_SQ_T4_T3_P12ihipStream_tbEUlT_E_NS1_11comp_targetILNS1_3genE10ELNS1_11target_archE1201ELNS1_3gpuE5ELNS1_3repE0EEENS1_30default_config_static_selectorELNS0_4arch9wavefront6targetE0EEEvSP_,comdat
	.globl	_ZN7rocprim17ROCPRIM_400000_NS6detail17trampoline_kernelINS0_14default_configENS1_32segmented_reduce_config_selectorIfEEZNS1_21segmented_reduce_implIS3_PKfPfPKlfN6hipcub16HIPCUB_304000_NS6detail27convert_result_type_wrapperIS8_S9_N2at6native12_GLOBAL__N_19CustomSumEEEEE10hipError_tPvRmT0_T1_jT2_SQ_T4_T3_P12ihipStream_tbEUlT_E_NS1_11comp_targetILNS1_3genE10ELNS1_11target_archE1201ELNS1_3gpuE5ELNS1_3repE0EEENS1_30default_config_static_selectorELNS0_4arch9wavefront6targetE0EEEvSP_ ; -- Begin function _ZN7rocprim17ROCPRIM_400000_NS6detail17trampoline_kernelINS0_14default_configENS1_32segmented_reduce_config_selectorIfEEZNS1_21segmented_reduce_implIS3_PKfPfPKlfN6hipcub16HIPCUB_304000_NS6detail27convert_result_type_wrapperIS8_S9_N2at6native12_GLOBAL__N_19CustomSumEEEEE10hipError_tPvRmT0_T1_jT2_SQ_T4_T3_P12ihipStream_tbEUlT_E_NS1_11comp_targetILNS1_3genE10ELNS1_11target_archE1201ELNS1_3gpuE5ELNS1_3repE0EEENS1_30default_config_static_selectorELNS0_4arch9wavefront6targetE0EEEvSP_
	.p2align	8
	.type	_ZN7rocprim17ROCPRIM_400000_NS6detail17trampoline_kernelINS0_14default_configENS1_32segmented_reduce_config_selectorIfEEZNS1_21segmented_reduce_implIS3_PKfPfPKlfN6hipcub16HIPCUB_304000_NS6detail27convert_result_type_wrapperIS8_S9_N2at6native12_GLOBAL__N_19CustomSumEEEEE10hipError_tPvRmT0_T1_jT2_SQ_T4_T3_P12ihipStream_tbEUlT_E_NS1_11comp_targetILNS1_3genE10ELNS1_11target_archE1201ELNS1_3gpuE5ELNS1_3repE0EEENS1_30default_config_static_selectorELNS0_4arch9wavefront6targetE0EEEvSP_,@function
_ZN7rocprim17ROCPRIM_400000_NS6detail17trampoline_kernelINS0_14default_configENS1_32segmented_reduce_config_selectorIfEEZNS1_21segmented_reduce_implIS3_PKfPfPKlfN6hipcub16HIPCUB_304000_NS6detail27convert_result_type_wrapperIS8_S9_N2at6native12_GLOBAL__N_19CustomSumEEEEE10hipError_tPvRmT0_T1_jT2_SQ_T4_T3_P12ihipStream_tbEUlT_E_NS1_11comp_targetILNS1_3genE10ELNS1_11target_archE1201ELNS1_3gpuE5ELNS1_3repE0EEENS1_30default_config_static_selectorELNS0_4arch9wavefront6targetE0EEEvSP_: ; @_ZN7rocprim17ROCPRIM_400000_NS6detail17trampoline_kernelINS0_14default_configENS1_32segmented_reduce_config_selectorIfEEZNS1_21segmented_reduce_implIS3_PKfPfPKlfN6hipcub16HIPCUB_304000_NS6detail27convert_result_type_wrapperIS8_S9_N2at6native12_GLOBAL__N_19CustomSumEEEEE10hipError_tPvRmT0_T1_jT2_SQ_T4_T3_P12ihipStream_tbEUlT_E_NS1_11comp_targetILNS1_3genE10ELNS1_11target_archE1201ELNS1_3gpuE5ELNS1_3repE0EEENS1_30default_config_static_selectorELNS0_4arch9wavefront6targetE0EEEvSP_
; %bb.0:
	.section	.rodata,"a",@progbits
	.p2align	6, 0x0
	.amdhsa_kernel _ZN7rocprim17ROCPRIM_400000_NS6detail17trampoline_kernelINS0_14default_configENS1_32segmented_reduce_config_selectorIfEEZNS1_21segmented_reduce_implIS3_PKfPfPKlfN6hipcub16HIPCUB_304000_NS6detail27convert_result_type_wrapperIS8_S9_N2at6native12_GLOBAL__N_19CustomSumEEEEE10hipError_tPvRmT0_T1_jT2_SQ_T4_T3_P12ihipStream_tbEUlT_E_NS1_11comp_targetILNS1_3genE10ELNS1_11target_archE1201ELNS1_3gpuE5ELNS1_3repE0EEENS1_30default_config_static_selectorELNS0_4arch9wavefront6targetE0EEEvSP_
		.amdhsa_group_segment_fixed_size 0
		.amdhsa_private_segment_fixed_size 0
		.amdhsa_kernarg_size 48
		.amdhsa_user_sgpr_count 6
		.amdhsa_user_sgpr_private_segment_buffer 1
		.amdhsa_user_sgpr_dispatch_ptr 0
		.amdhsa_user_sgpr_queue_ptr 0
		.amdhsa_user_sgpr_kernarg_segment_ptr 1
		.amdhsa_user_sgpr_dispatch_id 0
		.amdhsa_user_sgpr_flat_scratch_init 0
		.amdhsa_user_sgpr_private_segment_size 0
		.amdhsa_wavefront_size32 1
		.amdhsa_uses_dynamic_stack 0
		.amdhsa_system_sgpr_private_segment_wavefront_offset 0
		.amdhsa_system_sgpr_workgroup_id_x 1
		.amdhsa_system_sgpr_workgroup_id_y 0
		.amdhsa_system_sgpr_workgroup_id_z 0
		.amdhsa_system_sgpr_workgroup_info 0
		.amdhsa_system_vgpr_workitem_id 0
		.amdhsa_next_free_vgpr 1
		.amdhsa_next_free_sgpr 1
		.amdhsa_reserve_vcc 0
		.amdhsa_reserve_flat_scratch 0
		.amdhsa_float_round_mode_32 0
		.amdhsa_float_round_mode_16_64 0
		.amdhsa_float_denorm_mode_32 3
		.amdhsa_float_denorm_mode_16_64 3
		.amdhsa_dx10_clamp 1
		.amdhsa_ieee_mode 1
		.amdhsa_fp16_overflow 0
		.amdhsa_workgroup_processor_mode 1
		.amdhsa_memory_ordered 1
		.amdhsa_forward_progress 1
		.amdhsa_shared_vgpr_count 0
		.amdhsa_exception_fp_ieee_invalid_op 0
		.amdhsa_exception_fp_denorm_src 0
		.amdhsa_exception_fp_ieee_div_zero 0
		.amdhsa_exception_fp_ieee_overflow 0
		.amdhsa_exception_fp_ieee_underflow 0
		.amdhsa_exception_fp_ieee_inexact 0
		.amdhsa_exception_int_div_zero 0
	.end_amdhsa_kernel
	.section	.text._ZN7rocprim17ROCPRIM_400000_NS6detail17trampoline_kernelINS0_14default_configENS1_32segmented_reduce_config_selectorIfEEZNS1_21segmented_reduce_implIS3_PKfPfPKlfN6hipcub16HIPCUB_304000_NS6detail27convert_result_type_wrapperIS8_S9_N2at6native12_GLOBAL__N_19CustomSumEEEEE10hipError_tPvRmT0_T1_jT2_SQ_T4_T3_P12ihipStream_tbEUlT_E_NS1_11comp_targetILNS1_3genE10ELNS1_11target_archE1201ELNS1_3gpuE5ELNS1_3repE0EEENS1_30default_config_static_selectorELNS0_4arch9wavefront6targetE0EEEvSP_,"axG",@progbits,_ZN7rocprim17ROCPRIM_400000_NS6detail17trampoline_kernelINS0_14default_configENS1_32segmented_reduce_config_selectorIfEEZNS1_21segmented_reduce_implIS3_PKfPfPKlfN6hipcub16HIPCUB_304000_NS6detail27convert_result_type_wrapperIS8_S9_N2at6native12_GLOBAL__N_19CustomSumEEEEE10hipError_tPvRmT0_T1_jT2_SQ_T4_T3_P12ihipStream_tbEUlT_E_NS1_11comp_targetILNS1_3genE10ELNS1_11target_archE1201ELNS1_3gpuE5ELNS1_3repE0EEENS1_30default_config_static_selectorELNS0_4arch9wavefront6targetE0EEEvSP_,comdat
.Lfunc_end189:
	.size	_ZN7rocprim17ROCPRIM_400000_NS6detail17trampoline_kernelINS0_14default_configENS1_32segmented_reduce_config_selectorIfEEZNS1_21segmented_reduce_implIS3_PKfPfPKlfN6hipcub16HIPCUB_304000_NS6detail27convert_result_type_wrapperIS8_S9_N2at6native12_GLOBAL__N_19CustomSumEEEEE10hipError_tPvRmT0_T1_jT2_SQ_T4_T3_P12ihipStream_tbEUlT_E_NS1_11comp_targetILNS1_3genE10ELNS1_11target_archE1201ELNS1_3gpuE5ELNS1_3repE0EEENS1_30default_config_static_selectorELNS0_4arch9wavefront6targetE0EEEvSP_, .Lfunc_end189-_ZN7rocprim17ROCPRIM_400000_NS6detail17trampoline_kernelINS0_14default_configENS1_32segmented_reduce_config_selectorIfEEZNS1_21segmented_reduce_implIS3_PKfPfPKlfN6hipcub16HIPCUB_304000_NS6detail27convert_result_type_wrapperIS8_S9_N2at6native12_GLOBAL__N_19CustomSumEEEEE10hipError_tPvRmT0_T1_jT2_SQ_T4_T3_P12ihipStream_tbEUlT_E_NS1_11comp_targetILNS1_3genE10ELNS1_11target_archE1201ELNS1_3gpuE5ELNS1_3repE0EEENS1_30default_config_static_selectorELNS0_4arch9wavefront6targetE0EEEvSP_
                                        ; -- End function
	.set _ZN7rocprim17ROCPRIM_400000_NS6detail17trampoline_kernelINS0_14default_configENS1_32segmented_reduce_config_selectorIfEEZNS1_21segmented_reduce_implIS3_PKfPfPKlfN6hipcub16HIPCUB_304000_NS6detail27convert_result_type_wrapperIS8_S9_N2at6native12_GLOBAL__N_19CustomSumEEEEE10hipError_tPvRmT0_T1_jT2_SQ_T4_T3_P12ihipStream_tbEUlT_E_NS1_11comp_targetILNS1_3genE10ELNS1_11target_archE1201ELNS1_3gpuE5ELNS1_3repE0EEENS1_30default_config_static_selectorELNS0_4arch9wavefront6targetE0EEEvSP_.num_vgpr, 0
	.set _ZN7rocprim17ROCPRIM_400000_NS6detail17trampoline_kernelINS0_14default_configENS1_32segmented_reduce_config_selectorIfEEZNS1_21segmented_reduce_implIS3_PKfPfPKlfN6hipcub16HIPCUB_304000_NS6detail27convert_result_type_wrapperIS8_S9_N2at6native12_GLOBAL__N_19CustomSumEEEEE10hipError_tPvRmT0_T1_jT2_SQ_T4_T3_P12ihipStream_tbEUlT_E_NS1_11comp_targetILNS1_3genE10ELNS1_11target_archE1201ELNS1_3gpuE5ELNS1_3repE0EEENS1_30default_config_static_selectorELNS0_4arch9wavefront6targetE0EEEvSP_.num_agpr, 0
	.set _ZN7rocprim17ROCPRIM_400000_NS6detail17trampoline_kernelINS0_14default_configENS1_32segmented_reduce_config_selectorIfEEZNS1_21segmented_reduce_implIS3_PKfPfPKlfN6hipcub16HIPCUB_304000_NS6detail27convert_result_type_wrapperIS8_S9_N2at6native12_GLOBAL__N_19CustomSumEEEEE10hipError_tPvRmT0_T1_jT2_SQ_T4_T3_P12ihipStream_tbEUlT_E_NS1_11comp_targetILNS1_3genE10ELNS1_11target_archE1201ELNS1_3gpuE5ELNS1_3repE0EEENS1_30default_config_static_selectorELNS0_4arch9wavefront6targetE0EEEvSP_.numbered_sgpr, 0
	.set _ZN7rocprim17ROCPRIM_400000_NS6detail17trampoline_kernelINS0_14default_configENS1_32segmented_reduce_config_selectorIfEEZNS1_21segmented_reduce_implIS3_PKfPfPKlfN6hipcub16HIPCUB_304000_NS6detail27convert_result_type_wrapperIS8_S9_N2at6native12_GLOBAL__N_19CustomSumEEEEE10hipError_tPvRmT0_T1_jT2_SQ_T4_T3_P12ihipStream_tbEUlT_E_NS1_11comp_targetILNS1_3genE10ELNS1_11target_archE1201ELNS1_3gpuE5ELNS1_3repE0EEENS1_30default_config_static_selectorELNS0_4arch9wavefront6targetE0EEEvSP_.num_named_barrier, 0
	.set _ZN7rocprim17ROCPRIM_400000_NS6detail17trampoline_kernelINS0_14default_configENS1_32segmented_reduce_config_selectorIfEEZNS1_21segmented_reduce_implIS3_PKfPfPKlfN6hipcub16HIPCUB_304000_NS6detail27convert_result_type_wrapperIS8_S9_N2at6native12_GLOBAL__N_19CustomSumEEEEE10hipError_tPvRmT0_T1_jT2_SQ_T4_T3_P12ihipStream_tbEUlT_E_NS1_11comp_targetILNS1_3genE10ELNS1_11target_archE1201ELNS1_3gpuE5ELNS1_3repE0EEENS1_30default_config_static_selectorELNS0_4arch9wavefront6targetE0EEEvSP_.private_seg_size, 0
	.set _ZN7rocprim17ROCPRIM_400000_NS6detail17trampoline_kernelINS0_14default_configENS1_32segmented_reduce_config_selectorIfEEZNS1_21segmented_reduce_implIS3_PKfPfPKlfN6hipcub16HIPCUB_304000_NS6detail27convert_result_type_wrapperIS8_S9_N2at6native12_GLOBAL__N_19CustomSumEEEEE10hipError_tPvRmT0_T1_jT2_SQ_T4_T3_P12ihipStream_tbEUlT_E_NS1_11comp_targetILNS1_3genE10ELNS1_11target_archE1201ELNS1_3gpuE5ELNS1_3repE0EEENS1_30default_config_static_selectorELNS0_4arch9wavefront6targetE0EEEvSP_.uses_vcc, 0
	.set _ZN7rocprim17ROCPRIM_400000_NS6detail17trampoline_kernelINS0_14default_configENS1_32segmented_reduce_config_selectorIfEEZNS1_21segmented_reduce_implIS3_PKfPfPKlfN6hipcub16HIPCUB_304000_NS6detail27convert_result_type_wrapperIS8_S9_N2at6native12_GLOBAL__N_19CustomSumEEEEE10hipError_tPvRmT0_T1_jT2_SQ_T4_T3_P12ihipStream_tbEUlT_E_NS1_11comp_targetILNS1_3genE10ELNS1_11target_archE1201ELNS1_3gpuE5ELNS1_3repE0EEENS1_30default_config_static_selectorELNS0_4arch9wavefront6targetE0EEEvSP_.uses_flat_scratch, 0
	.set _ZN7rocprim17ROCPRIM_400000_NS6detail17trampoline_kernelINS0_14default_configENS1_32segmented_reduce_config_selectorIfEEZNS1_21segmented_reduce_implIS3_PKfPfPKlfN6hipcub16HIPCUB_304000_NS6detail27convert_result_type_wrapperIS8_S9_N2at6native12_GLOBAL__N_19CustomSumEEEEE10hipError_tPvRmT0_T1_jT2_SQ_T4_T3_P12ihipStream_tbEUlT_E_NS1_11comp_targetILNS1_3genE10ELNS1_11target_archE1201ELNS1_3gpuE5ELNS1_3repE0EEENS1_30default_config_static_selectorELNS0_4arch9wavefront6targetE0EEEvSP_.has_dyn_sized_stack, 0
	.set _ZN7rocprim17ROCPRIM_400000_NS6detail17trampoline_kernelINS0_14default_configENS1_32segmented_reduce_config_selectorIfEEZNS1_21segmented_reduce_implIS3_PKfPfPKlfN6hipcub16HIPCUB_304000_NS6detail27convert_result_type_wrapperIS8_S9_N2at6native12_GLOBAL__N_19CustomSumEEEEE10hipError_tPvRmT0_T1_jT2_SQ_T4_T3_P12ihipStream_tbEUlT_E_NS1_11comp_targetILNS1_3genE10ELNS1_11target_archE1201ELNS1_3gpuE5ELNS1_3repE0EEENS1_30default_config_static_selectorELNS0_4arch9wavefront6targetE0EEEvSP_.has_recursion, 0
	.set _ZN7rocprim17ROCPRIM_400000_NS6detail17trampoline_kernelINS0_14default_configENS1_32segmented_reduce_config_selectorIfEEZNS1_21segmented_reduce_implIS3_PKfPfPKlfN6hipcub16HIPCUB_304000_NS6detail27convert_result_type_wrapperIS8_S9_N2at6native12_GLOBAL__N_19CustomSumEEEEE10hipError_tPvRmT0_T1_jT2_SQ_T4_T3_P12ihipStream_tbEUlT_E_NS1_11comp_targetILNS1_3genE10ELNS1_11target_archE1201ELNS1_3gpuE5ELNS1_3repE0EEENS1_30default_config_static_selectorELNS0_4arch9wavefront6targetE0EEEvSP_.has_indirect_call, 0
	.section	.AMDGPU.csdata,"",@progbits
; Kernel info:
; codeLenInByte = 0
; TotalNumSgprs: 0
; NumVgprs: 0
; ScratchSize: 0
; MemoryBound: 0
; FloatMode: 240
; IeeeMode: 1
; LDSByteSize: 0 bytes/workgroup (compile time only)
; SGPRBlocks: 0
; VGPRBlocks: 0
; NumSGPRsForWavesPerEU: 1
; NumVGPRsForWavesPerEU: 1
; Occupancy: 16
; WaveLimiterHint : 0
; COMPUTE_PGM_RSRC2:SCRATCH_EN: 0
; COMPUTE_PGM_RSRC2:USER_SGPR: 6
; COMPUTE_PGM_RSRC2:TRAP_HANDLER: 0
; COMPUTE_PGM_RSRC2:TGID_X_EN: 1
; COMPUTE_PGM_RSRC2:TGID_Y_EN: 0
; COMPUTE_PGM_RSRC2:TGID_Z_EN: 0
; COMPUTE_PGM_RSRC2:TIDIG_COMP_CNT: 0
	.section	.text._ZN7rocprim17ROCPRIM_400000_NS6detail17trampoline_kernelINS0_14default_configENS1_32segmented_reduce_config_selectorIfEEZNS1_21segmented_reduce_implIS3_PKfPfPKlfN6hipcub16HIPCUB_304000_NS6detail27convert_result_type_wrapperIS8_S9_N2at6native12_GLOBAL__N_19CustomSumEEEEE10hipError_tPvRmT0_T1_jT2_SQ_T4_T3_P12ihipStream_tbEUlT_E_NS1_11comp_targetILNS1_3genE4ELNS1_11target_archE910ELNS1_3gpuE8ELNS1_3repE0EEENS1_30default_config_static_selectorELNS0_4arch9wavefront6targetE0EEEvSP_,"axG",@progbits,_ZN7rocprim17ROCPRIM_400000_NS6detail17trampoline_kernelINS0_14default_configENS1_32segmented_reduce_config_selectorIfEEZNS1_21segmented_reduce_implIS3_PKfPfPKlfN6hipcub16HIPCUB_304000_NS6detail27convert_result_type_wrapperIS8_S9_N2at6native12_GLOBAL__N_19CustomSumEEEEE10hipError_tPvRmT0_T1_jT2_SQ_T4_T3_P12ihipStream_tbEUlT_E_NS1_11comp_targetILNS1_3genE4ELNS1_11target_archE910ELNS1_3gpuE8ELNS1_3repE0EEENS1_30default_config_static_selectorELNS0_4arch9wavefront6targetE0EEEvSP_,comdat
	.globl	_ZN7rocprim17ROCPRIM_400000_NS6detail17trampoline_kernelINS0_14default_configENS1_32segmented_reduce_config_selectorIfEEZNS1_21segmented_reduce_implIS3_PKfPfPKlfN6hipcub16HIPCUB_304000_NS6detail27convert_result_type_wrapperIS8_S9_N2at6native12_GLOBAL__N_19CustomSumEEEEE10hipError_tPvRmT0_T1_jT2_SQ_T4_T3_P12ihipStream_tbEUlT_E_NS1_11comp_targetILNS1_3genE4ELNS1_11target_archE910ELNS1_3gpuE8ELNS1_3repE0EEENS1_30default_config_static_selectorELNS0_4arch9wavefront6targetE0EEEvSP_ ; -- Begin function _ZN7rocprim17ROCPRIM_400000_NS6detail17trampoline_kernelINS0_14default_configENS1_32segmented_reduce_config_selectorIfEEZNS1_21segmented_reduce_implIS3_PKfPfPKlfN6hipcub16HIPCUB_304000_NS6detail27convert_result_type_wrapperIS8_S9_N2at6native12_GLOBAL__N_19CustomSumEEEEE10hipError_tPvRmT0_T1_jT2_SQ_T4_T3_P12ihipStream_tbEUlT_E_NS1_11comp_targetILNS1_3genE4ELNS1_11target_archE910ELNS1_3gpuE8ELNS1_3repE0EEENS1_30default_config_static_selectorELNS0_4arch9wavefront6targetE0EEEvSP_
	.p2align	8
	.type	_ZN7rocprim17ROCPRIM_400000_NS6detail17trampoline_kernelINS0_14default_configENS1_32segmented_reduce_config_selectorIfEEZNS1_21segmented_reduce_implIS3_PKfPfPKlfN6hipcub16HIPCUB_304000_NS6detail27convert_result_type_wrapperIS8_S9_N2at6native12_GLOBAL__N_19CustomSumEEEEE10hipError_tPvRmT0_T1_jT2_SQ_T4_T3_P12ihipStream_tbEUlT_E_NS1_11comp_targetILNS1_3genE4ELNS1_11target_archE910ELNS1_3gpuE8ELNS1_3repE0EEENS1_30default_config_static_selectorELNS0_4arch9wavefront6targetE0EEEvSP_,@function
_ZN7rocprim17ROCPRIM_400000_NS6detail17trampoline_kernelINS0_14default_configENS1_32segmented_reduce_config_selectorIfEEZNS1_21segmented_reduce_implIS3_PKfPfPKlfN6hipcub16HIPCUB_304000_NS6detail27convert_result_type_wrapperIS8_S9_N2at6native12_GLOBAL__N_19CustomSumEEEEE10hipError_tPvRmT0_T1_jT2_SQ_T4_T3_P12ihipStream_tbEUlT_E_NS1_11comp_targetILNS1_3genE4ELNS1_11target_archE910ELNS1_3gpuE8ELNS1_3repE0EEENS1_30default_config_static_selectorELNS0_4arch9wavefront6targetE0EEEvSP_: ; @_ZN7rocprim17ROCPRIM_400000_NS6detail17trampoline_kernelINS0_14default_configENS1_32segmented_reduce_config_selectorIfEEZNS1_21segmented_reduce_implIS3_PKfPfPKlfN6hipcub16HIPCUB_304000_NS6detail27convert_result_type_wrapperIS8_S9_N2at6native12_GLOBAL__N_19CustomSumEEEEE10hipError_tPvRmT0_T1_jT2_SQ_T4_T3_P12ihipStream_tbEUlT_E_NS1_11comp_targetILNS1_3genE4ELNS1_11target_archE910ELNS1_3gpuE8ELNS1_3repE0EEENS1_30default_config_static_selectorELNS0_4arch9wavefront6targetE0EEEvSP_
; %bb.0:
	.section	.rodata,"a",@progbits
	.p2align	6, 0x0
	.amdhsa_kernel _ZN7rocprim17ROCPRIM_400000_NS6detail17trampoline_kernelINS0_14default_configENS1_32segmented_reduce_config_selectorIfEEZNS1_21segmented_reduce_implIS3_PKfPfPKlfN6hipcub16HIPCUB_304000_NS6detail27convert_result_type_wrapperIS8_S9_N2at6native12_GLOBAL__N_19CustomSumEEEEE10hipError_tPvRmT0_T1_jT2_SQ_T4_T3_P12ihipStream_tbEUlT_E_NS1_11comp_targetILNS1_3genE4ELNS1_11target_archE910ELNS1_3gpuE8ELNS1_3repE0EEENS1_30default_config_static_selectorELNS0_4arch9wavefront6targetE0EEEvSP_
		.amdhsa_group_segment_fixed_size 0
		.amdhsa_private_segment_fixed_size 0
		.amdhsa_kernarg_size 48
		.amdhsa_user_sgpr_count 6
		.amdhsa_user_sgpr_private_segment_buffer 1
		.amdhsa_user_sgpr_dispatch_ptr 0
		.amdhsa_user_sgpr_queue_ptr 0
		.amdhsa_user_sgpr_kernarg_segment_ptr 1
		.amdhsa_user_sgpr_dispatch_id 0
		.amdhsa_user_sgpr_flat_scratch_init 0
		.amdhsa_user_sgpr_private_segment_size 0
		.amdhsa_wavefront_size32 1
		.amdhsa_uses_dynamic_stack 0
		.amdhsa_system_sgpr_private_segment_wavefront_offset 0
		.amdhsa_system_sgpr_workgroup_id_x 1
		.amdhsa_system_sgpr_workgroup_id_y 0
		.amdhsa_system_sgpr_workgroup_id_z 0
		.amdhsa_system_sgpr_workgroup_info 0
		.amdhsa_system_vgpr_workitem_id 0
		.amdhsa_next_free_vgpr 1
		.amdhsa_next_free_sgpr 1
		.amdhsa_reserve_vcc 0
		.amdhsa_reserve_flat_scratch 0
		.amdhsa_float_round_mode_32 0
		.amdhsa_float_round_mode_16_64 0
		.amdhsa_float_denorm_mode_32 3
		.amdhsa_float_denorm_mode_16_64 3
		.amdhsa_dx10_clamp 1
		.amdhsa_ieee_mode 1
		.amdhsa_fp16_overflow 0
		.amdhsa_workgroup_processor_mode 1
		.amdhsa_memory_ordered 1
		.amdhsa_forward_progress 1
		.amdhsa_shared_vgpr_count 0
		.amdhsa_exception_fp_ieee_invalid_op 0
		.amdhsa_exception_fp_denorm_src 0
		.amdhsa_exception_fp_ieee_div_zero 0
		.amdhsa_exception_fp_ieee_overflow 0
		.amdhsa_exception_fp_ieee_underflow 0
		.amdhsa_exception_fp_ieee_inexact 0
		.amdhsa_exception_int_div_zero 0
	.end_amdhsa_kernel
	.section	.text._ZN7rocprim17ROCPRIM_400000_NS6detail17trampoline_kernelINS0_14default_configENS1_32segmented_reduce_config_selectorIfEEZNS1_21segmented_reduce_implIS3_PKfPfPKlfN6hipcub16HIPCUB_304000_NS6detail27convert_result_type_wrapperIS8_S9_N2at6native12_GLOBAL__N_19CustomSumEEEEE10hipError_tPvRmT0_T1_jT2_SQ_T4_T3_P12ihipStream_tbEUlT_E_NS1_11comp_targetILNS1_3genE4ELNS1_11target_archE910ELNS1_3gpuE8ELNS1_3repE0EEENS1_30default_config_static_selectorELNS0_4arch9wavefront6targetE0EEEvSP_,"axG",@progbits,_ZN7rocprim17ROCPRIM_400000_NS6detail17trampoline_kernelINS0_14default_configENS1_32segmented_reduce_config_selectorIfEEZNS1_21segmented_reduce_implIS3_PKfPfPKlfN6hipcub16HIPCUB_304000_NS6detail27convert_result_type_wrapperIS8_S9_N2at6native12_GLOBAL__N_19CustomSumEEEEE10hipError_tPvRmT0_T1_jT2_SQ_T4_T3_P12ihipStream_tbEUlT_E_NS1_11comp_targetILNS1_3genE4ELNS1_11target_archE910ELNS1_3gpuE8ELNS1_3repE0EEENS1_30default_config_static_selectorELNS0_4arch9wavefront6targetE0EEEvSP_,comdat
.Lfunc_end190:
	.size	_ZN7rocprim17ROCPRIM_400000_NS6detail17trampoline_kernelINS0_14default_configENS1_32segmented_reduce_config_selectorIfEEZNS1_21segmented_reduce_implIS3_PKfPfPKlfN6hipcub16HIPCUB_304000_NS6detail27convert_result_type_wrapperIS8_S9_N2at6native12_GLOBAL__N_19CustomSumEEEEE10hipError_tPvRmT0_T1_jT2_SQ_T4_T3_P12ihipStream_tbEUlT_E_NS1_11comp_targetILNS1_3genE4ELNS1_11target_archE910ELNS1_3gpuE8ELNS1_3repE0EEENS1_30default_config_static_selectorELNS0_4arch9wavefront6targetE0EEEvSP_, .Lfunc_end190-_ZN7rocprim17ROCPRIM_400000_NS6detail17trampoline_kernelINS0_14default_configENS1_32segmented_reduce_config_selectorIfEEZNS1_21segmented_reduce_implIS3_PKfPfPKlfN6hipcub16HIPCUB_304000_NS6detail27convert_result_type_wrapperIS8_S9_N2at6native12_GLOBAL__N_19CustomSumEEEEE10hipError_tPvRmT0_T1_jT2_SQ_T4_T3_P12ihipStream_tbEUlT_E_NS1_11comp_targetILNS1_3genE4ELNS1_11target_archE910ELNS1_3gpuE8ELNS1_3repE0EEENS1_30default_config_static_selectorELNS0_4arch9wavefront6targetE0EEEvSP_
                                        ; -- End function
	.set _ZN7rocprim17ROCPRIM_400000_NS6detail17trampoline_kernelINS0_14default_configENS1_32segmented_reduce_config_selectorIfEEZNS1_21segmented_reduce_implIS3_PKfPfPKlfN6hipcub16HIPCUB_304000_NS6detail27convert_result_type_wrapperIS8_S9_N2at6native12_GLOBAL__N_19CustomSumEEEEE10hipError_tPvRmT0_T1_jT2_SQ_T4_T3_P12ihipStream_tbEUlT_E_NS1_11comp_targetILNS1_3genE4ELNS1_11target_archE910ELNS1_3gpuE8ELNS1_3repE0EEENS1_30default_config_static_selectorELNS0_4arch9wavefront6targetE0EEEvSP_.num_vgpr, 0
	.set _ZN7rocprim17ROCPRIM_400000_NS6detail17trampoline_kernelINS0_14default_configENS1_32segmented_reduce_config_selectorIfEEZNS1_21segmented_reduce_implIS3_PKfPfPKlfN6hipcub16HIPCUB_304000_NS6detail27convert_result_type_wrapperIS8_S9_N2at6native12_GLOBAL__N_19CustomSumEEEEE10hipError_tPvRmT0_T1_jT2_SQ_T4_T3_P12ihipStream_tbEUlT_E_NS1_11comp_targetILNS1_3genE4ELNS1_11target_archE910ELNS1_3gpuE8ELNS1_3repE0EEENS1_30default_config_static_selectorELNS0_4arch9wavefront6targetE0EEEvSP_.num_agpr, 0
	.set _ZN7rocprim17ROCPRIM_400000_NS6detail17trampoline_kernelINS0_14default_configENS1_32segmented_reduce_config_selectorIfEEZNS1_21segmented_reduce_implIS3_PKfPfPKlfN6hipcub16HIPCUB_304000_NS6detail27convert_result_type_wrapperIS8_S9_N2at6native12_GLOBAL__N_19CustomSumEEEEE10hipError_tPvRmT0_T1_jT2_SQ_T4_T3_P12ihipStream_tbEUlT_E_NS1_11comp_targetILNS1_3genE4ELNS1_11target_archE910ELNS1_3gpuE8ELNS1_3repE0EEENS1_30default_config_static_selectorELNS0_4arch9wavefront6targetE0EEEvSP_.numbered_sgpr, 0
	.set _ZN7rocprim17ROCPRIM_400000_NS6detail17trampoline_kernelINS0_14default_configENS1_32segmented_reduce_config_selectorIfEEZNS1_21segmented_reduce_implIS3_PKfPfPKlfN6hipcub16HIPCUB_304000_NS6detail27convert_result_type_wrapperIS8_S9_N2at6native12_GLOBAL__N_19CustomSumEEEEE10hipError_tPvRmT0_T1_jT2_SQ_T4_T3_P12ihipStream_tbEUlT_E_NS1_11comp_targetILNS1_3genE4ELNS1_11target_archE910ELNS1_3gpuE8ELNS1_3repE0EEENS1_30default_config_static_selectorELNS0_4arch9wavefront6targetE0EEEvSP_.num_named_barrier, 0
	.set _ZN7rocprim17ROCPRIM_400000_NS6detail17trampoline_kernelINS0_14default_configENS1_32segmented_reduce_config_selectorIfEEZNS1_21segmented_reduce_implIS3_PKfPfPKlfN6hipcub16HIPCUB_304000_NS6detail27convert_result_type_wrapperIS8_S9_N2at6native12_GLOBAL__N_19CustomSumEEEEE10hipError_tPvRmT0_T1_jT2_SQ_T4_T3_P12ihipStream_tbEUlT_E_NS1_11comp_targetILNS1_3genE4ELNS1_11target_archE910ELNS1_3gpuE8ELNS1_3repE0EEENS1_30default_config_static_selectorELNS0_4arch9wavefront6targetE0EEEvSP_.private_seg_size, 0
	.set _ZN7rocprim17ROCPRIM_400000_NS6detail17trampoline_kernelINS0_14default_configENS1_32segmented_reduce_config_selectorIfEEZNS1_21segmented_reduce_implIS3_PKfPfPKlfN6hipcub16HIPCUB_304000_NS6detail27convert_result_type_wrapperIS8_S9_N2at6native12_GLOBAL__N_19CustomSumEEEEE10hipError_tPvRmT0_T1_jT2_SQ_T4_T3_P12ihipStream_tbEUlT_E_NS1_11comp_targetILNS1_3genE4ELNS1_11target_archE910ELNS1_3gpuE8ELNS1_3repE0EEENS1_30default_config_static_selectorELNS0_4arch9wavefront6targetE0EEEvSP_.uses_vcc, 0
	.set _ZN7rocprim17ROCPRIM_400000_NS6detail17trampoline_kernelINS0_14default_configENS1_32segmented_reduce_config_selectorIfEEZNS1_21segmented_reduce_implIS3_PKfPfPKlfN6hipcub16HIPCUB_304000_NS6detail27convert_result_type_wrapperIS8_S9_N2at6native12_GLOBAL__N_19CustomSumEEEEE10hipError_tPvRmT0_T1_jT2_SQ_T4_T3_P12ihipStream_tbEUlT_E_NS1_11comp_targetILNS1_3genE4ELNS1_11target_archE910ELNS1_3gpuE8ELNS1_3repE0EEENS1_30default_config_static_selectorELNS0_4arch9wavefront6targetE0EEEvSP_.uses_flat_scratch, 0
	.set _ZN7rocprim17ROCPRIM_400000_NS6detail17trampoline_kernelINS0_14default_configENS1_32segmented_reduce_config_selectorIfEEZNS1_21segmented_reduce_implIS3_PKfPfPKlfN6hipcub16HIPCUB_304000_NS6detail27convert_result_type_wrapperIS8_S9_N2at6native12_GLOBAL__N_19CustomSumEEEEE10hipError_tPvRmT0_T1_jT2_SQ_T4_T3_P12ihipStream_tbEUlT_E_NS1_11comp_targetILNS1_3genE4ELNS1_11target_archE910ELNS1_3gpuE8ELNS1_3repE0EEENS1_30default_config_static_selectorELNS0_4arch9wavefront6targetE0EEEvSP_.has_dyn_sized_stack, 0
	.set _ZN7rocprim17ROCPRIM_400000_NS6detail17trampoline_kernelINS0_14default_configENS1_32segmented_reduce_config_selectorIfEEZNS1_21segmented_reduce_implIS3_PKfPfPKlfN6hipcub16HIPCUB_304000_NS6detail27convert_result_type_wrapperIS8_S9_N2at6native12_GLOBAL__N_19CustomSumEEEEE10hipError_tPvRmT0_T1_jT2_SQ_T4_T3_P12ihipStream_tbEUlT_E_NS1_11comp_targetILNS1_3genE4ELNS1_11target_archE910ELNS1_3gpuE8ELNS1_3repE0EEENS1_30default_config_static_selectorELNS0_4arch9wavefront6targetE0EEEvSP_.has_recursion, 0
	.set _ZN7rocprim17ROCPRIM_400000_NS6detail17trampoline_kernelINS0_14default_configENS1_32segmented_reduce_config_selectorIfEEZNS1_21segmented_reduce_implIS3_PKfPfPKlfN6hipcub16HIPCUB_304000_NS6detail27convert_result_type_wrapperIS8_S9_N2at6native12_GLOBAL__N_19CustomSumEEEEE10hipError_tPvRmT0_T1_jT2_SQ_T4_T3_P12ihipStream_tbEUlT_E_NS1_11comp_targetILNS1_3genE4ELNS1_11target_archE910ELNS1_3gpuE8ELNS1_3repE0EEENS1_30default_config_static_selectorELNS0_4arch9wavefront6targetE0EEEvSP_.has_indirect_call, 0
	.section	.AMDGPU.csdata,"",@progbits
; Kernel info:
; codeLenInByte = 0
; TotalNumSgprs: 0
; NumVgprs: 0
; ScratchSize: 0
; MemoryBound: 0
; FloatMode: 240
; IeeeMode: 1
; LDSByteSize: 0 bytes/workgroup (compile time only)
; SGPRBlocks: 0
; VGPRBlocks: 0
; NumSGPRsForWavesPerEU: 1
; NumVGPRsForWavesPerEU: 1
; Occupancy: 16
; WaveLimiterHint : 0
; COMPUTE_PGM_RSRC2:SCRATCH_EN: 0
; COMPUTE_PGM_RSRC2:USER_SGPR: 6
; COMPUTE_PGM_RSRC2:TRAP_HANDLER: 0
; COMPUTE_PGM_RSRC2:TGID_X_EN: 1
; COMPUTE_PGM_RSRC2:TGID_Y_EN: 0
; COMPUTE_PGM_RSRC2:TGID_Z_EN: 0
; COMPUTE_PGM_RSRC2:TIDIG_COMP_CNT: 0
	.section	.text._ZN7rocprim17ROCPRIM_400000_NS6detail17trampoline_kernelINS0_14default_configENS1_32segmented_reduce_config_selectorIfEEZNS1_21segmented_reduce_implIS3_PKfPfPKlfN6hipcub16HIPCUB_304000_NS6detail27convert_result_type_wrapperIS8_S9_N2at6native12_GLOBAL__N_19CustomSumEEEEE10hipError_tPvRmT0_T1_jT2_SQ_T4_T3_P12ihipStream_tbEUlT_E_NS1_11comp_targetILNS1_3genE3ELNS1_11target_archE908ELNS1_3gpuE7ELNS1_3repE0EEENS1_30default_config_static_selectorELNS0_4arch9wavefront6targetE0EEEvSP_,"axG",@progbits,_ZN7rocprim17ROCPRIM_400000_NS6detail17trampoline_kernelINS0_14default_configENS1_32segmented_reduce_config_selectorIfEEZNS1_21segmented_reduce_implIS3_PKfPfPKlfN6hipcub16HIPCUB_304000_NS6detail27convert_result_type_wrapperIS8_S9_N2at6native12_GLOBAL__N_19CustomSumEEEEE10hipError_tPvRmT0_T1_jT2_SQ_T4_T3_P12ihipStream_tbEUlT_E_NS1_11comp_targetILNS1_3genE3ELNS1_11target_archE908ELNS1_3gpuE7ELNS1_3repE0EEENS1_30default_config_static_selectorELNS0_4arch9wavefront6targetE0EEEvSP_,comdat
	.globl	_ZN7rocprim17ROCPRIM_400000_NS6detail17trampoline_kernelINS0_14default_configENS1_32segmented_reduce_config_selectorIfEEZNS1_21segmented_reduce_implIS3_PKfPfPKlfN6hipcub16HIPCUB_304000_NS6detail27convert_result_type_wrapperIS8_S9_N2at6native12_GLOBAL__N_19CustomSumEEEEE10hipError_tPvRmT0_T1_jT2_SQ_T4_T3_P12ihipStream_tbEUlT_E_NS1_11comp_targetILNS1_3genE3ELNS1_11target_archE908ELNS1_3gpuE7ELNS1_3repE0EEENS1_30default_config_static_selectorELNS0_4arch9wavefront6targetE0EEEvSP_ ; -- Begin function _ZN7rocprim17ROCPRIM_400000_NS6detail17trampoline_kernelINS0_14default_configENS1_32segmented_reduce_config_selectorIfEEZNS1_21segmented_reduce_implIS3_PKfPfPKlfN6hipcub16HIPCUB_304000_NS6detail27convert_result_type_wrapperIS8_S9_N2at6native12_GLOBAL__N_19CustomSumEEEEE10hipError_tPvRmT0_T1_jT2_SQ_T4_T3_P12ihipStream_tbEUlT_E_NS1_11comp_targetILNS1_3genE3ELNS1_11target_archE908ELNS1_3gpuE7ELNS1_3repE0EEENS1_30default_config_static_selectorELNS0_4arch9wavefront6targetE0EEEvSP_
	.p2align	8
	.type	_ZN7rocprim17ROCPRIM_400000_NS6detail17trampoline_kernelINS0_14default_configENS1_32segmented_reduce_config_selectorIfEEZNS1_21segmented_reduce_implIS3_PKfPfPKlfN6hipcub16HIPCUB_304000_NS6detail27convert_result_type_wrapperIS8_S9_N2at6native12_GLOBAL__N_19CustomSumEEEEE10hipError_tPvRmT0_T1_jT2_SQ_T4_T3_P12ihipStream_tbEUlT_E_NS1_11comp_targetILNS1_3genE3ELNS1_11target_archE908ELNS1_3gpuE7ELNS1_3repE0EEENS1_30default_config_static_selectorELNS0_4arch9wavefront6targetE0EEEvSP_,@function
_ZN7rocprim17ROCPRIM_400000_NS6detail17trampoline_kernelINS0_14default_configENS1_32segmented_reduce_config_selectorIfEEZNS1_21segmented_reduce_implIS3_PKfPfPKlfN6hipcub16HIPCUB_304000_NS6detail27convert_result_type_wrapperIS8_S9_N2at6native12_GLOBAL__N_19CustomSumEEEEE10hipError_tPvRmT0_T1_jT2_SQ_T4_T3_P12ihipStream_tbEUlT_E_NS1_11comp_targetILNS1_3genE3ELNS1_11target_archE908ELNS1_3gpuE7ELNS1_3repE0EEENS1_30default_config_static_selectorELNS0_4arch9wavefront6targetE0EEEvSP_: ; @_ZN7rocprim17ROCPRIM_400000_NS6detail17trampoline_kernelINS0_14default_configENS1_32segmented_reduce_config_selectorIfEEZNS1_21segmented_reduce_implIS3_PKfPfPKlfN6hipcub16HIPCUB_304000_NS6detail27convert_result_type_wrapperIS8_S9_N2at6native12_GLOBAL__N_19CustomSumEEEEE10hipError_tPvRmT0_T1_jT2_SQ_T4_T3_P12ihipStream_tbEUlT_E_NS1_11comp_targetILNS1_3genE3ELNS1_11target_archE908ELNS1_3gpuE7ELNS1_3repE0EEENS1_30default_config_static_selectorELNS0_4arch9wavefront6targetE0EEEvSP_
; %bb.0:
	.section	.rodata,"a",@progbits
	.p2align	6, 0x0
	.amdhsa_kernel _ZN7rocprim17ROCPRIM_400000_NS6detail17trampoline_kernelINS0_14default_configENS1_32segmented_reduce_config_selectorIfEEZNS1_21segmented_reduce_implIS3_PKfPfPKlfN6hipcub16HIPCUB_304000_NS6detail27convert_result_type_wrapperIS8_S9_N2at6native12_GLOBAL__N_19CustomSumEEEEE10hipError_tPvRmT0_T1_jT2_SQ_T4_T3_P12ihipStream_tbEUlT_E_NS1_11comp_targetILNS1_3genE3ELNS1_11target_archE908ELNS1_3gpuE7ELNS1_3repE0EEENS1_30default_config_static_selectorELNS0_4arch9wavefront6targetE0EEEvSP_
		.amdhsa_group_segment_fixed_size 0
		.amdhsa_private_segment_fixed_size 0
		.amdhsa_kernarg_size 48
		.amdhsa_user_sgpr_count 6
		.amdhsa_user_sgpr_private_segment_buffer 1
		.amdhsa_user_sgpr_dispatch_ptr 0
		.amdhsa_user_sgpr_queue_ptr 0
		.amdhsa_user_sgpr_kernarg_segment_ptr 1
		.amdhsa_user_sgpr_dispatch_id 0
		.amdhsa_user_sgpr_flat_scratch_init 0
		.amdhsa_user_sgpr_private_segment_size 0
		.amdhsa_wavefront_size32 1
		.amdhsa_uses_dynamic_stack 0
		.amdhsa_system_sgpr_private_segment_wavefront_offset 0
		.amdhsa_system_sgpr_workgroup_id_x 1
		.amdhsa_system_sgpr_workgroup_id_y 0
		.amdhsa_system_sgpr_workgroup_id_z 0
		.amdhsa_system_sgpr_workgroup_info 0
		.amdhsa_system_vgpr_workitem_id 0
		.amdhsa_next_free_vgpr 1
		.amdhsa_next_free_sgpr 1
		.amdhsa_reserve_vcc 0
		.amdhsa_reserve_flat_scratch 0
		.amdhsa_float_round_mode_32 0
		.amdhsa_float_round_mode_16_64 0
		.amdhsa_float_denorm_mode_32 3
		.amdhsa_float_denorm_mode_16_64 3
		.amdhsa_dx10_clamp 1
		.amdhsa_ieee_mode 1
		.amdhsa_fp16_overflow 0
		.amdhsa_workgroup_processor_mode 1
		.amdhsa_memory_ordered 1
		.amdhsa_forward_progress 1
		.amdhsa_shared_vgpr_count 0
		.amdhsa_exception_fp_ieee_invalid_op 0
		.amdhsa_exception_fp_denorm_src 0
		.amdhsa_exception_fp_ieee_div_zero 0
		.amdhsa_exception_fp_ieee_overflow 0
		.amdhsa_exception_fp_ieee_underflow 0
		.amdhsa_exception_fp_ieee_inexact 0
		.amdhsa_exception_int_div_zero 0
	.end_amdhsa_kernel
	.section	.text._ZN7rocprim17ROCPRIM_400000_NS6detail17trampoline_kernelINS0_14default_configENS1_32segmented_reduce_config_selectorIfEEZNS1_21segmented_reduce_implIS3_PKfPfPKlfN6hipcub16HIPCUB_304000_NS6detail27convert_result_type_wrapperIS8_S9_N2at6native12_GLOBAL__N_19CustomSumEEEEE10hipError_tPvRmT0_T1_jT2_SQ_T4_T3_P12ihipStream_tbEUlT_E_NS1_11comp_targetILNS1_3genE3ELNS1_11target_archE908ELNS1_3gpuE7ELNS1_3repE0EEENS1_30default_config_static_selectorELNS0_4arch9wavefront6targetE0EEEvSP_,"axG",@progbits,_ZN7rocprim17ROCPRIM_400000_NS6detail17trampoline_kernelINS0_14default_configENS1_32segmented_reduce_config_selectorIfEEZNS1_21segmented_reduce_implIS3_PKfPfPKlfN6hipcub16HIPCUB_304000_NS6detail27convert_result_type_wrapperIS8_S9_N2at6native12_GLOBAL__N_19CustomSumEEEEE10hipError_tPvRmT0_T1_jT2_SQ_T4_T3_P12ihipStream_tbEUlT_E_NS1_11comp_targetILNS1_3genE3ELNS1_11target_archE908ELNS1_3gpuE7ELNS1_3repE0EEENS1_30default_config_static_selectorELNS0_4arch9wavefront6targetE0EEEvSP_,comdat
.Lfunc_end191:
	.size	_ZN7rocprim17ROCPRIM_400000_NS6detail17trampoline_kernelINS0_14default_configENS1_32segmented_reduce_config_selectorIfEEZNS1_21segmented_reduce_implIS3_PKfPfPKlfN6hipcub16HIPCUB_304000_NS6detail27convert_result_type_wrapperIS8_S9_N2at6native12_GLOBAL__N_19CustomSumEEEEE10hipError_tPvRmT0_T1_jT2_SQ_T4_T3_P12ihipStream_tbEUlT_E_NS1_11comp_targetILNS1_3genE3ELNS1_11target_archE908ELNS1_3gpuE7ELNS1_3repE0EEENS1_30default_config_static_selectorELNS0_4arch9wavefront6targetE0EEEvSP_, .Lfunc_end191-_ZN7rocprim17ROCPRIM_400000_NS6detail17trampoline_kernelINS0_14default_configENS1_32segmented_reduce_config_selectorIfEEZNS1_21segmented_reduce_implIS3_PKfPfPKlfN6hipcub16HIPCUB_304000_NS6detail27convert_result_type_wrapperIS8_S9_N2at6native12_GLOBAL__N_19CustomSumEEEEE10hipError_tPvRmT0_T1_jT2_SQ_T4_T3_P12ihipStream_tbEUlT_E_NS1_11comp_targetILNS1_3genE3ELNS1_11target_archE908ELNS1_3gpuE7ELNS1_3repE0EEENS1_30default_config_static_selectorELNS0_4arch9wavefront6targetE0EEEvSP_
                                        ; -- End function
	.set _ZN7rocprim17ROCPRIM_400000_NS6detail17trampoline_kernelINS0_14default_configENS1_32segmented_reduce_config_selectorIfEEZNS1_21segmented_reduce_implIS3_PKfPfPKlfN6hipcub16HIPCUB_304000_NS6detail27convert_result_type_wrapperIS8_S9_N2at6native12_GLOBAL__N_19CustomSumEEEEE10hipError_tPvRmT0_T1_jT2_SQ_T4_T3_P12ihipStream_tbEUlT_E_NS1_11comp_targetILNS1_3genE3ELNS1_11target_archE908ELNS1_3gpuE7ELNS1_3repE0EEENS1_30default_config_static_selectorELNS0_4arch9wavefront6targetE0EEEvSP_.num_vgpr, 0
	.set _ZN7rocprim17ROCPRIM_400000_NS6detail17trampoline_kernelINS0_14default_configENS1_32segmented_reduce_config_selectorIfEEZNS1_21segmented_reduce_implIS3_PKfPfPKlfN6hipcub16HIPCUB_304000_NS6detail27convert_result_type_wrapperIS8_S9_N2at6native12_GLOBAL__N_19CustomSumEEEEE10hipError_tPvRmT0_T1_jT2_SQ_T4_T3_P12ihipStream_tbEUlT_E_NS1_11comp_targetILNS1_3genE3ELNS1_11target_archE908ELNS1_3gpuE7ELNS1_3repE0EEENS1_30default_config_static_selectorELNS0_4arch9wavefront6targetE0EEEvSP_.num_agpr, 0
	.set _ZN7rocprim17ROCPRIM_400000_NS6detail17trampoline_kernelINS0_14default_configENS1_32segmented_reduce_config_selectorIfEEZNS1_21segmented_reduce_implIS3_PKfPfPKlfN6hipcub16HIPCUB_304000_NS6detail27convert_result_type_wrapperIS8_S9_N2at6native12_GLOBAL__N_19CustomSumEEEEE10hipError_tPvRmT0_T1_jT2_SQ_T4_T3_P12ihipStream_tbEUlT_E_NS1_11comp_targetILNS1_3genE3ELNS1_11target_archE908ELNS1_3gpuE7ELNS1_3repE0EEENS1_30default_config_static_selectorELNS0_4arch9wavefront6targetE0EEEvSP_.numbered_sgpr, 0
	.set _ZN7rocprim17ROCPRIM_400000_NS6detail17trampoline_kernelINS0_14default_configENS1_32segmented_reduce_config_selectorIfEEZNS1_21segmented_reduce_implIS3_PKfPfPKlfN6hipcub16HIPCUB_304000_NS6detail27convert_result_type_wrapperIS8_S9_N2at6native12_GLOBAL__N_19CustomSumEEEEE10hipError_tPvRmT0_T1_jT2_SQ_T4_T3_P12ihipStream_tbEUlT_E_NS1_11comp_targetILNS1_3genE3ELNS1_11target_archE908ELNS1_3gpuE7ELNS1_3repE0EEENS1_30default_config_static_selectorELNS0_4arch9wavefront6targetE0EEEvSP_.num_named_barrier, 0
	.set _ZN7rocprim17ROCPRIM_400000_NS6detail17trampoline_kernelINS0_14default_configENS1_32segmented_reduce_config_selectorIfEEZNS1_21segmented_reduce_implIS3_PKfPfPKlfN6hipcub16HIPCUB_304000_NS6detail27convert_result_type_wrapperIS8_S9_N2at6native12_GLOBAL__N_19CustomSumEEEEE10hipError_tPvRmT0_T1_jT2_SQ_T4_T3_P12ihipStream_tbEUlT_E_NS1_11comp_targetILNS1_3genE3ELNS1_11target_archE908ELNS1_3gpuE7ELNS1_3repE0EEENS1_30default_config_static_selectorELNS0_4arch9wavefront6targetE0EEEvSP_.private_seg_size, 0
	.set _ZN7rocprim17ROCPRIM_400000_NS6detail17trampoline_kernelINS0_14default_configENS1_32segmented_reduce_config_selectorIfEEZNS1_21segmented_reduce_implIS3_PKfPfPKlfN6hipcub16HIPCUB_304000_NS6detail27convert_result_type_wrapperIS8_S9_N2at6native12_GLOBAL__N_19CustomSumEEEEE10hipError_tPvRmT0_T1_jT2_SQ_T4_T3_P12ihipStream_tbEUlT_E_NS1_11comp_targetILNS1_3genE3ELNS1_11target_archE908ELNS1_3gpuE7ELNS1_3repE0EEENS1_30default_config_static_selectorELNS0_4arch9wavefront6targetE0EEEvSP_.uses_vcc, 0
	.set _ZN7rocprim17ROCPRIM_400000_NS6detail17trampoline_kernelINS0_14default_configENS1_32segmented_reduce_config_selectorIfEEZNS1_21segmented_reduce_implIS3_PKfPfPKlfN6hipcub16HIPCUB_304000_NS6detail27convert_result_type_wrapperIS8_S9_N2at6native12_GLOBAL__N_19CustomSumEEEEE10hipError_tPvRmT0_T1_jT2_SQ_T4_T3_P12ihipStream_tbEUlT_E_NS1_11comp_targetILNS1_3genE3ELNS1_11target_archE908ELNS1_3gpuE7ELNS1_3repE0EEENS1_30default_config_static_selectorELNS0_4arch9wavefront6targetE0EEEvSP_.uses_flat_scratch, 0
	.set _ZN7rocprim17ROCPRIM_400000_NS6detail17trampoline_kernelINS0_14default_configENS1_32segmented_reduce_config_selectorIfEEZNS1_21segmented_reduce_implIS3_PKfPfPKlfN6hipcub16HIPCUB_304000_NS6detail27convert_result_type_wrapperIS8_S9_N2at6native12_GLOBAL__N_19CustomSumEEEEE10hipError_tPvRmT0_T1_jT2_SQ_T4_T3_P12ihipStream_tbEUlT_E_NS1_11comp_targetILNS1_3genE3ELNS1_11target_archE908ELNS1_3gpuE7ELNS1_3repE0EEENS1_30default_config_static_selectorELNS0_4arch9wavefront6targetE0EEEvSP_.has_dyn_sized_stack, 0
	.set _ZN7rocprim17ROCPRIM_400000_NS6detail17trampoline_kernelINS0_14default_configENS1_32segmented_reduce_config_selectorIfEEZNS1_21segmented_reduce_implIS3_PKfPfPKlfN6hipcub16HIPCUB_304000_NS6detail27convert_result_type_wrapperIS8_S9_N2at6native12_GLOBAL__N_19CustomSumEEEEE10hipError_tPvRmT0_T1_jT2_SQ_T4_T3_P12ihipStream_tbEUlT_E_NS1_11comp_targetILNS1_3genE3ELNS1_11target_archE908ELNS1_3gpuE7ELNS1_3repE0EEENS1_30default_config_static_selectorELNS0_4arch9wavefront6targetE0EEEvSP_.has_recursion, 0
	.set _ZN7rocprim17ROCPRIM_400000_NS6detail17trampoline_kernelINS0_14default_configENS1_32segmented_reduce_config_selectorIfEEZNS1_21segmented_reduce_implIS3_PKfPfPKlfN6hipcub16HIPCUB_304000_NS6detail27convert_result_type_wrapperIS8_S9_N2at6native12_GLOBAL__N_19CustomSumEEEEE10hipError_tPvRmT0_T1_jT2_SQ_T4_T3_P12ihipStream_tbEUlT_E_NS1_11comp_targetILNS1_3genE3ELNS1_11target_archE908ELNS1_3gpuE7ELNS1_3repE0EEENS1_30default_config_static_selectorELNS0_4arch9wavefront6targetE0EEEvSP_.has_indirect_call, 0
	.section	.AMDGPU.csdata,"",@progbits
; Kernel info:
; codeLenInByte = 0
; TotalNumSgprs: 0
; NumVgprs: 0
; ScratchSize: 0
; MemoryBound: 0
; FloatMode: 240
; IeeeMode: 1
; LDSByteSize: 0 bytes/workgroup (compile time only)
; SGPRBlocks: 0
; VGPRBlocks: 0
; NumSGPRsForWavesPerEU: 1
; NumVGPRsForWavesPerEU: 1
; Occupancy: 16
; WaveLimiterHint : 0
; COMPUTE_PGM_RSRC2:SCRATCH_EN: 0
; COMPUTE_PGM_RSRC2:USER_SGPR: 6
; COMPUTE_PGM_RSRC2:TRAP_HANDLER: 0
; COMPUTE_PGM_RSRC2:TGID_X_EN: 1
; COMPUTE_PGM_RSRC2:TGID_Y_EN: 0
; COMPUTE_PGM_RSRC2:TGID_Z_EN: 0
; COMPUTE_PGM_RSRC2:TIDIG_COMP_CNT: 0
	.section	.text._ZN7rocprim17ROCPRIM_400000_NS6detail17trampoline_kernelINS0_14default_configENS1_32segmented_reduce_config_selectorIfEEZNS1_21segmented_reduce_implIS3_PKfPfPKlfN6hipcub16HIPCUB_304000_NS6detail27convert_result_type_wrapperIS8_S9_N2at6native12_GLOBAL__N_19CustomSumEEEEE10hipError_tPvRmT0_T1_jT2_SQ_T4_T3_P12ihipStream_tbEUlT_E_NS1_11comp_targetILNS1_3genE2ELNS1_11target_archE906ELNS1_3gpuE6ELNS1_3repE0EEENS1_30default_config_static_selectorELNS0_4arch9wavefront6targetE0EEEvSP_,"axG",@progbits,_ZN7rocprim17ROCPRIM_400000_NS6detail17trampoline_kernelINS0_14default_configENS1_32segmented_reduce_config_selectorIfEEZNS1_21segmented_reduce_implIS3_PKfPfPKlfN6hipcub16HIPCUB_304000_NS6detail27convert_result_type_wrapperIS8_S9_N2at6native12_GLOBAL__N_19CustomSumEEEEE10hipError_tPvRmT0_T1_jT2_SQ_T4_T3_P12ihipStream_tbEUlT_E_NS1_11comp_targetILNS1_3genE2ELNS1_11target_archE906ELNS1_3gpuE6ELNS1_3repE0EEENS1_30default_config_static_selectorELNS0_4arch9wavefront6targetE0EEEvSP_,comdat
	.globl	_ZN7rocprim17ROCPRIM_400000_NS6detail17trampoline_kernelINS0_14default_configENS1_32segmented_reduce_config_selectorIfEEZNS1_21segmented_reduce_implIS3_PKfPfPKlfN6hipcub16HIPCUB_304000_NS6detail27convert_result_type_wrapperIS8_S9_N2at6native12_GLOBAL__N_19CustomSumEEEEE10hipError_tPvRmT0_T1_jT2_SQ_T4_T3_P12ihipStream_tbEUlT_E_NS1_11comp_targetILNS1_3genE2ELNS1_11target_archE906ELNS1_3gpuE6ELNS1_3repE0EEENS1_30default_config_static_selectorELNS0_4arch9wavefront6targetE0EEEvSP_ ; -- Begin function _ZN7rocprim17ROCPRIM_400000_NS6detail17trampoline_kernelINS0_14default_configENS1_32segmented_reduce_config_selectorIfEEZNS1_21segmented_reduce_implIS3_PKfPfPKlfN6hipcub16HIPCUB_304000_NS6detail27convert_result_type_wrapperIS8_S9_N2at6native12_GLOBAL__N_19CustomSumEEEEE10hipError_tPvRmT0_T1_jT2_SQ_T4_T3_P12ihipStream_tbEUlT_E_NS1_11comp_targetILNS1_3genE2ELNS1_11target_archE906ELNS1_3gpuE6ELNS1_3repE0EEENS1_30default_config_static_selectorELNS0_4arch9wavefront6targetE0EEEvSP_
	.p2align	8
	.type	_ZN7rocprim17ROCPRIM_400000_NS6detail17trampoline_kernelINS0_14default_configENS1_32segmented_reduce_config_selectorIfEEZNS1_21segmented_reduce_implIS3_PKfPfPKlfN6hipcub16HIPCUB_304000_NS6detail27convert_result_type_wrapperIS8_S9_N2at6native12_GLOBAL__N_19CustomSumEEEEE10hipError_tPvRmT0_T1_jT2_SQ_T4_T3_P12ihipStream_tbEUlT_E_NS1_11comp_targetILNS1_3genE2ELNS1_11target_archE906ELNS1_3gpuE6ELNS1_3repE0EEENS1_30default_config_static_selectorELNS0_4arch9wavefront6targetE0EEEvSP_,@function
_ZN7rocprim17ROCPRIM_400000_NS6detail17trampoline_kernelINS0_14default_configENS1_32segmented_reduce_config_selectorIfEEZNS1_21segmented_reduce_implIS3_PKfPfPKlfN6hipcub16HIPCUB_304000_NS6detail27convert_result_type_wrapperIS8_S9_N2at6native12_GLOBAL__N_19CustomSumEEEEE10hipError_tPvRmT0_T1_jT2_SQ_T4_T3_P12ihipStream_tbEUlT_E_NS1_11comp_targetILNS1_3genE2ELNS1_11target_archE906ELNS1_3gpuE6ELNS1_3repE0EEENS1_30default_config_static_selectorELNS0_4arch9wavefront6targetE0EEEvSP_: ; @_ZN7rocprim17ROCPRIM_400000_NS6detail17trampoline_kernelINS0_14default_configENS1_32segmented_reduce_config_selectorIfEEZNS1_21segmented_reduce_implIS3_PKfPfPKlfN6hipcub16HIPCUB_304000_NS6detail27convert_result_type_wrapperIS8_S9_N2at6native12_GLOBAL__N_19CustomSumEEEEE10hipError_tPvRmT0_T1_jT2_SQ_T4_T3_P12ihipStream_tbEUlT_E_NS1_11comp_targetILNS1_3genE2ELNS1_11target_archE906ELNS1_3gpuE6ELNS1_3repE0EEENS1_30default_config_static_selectorELNS0_4arch9wavefront6targetE0EEEvSP_
; %bb.0:
	.section	.rodata,"a",@progbits
	.p2align	6, 0x0
	.amdhsa_kernel _ZN7rocprim17ROCPRIM_400000_NS6detail17trampoline_kernelINS0_14default_configENS1_32segmented_reduce_config_selectorIfEEZNS1_21segmented_reduce_implIS3_PKfPfPKlfN6hipcub16HIPCUB_304000_NS6detail27convert_result_type_wrapperIS8_S9_N2at6native12_GLOBAL__N_19CustomSumEEEEE10hipError_tPvRmT0_T1_jT2_SQ_T4_T3_P12ihipStream_tbEUlT_E_NS1_11comp_targetILNS1_3genE2ELNS1_11target_archE906ELNS1_3gpuE6ELNS1_3repE0EEENS1_30default_config_static_selectorELNS0_4arch9wavefront6targetE0EEEvSP_
		.amdhsa_group_segment_fixed_size 0
		.amdhsa_private_segment_fixed_size 0
		.amdhsa_kernarg_size 48
		.amdhsa_user_sgpr_count 6
		.amdhsa_user_sgpr_private_segment_buffer 1
		.amdhsa_user_sgpr_dispatch_ptr 0
		.amdhsa_user_sgpr_queue_ptr 0
		.amdhsa_user_sgpr_kernarg_segment_ptr 1
		.amdhsa_user_sgpr_dispatch_id 0
		.amdhsa_user_sgpr_flat_scratch_init 0
		.amdhsa_user_sgpr_private_segment_size 0
		.amdhsa_wavefront_size32 1
		.amdhsa_uses_dynamic_stack 0
		.amdhsa_system_sgpr_private_segment_wavefront_offset 0
		.amdhsa_system_sgpr_workgroup_id_x 1
		.amdhsa_system_sgpr_workgroup_id_y 0
		.amdhsa_system_sgpr_workgroup_id_z 0
		.amdhsa_system_sgpr_workgroup_info 0
		.amdhsa_system_vgpr_workitem_id 0
		.amdhsa_next_free_vgpr 1
		.amdhsa_next_free_sgpr 1
		.amdhsa_reserve_vcc 0
		.amdhsa_reserve_flat_scratch 0
		.amdhsa_float_round_mode_32 0
		.amdhsa_float_round_mode_16_64 0
		.amdhsa_float_denorm_mode_32 3
		.amdhsa_float_denorm_mode_16_64 3
		.amdhsa_dx10_clamp 1
		.amdhsa_ieee_mode 1
		.amdhsa_fp16_overflow 0
		.amdhsa_workgroup_processor_mode 1
		.amdhsa_memory_ordered 1
		.amdhsa_forward_progress 1
		.amdhsa_shared_vgpr_count 0
		.amdhsa_exception_fp_ieee_invalid_op 0
		.amdhsa_exception_fp_denorm_src 0
		.amdhsa_exception_fp_ieee_div_zero 0
		.amdhsa_exception_fp_ieee_overflow 0
		.amdhsa_exception_fp_ieee_underflow 0
		.amdhsa_exception_fp_ieee_inexact 0
		.amdhsa_exception_int_div_zero 0
	.end_amdhsa_kernel
	.section	.text._ZN7rocprim17ROCPRIM_400000_NS6detail17trampoline_kernelINS0_14default_configENS1_32segmented_reduce_config_selectorIfEEZNS1_21segmented_reduce_implIS3_PKfPfPKlfN6hipcub16HIPCUB_304000_NS6detail27convert_result_type_wrapperIS8_S9_N2at6native12_GLOBAL__N_19CustomSumEEEEE10hipError_tPvRmT0_T1_jT2_SQ_T4_T3_P12ihipStream_tbEUlT_E_NS1_11comp_targetILNS1_3genE2ELNS1_11target_archE906ELNS1_3gpuE6ELNS1_3repE0EEENS1_30default_config_static_selectorELNS0_4arch9wavefront6targetE0EEEvSP_,"axG",@progbits,_ZN7rocprim17ROCPRIM_400000_NS6detail17trampoline_kernelINS0_14default_configENS1_32segmented_reduce_config_selectorIfEEZNS1_21segmented_reduce_implIS3_PKfPfPKlfN6hipcub16HIPCUB_304000_NS6detail27convert_result_type_wrapperIS8_S9_N2at6native12_GLOBAL__N_19CustomSumEEEEE10hipError_tPvRmT0_T1_jT2_SQ_T4_T3_P12ihipStream_tbEUlT_E_NS1_11comp_targetILNS1_3genE2ELNS1_11target_archE906ELNS1_3gpuE6ELNS1_3repE0EEENS1_30default_config_static_selectorELNS0_4arch9wavefront6targetE0EEEvSP_,comdat
.Lfunc_end192:
	.size	_ZN7rocprim17ROCPRIM_400000_NS6detail17trampoline_kernelINS0_14default_configENS1_32segmented_reduce_config_selectorIfEEZNS1_21segmented_reduce_implIS3_PKfPfPKlfN6hipcub16HIPCUB_304000_NS6detail27convert_result_type_wrapperIS8_S9_N2at6native12_GLOBAL__N_19CustomSumEEEEE10hipError_tPvRmT0_T1_jT2_SQ_T4_T3_P12ihipStream_tbEUlT_E_NS1_11comp_targetILNS1_3genE2ELNS1_11target_archE906ELNS1_3gpuE6ELNS1_3repE0EEENS1_30default_config_static_selectorELNS0_4arch9wavefront6targetE0EEEvSP_, .Lfunc_end192-_ZN7rocprim17ROCPRIM_400000_NS6detail17trampoline_kernelINS0_14default_configENS1_32segmented_reduce_config_selectorIfEEZNS1_21segmented_reduce_implIS3_PKfPfPKlfN6hipcub16HIPCUB_304000_NS6detail27convert_result_type_wrapperIS8_S9_N2at6native12_GLOBAL__N_19CustomSumEEEEE10hipError_tPvRmT0_T1_jT2_SQ_T4_T3_P12ihipStream_tbEUlT_E_NS1_11comp_targetILNS1_3genE2ELNS1_11target_archE906ELNS1_3gpuE6ELNS1_3repE0EEENS1_30default_config_static_selectorELNS0_4arch9wavefront6targetE0EEEvSP_
                                        ; -- End function
	.set _ZN7rocprim17ROCPRIM_400000_NS6detail17trampoline_kernelINS0_14default_configENS1_32segmented_reduce_config_selectorIfEEZNS1_21segmented_reduce_implIS3_PKfPfPKlfN6hipcub16HIPCUB_304000_NS6detail27convert_result_type_wrapperIS8_S9_N2at6native12_GLOBAL__N_19CustomSumEEEEE10hipError_tPvRmT0_T1_jT2_SQ_T4_T3_P12ihipStream_tbEUlT_E_NS1_11comp_targetILNS1_3genE2ELNS1_11target_archE906ELNS1_3gpuE6ELNS1_3repE0EEENS1_30default_config_static_selectorELNS0_4arch9wavefront6targetE0EEEvSP_.num_vgpr, 0
	.set _ZN7rocprim17ROCPRIM_400000_NS6detail17trampoline_kernelINS0_14default_configENS1_32segmented_reduce_config_selectorIfEEZNS1_21segmented_reduce_implIS3_PKfPfPKlfN6hipcub16HIPCUB_304000_NS6detail27convert_result_type_wrapperIS8_S9_N2at6native12_GLOBAL__N_19CustomSumEEEEE10hipError_tPvRmT0_T1_jT2_SQ_T4_T3_P12ihipStream_tbEUlT_E_NS1_11comp_targetILNS1_3genE2ELNS1_11target_archE906ELNS1_3gpuE6ELNS1_3repE0EEENS1_30default_config_static_selectorELNS0_4arch9wavefront6targetE0EEEvSP_.num_agpr, 0
	.set _ZN7rocprim17ROCPRIM_400000_NS6detail17trampoline_kernelINS0_14default_configENS1_32segmented_reduce_config_selectorIfEEZNS1_21segmented_reduce_implIS3_PKfPfPKlfN6hipcub16HIPCUB_304000_NS6detail27convert_result_type_wrapperIS8_S9_N2at6native12_GLOBAL__N_19CustomSumEEEEE10hipError_tPvRmT0_T1_jT2_SQ_T4_T3_P12ihipStream_tbEUlT_E_NS1_11comp_targetILNS1_3genE2ELNS1_11target_archE906ELNS1_3gpuE6ELNS1_3repE0EEENS1_30default_config_static_selectorELNS0_4arch9wavefront6targetE0EEEvSP_.numbered_sgpr, 0
	.set _ZN7rocprim17ROCPRIM_400000_NS6detail17trampoline_kernelINS0_14default_configENS1_32segmented_reduce_config_selectorIfEEZNS1_21segmented_reduce_implIS3_PKfPfPKlfN6hipcub16HIPCUB_304000_NS6detail27convert_result_type_wrapperIS8_S9_N2at6native12_GLOBAL__N_19CustomSumEEEEE10hipError_tPvRmT0_T1_jT2_SQ_T4_T3_P12ihipStream_tbEUlT_E_NS1_11comp_targetILNS1_3genE2ELNS1_11target_archE906ELNS1_3gpuE6ELNS1_3repE0EEENS1_30default_config_static_selectorELNS0_4arch9wavefront6targetE0EEEvSP_.num_named_barrier, 0
	.set _ZN7rocprim17ROCPRIM_400000_NS6detail17trampoline_kernelINS0_14default_configENS1_32segmented_reduce_config_selectorIfEEZNS1_21segmented_reduce_implIS3_PKfPfPKlfN6hipcub16HIPCUB_304000_NS6detail27convert_result_type_wrapperIS8_S9_N2at6native12_GLOBAL__N_19CustomSumEEEEE10hipError_tPvRmT0_T1_jT2_SQ_T4_T3_P12ihipStream_tbEUlT_E_NS1_11comp_targetILNS1_3genE2ELNS1_11target_archE906ELNS1_3gpuE6ELNS1_3repE0EEENS1_30default_config_static_selectorELNS0_4arch9wavefront6targetE0EEEvSP_.private_seg_size, 0
	.set _ZN7rocprim17ROCPRIM_400000_NS6detail17trampoline_kernelINS0_14default_configENS1_32segmented_reduce_config_selectorIfEEZNS1_21segmented_reduce_implIS3_PKfPfPKlfN6hipcub16HIPCUB_304000_NS6detail27convert_result_type_wrapperIS8_S9_N2at6native12_GLOBAL__N_19CustomSumEEEEE10hipError_tPvRmT0_T1_jT2_SQ_T4_T3_P12ihipStream_tbEUlT_E_NS1_11comp_targetILNS1_3genE2ELNS1_11target_archE906ELNS1_3gpuE6ELNS1_3repE0EEENS1_30default_config_static_selectorELNS0_4arch9wavefront6targetE0EEEvSP_.uses_vcc, 0
	.set _ZN7rocprim17ROCPRIM_400000_NS6detail17trampoline_kernelINS0_14default_configENS1_32segmented_reduce_config_selectorIfEEZNS1_21segmented_reduce_implIS3_PKfPfPKlfN6hipcub16HIPCUB_304000_NS6detail27convert_result_type_wrapperIS8_S9_N2at6native12_GLOBAL__N_19CustomSumEEEEE10hipError_tPvRmT0_T1_jT2_SQ_T4_T3_P12ihipStream_tbEUlT_E_NS1_11comp_targetILNS1_3genE2ELNS1_11target_archE906ELNS1_3gpuE6ELNS1_3repE0EEENS1_30default_config_static_selectorELNS0_4arch9wavefront6targetE0EEEvSP_.uses_flat_scratch, 0
	.set _ZN7rocprim17ROCPRIM_400000_NS6detail17trampoline_kernelINS0_14default_configENS1_32segmented_reduce_config_selectorIfEEZNS1_21segmented_reduce_implIS3_PKfPfPKlfN6hipcub16HIPCUB_304000_NS6detail27convert_result_type_wrapperIS8_S9_N2at6native12_GLOBAL__N_19CustomSumEEEEE10hipError_tPvRmT0_T1_jT2_SQ_T4_T3_P12ihipStream_tbEUlT_E_NS1_11comp_targetILNS1_3genE2ELNS1_11target_archE906ELNS1_3gpuE6ELNS1_3repE0EEENS1_30default_config_static_selectorELNS0_4arch9wavefront6targetE0EEEvSP_.has_dyn_sized_stack, 0
	.set _ZN7rocprim17ROCPRIM_400000_NS6detail17trampoline_kernelINS0_14default_configENS1_32segmented_reduce_config_selectorIfEEZNS1_21segmented_reduce_implIS3_PKfPfPKlfN6hipcub16HIPCUB_304000_NS6detail27convert_result_type_wrapperIS8_S9_N2at6native12_GLOBAL__N_19CustomSumEEEEE10hipError_tPvRmT0_T1_jT2_SQ_T4_T3_P12ihipStream_tbEUlT_E_NS1_11comp_targetILNS1_3genE2ELNS1_11target_archE906ELNS1_3gpuE6ELNS1_3repE0EEENS1_30default_config_static_selectorELNS0_4arch9wavefront6targetE0EEEvSP_.has_recursion, 0
	.set _ZN7rocprim17ROCPRIM_400000_NS6detail17trampoline_kernelINS0_14default_configENS1_32segmented_reduce_config_selectorIfEEZNS1_21segmented_reduce_implIS3_PKfPfPKlfN6hipcub16HIPCUB_304000_NS6detail27convert_result_type_wrapperIS8_S9_N2at6native12_GLOBAL__N_19CustomSumEEEEE10hipError_tPvRmT0_T1_jT2_SQ_T4_T3_P12ihipStream_tbEUlT_E_NS1_11comp_targetILNS1_3genE2ELNS1_11target_archE906ELNS1_3gpuE6ELNS1_3repE0EEENS1_30default_config_static_selectorELNS0_4arch9wavefront6targetE0EEEvSP_.has_indirect_call, 0
	.section	.AMDGPU.csdata,"",@progbits
; Kernel info:
; codeLenInByte = 0
; TotalNumSgprs: 0
; NumVgprs: 0
; ScratchSize: 0
; MemoryBound: 0
; FloatMode: 240
; IeeeMode: 1
; LDSByteSize: 0 bytes/workgroup (compile time only)
; SGPRBlocks: 0
; VGPRBlocks: 0
; NumSGPRsForWavesPerEU: 1
; NumVGPRsForWavesPerEU: 1
; Occupancy: 16
; WaveLimiterHint : 0
; COMPUTE_PGM_RSRC2:SCRATCH_EN: 0
; COMPUTE_PGM_RSRC2:USER_SGPR: 6
; COMPUTE_PGM_RSRC2:TRAP_HANDLER: 0
; COMPUTE_PGM_RSRC2:TGID_X_EN: 1
; COMPUTE_PGM_RSRC2:TGID_Y_EN: 0
; COMPUTE_PGM_RSRC2:TGID_Z_EN: 0
; COMPUTE_PGM_RSRC2:TIDIG_COMP_CNT: 0
	.section	.text._ZN7rocprim17ROCPRIM_400000_NS6detail17trampoline_kernelINS0_14default_configENS1_32segmented_reduce_config_selectorIfEEZNS1_21segmented_reduce_implIS3_PKfPfPKlfN6hipcub16HIPCUB_304000_NS6detail27convert_result_type_wrapperIS8_S9_N2at6native12_GLOBAL__N_19CustomSumEEEEE10hipError_tPvRmT0_T1_jT2_SQ_T4_T3_P12ihipStream_tbEUlT_E_NS1_11comp_targetILNS1_3genE9ELNS1_11target_archE1100ELNS1_3gpuE3ELNS1_3repE0EEENS1_30default_config_static_selectorELNS0_4arch9wavefront6targetE0EEEvSP_,"axG",@progbits,_ZN7rocprim17ROCPRIM_400000_NS6detail17trampoline_kernelINS0_14default_configENS1_32segmented_reduce_config_selectorIfEEZNS1_21segmented_reduce_implIS3_PKfPfPKlfN6hipcub16HIPCUB_304000_NS6detail27convert_result_type_wrapperIS8_S9_N2at6native12_GLOBAL__N_19CustomSumEEEEE10hipError_tPvRmT0_T1_jT2_SQ_T4_T3_P12ihipStream_tbEUlT_E_NS1_11comp_targetILNS1_3genE9ELNS1_11target_archE1100ELNS1_3gpuE3ELNS1_3repE0EEENS1_30default_config_static_selectorELNS0_4arch9wavefront6targetE0EEEvSP_,comdat
	.globl	_ZN7rocprim17ROCPRIM_400000_NS6detail17trampoline_kernelINS0_14default_configENS1_32segmented_reduce_config_selectorIfEEZNS1_21segmented_reduce_implIS3_PKfPfPKlfN6hipcub16HIPCUB_304000_NS6detail27convert_result_type_wrapperIS8_S9_N2at6native12_GLOBAL__N_19CustomSumEEEEE10hipError_tPvRmT0_T1_jT2_SQ_T4_T3_P12ihipStream_tbEUlT_E_NS1_11comp_targetILNS1_3genE9ELNS1_11target_archE1100ELNS1_3gpuE3ELNS1_3repE0EEENS1_30default_config_static_selectorELNS0_4arch9wavefront6targetE0EEEvSP_ ; -- Begin function _ZN7rocprim17ROCPRIM_400000_NS6detail17trampoline_kernelINS0_14default_configENS1_32segmented_reduce_config_selectorIfEEZNS1_21segmented_reduce_implIS3_PKfPfPKlfN6hipcub16HIPCUB_304000_NS6detail27convert_result_type_wrapperIS8_S9_N2at6native12_GLOBAL__N_19CustomSumEEEEE10hipError_tPvRmT0_T1_jT2_SQ_T4_T3_P12ihipStream_tbEUlT_E_NS1_11comp_targetILNS1_3genE9ELNS1_11target_archE1100ELNS1_3gpuE3ELNS1_3repE0EEENS1_30default_config_static_selectorELNS0_4arch9wavefront6targetE0EEEvSP_
	.p2align	8
	.type	_ZN7rocprim17ROCPRIM_400000_NS6detail17trampoline_kernelINS0_14default_configENS1_32segmented_reduce_config_selectorIfEEZNS1_21segmented_reduce_implIS3_PKfPfPKlfN6hipcub16HIPCUB_304000_NS6detail27convert_result_type_wrapperIS8_S9_N2at6native12_GLOBAL__N_19CustomSumEEEEE10hipError_tPvRmT0_T1_jT2_SQ_T4_T3_P12ihipStream_tbEUlT_E_NS1_11comp_targetILNS1_3genE9ELNS1_11target_archE1100ELNS1_3gpuE3ELNS1_3repE0EEENS1_30default_config_static_selectorELNS0_4arch9wavefront6targetE0EEEvSP_,@function
_ZN7rocprim17ROCPRIM_400000_NS6detail17trampoline_kernelINS0_14default_configENS1_32segmented_reduce_config_selectorIfEEZNS1_21segmented_reduce_implIS3_PKfPfPKlfN6hipcub16HIPCUB_304000_NS6detail27convert_result_type_wrapperIS8_S9_N2at6native12_GLOBAL__N_19CustomSumEEEEE10hipError_tPvRmT0_T1_jT2_SQ_T4_T3_P12ihipStream_tbEUlT_E_NS1_11comp_targetILNS1_3genE9ELNS1_11target_archE1100ELNS1_3gpuE3ELNS1_3repE0EEENS1_30default_config_static_selectorELNS0_4arch9wavefront6targetE0EEEvSP_: ; @_ZN7rocprim17ROCPRIM_400000_NS6detail17trampoline_kernelINS0_14default_configENS1_32segmented_reduce_config_selectorIfEEZNS1_21segmented_reduce_implIS3_PKfPfPKlfN6hipcub16HIPCUB_304000_NS6detail27convert_result_type_wrapperIS8_S9_N2at6native12_GLOBAL__N_19CustomSumEEEEE10hipError_tPvRmT0_T1_jT2_SQ_T4_T3_P12ihipStream_tbEUlT_E_NS1_11comp_targetILNS1_3genE9ELNS1_11target_archE1100ELNS1_3gpuE3ELNS1_3repE0EEENS1_30default_config_static_selectorELNS0_4arch9wavefront6targetE0EEEvSP_
; %bb.0:
	.section	.rodata,"a",@progbits
	.p2align	6, 0x0
	.amdhsa_kernel _ZN7rocprim17ROCPRIM_400000_NS6detail17trampoline_kernelINS0_14default_configENS1_32segmented_reduce_config_selectorIfEEZNS1_21segmented_reduce_implIS3_PKfPfPKlfN6hipcub16HIPCUB_304000_NS6detail27convert_result_type_wrapperIS8_S9_N2at6native12_GLOBAL__N_19CustomSumEEEEE10hipError_tPvRmT0_T1_jT2_SQ_T4_T3_P12ihipStream_tbEUlT_E_NS1_11comp_targetILNS1_3genE9ELNS1_11target_archE1100ELNS1_3gpuE3ELNS1_3repE0EEENS1_30default_config_static_selectorELNS0_4arch9wavefront6targetE0EEEvSP_
		.amdhsa_group_segment_fixed_size 0
		.amdhsa_private_segment_fixed_size 0
		.amdhsa_kernarg_size 48
		.amdhsa_user_sgpr_count 6
		.amdhsa_user_sgpr_private_segment_buffer 1
		.amdhsa_user_sgpr_dispatch_ptr 0
		.amdhsa_user_sgpr_queue_ptr 0
		.amdhsa_user_sgpr_kernarg_segment_ptr 1
		.amdhsa_user_sgpr_dispatch_id 0
		.amdhsa_user_sgpr_flat_scratch_init 0
		.amdhsa_user_sgpr_private_segment_size 0
		.amdhsa_wavefront_size32 1
		.amdhsa_uses_dynamic_stack 0
		.amdhsa_system_sgpr_private_segment_wavefront_offset 0
		.amdhsa_system_sgpr_workgroup_id_x 1
		.amdhsa_system_sgpr_workgroup_id_y 0
		.amdhsa_system_sgpr_workgroup_id_z 0
		.amdhsa_system_sgpr_workgroup_info 0
		.amdhsa_system_vgpr_workitem_id 0
		.amdhsa_next_free_vgpr 1
		.amdhsa_next_free_sgpr 1
		.amdhsa_reserve_vcc 0
		.amdhsa_reserve_flat_scratch 0
		.amdhsa_float_round_mode_32 0
		.amdhsa_float_round_mode_16_64 0
		.amdhsa_float_denorm_mode_32 3
		.amdhsa_float_denorm_mode_16_64 3
		.amdhsa_dx10_clamp 1
		.amdhsa_ieee_mode 1
		.amdhsa_fp16_overflow 0
		.amdhsa_workgroup_processor_mode 1
		.amdhsa_memory_ordered 1
		.amdhsa_forward_progress 1
		.amdhsa_shared_vgpr_count 0
		.amdhsa_exception_fp_ieee_invalid_op 0
		.amdhsa_exception_fp_denorm_src 0
		.amdhsa_exception_fp_ieee_div_zero 0
		.amdhsa_exception_fp_ieee_overflow 0
		.amdhsa_exception_fp_ieee_underflow 0
		.amdhsa_exception_fp_ieee_inexact 0
		.amdhsa_exception_int_div_zero 0
	.end_amdhsa_kernel
	.section	.text._ZN7rocprim17ROCPRIM_400000_NS6detail17trampoline_kernelINS0_14default_configENS1_32segmented_reduce_config_selectorIfEEZNS1_21segmented_reduce_implIS3_PKfPfPKlfN6hipcub16HIPCUB_304000_NS6detail27convert_result_type_wrapperIS8_S9_N2at6native12_GLOBAL__N_19CustomSumEEEEE10hipError_tPvRmT0_T1_jT2_SQ_T4_T3_P12ihipStream_tbEUlT_E_NS1_11comp_targetILNS1_3genE9ELNS1_11target_archE1100ELNS1_3gpuE3ELNS1_3repE0EEENS1_30default_config_static_selectorELNS0_4arch9wavefront6targetE0EEEvSP_,"axG",@progbits,_ZN7rocprim17ROCPRIM_400000_NS6detail17trampoline_kernelINS0_14default_configENS1_32segmented_reduce_config_selectorIfEEZNS1_21segmented_reduce_implIS3_PKfPfPKlfN6hipcub16HIPCUB_304000_NS6detail27convert_result_type_wrapperIS8_S9_N2at6native12_GLOBAL__N_19CustomSumEEEEE10hipError_tPvRmT0_T1_jT2_SQ_T4_T3_P12ihipStream_tbEUlT_E_NS1_11comp_targetILNS1_3genE9ELNS1_11target_archE1100ELNS1_3gpuE3ELNS1_3repE0EEENS1_30default_config_static_selectorELNS0_4arch9wavefront6targetE0EEEvSP_,comdat
.Lfunc_end193:
	.size	_ZN7rocprim17ROCPRIM_400000_NS6detail17trampoline_kernelINS0_14default_configENS1_32segmented_reduce_config_selectorIfEEZNS1_21segmented_reduce_implIS3_PKfPfPKlfN6hipcub16HIPCUB_304000_NS6detail27convert_result_type_wrapperIS8_S9_N2at6native12_GLOBAL__N_19CustomSumEEEEE10hipError_tPvRmT0_T1_jT2_SQ_T4_T3_P12ihipStream_tbEUlT_E_NS1_11comp_targetILNS1_3genE9ELNS1_11target_archE1100ELNS1_3gpuE3ELNS1_3repE0EEENS1_30default_config_static_selectorELNS0_4arch9wavefront6targetE0EEEvSP_, .Lfunc_end193-_ZN7rocprim17ROCPRIM_400000_NS6detail17trampoline_kernelINS0_14default_configENS1_32segmented_reduce_config_selectorIfEEZNS1_21segmented_reduce_implIS3_PKfPfPKlfN6hipcub16HIPCUB_304000_NS6detail27convert_result_type_wrapperIS8_S9_N2at6native12_GLOBAL__N_19CustomSumEEEEE10hipError_tPvRmT0_T1_jT2_SQ_T4_T3_P12ihipStream_tbEUlT_E_NS1_11comp_targetILNS1_3genE9ELNS1_11target_archE1100ELNS1_3gpuE3ELNS1_3repE0EEENS1_30default_config_static_selectorELNS0_4arch9wavefront6targetE0EEEvSP_
                                        ; -- End function
	.set _ZN7rocprim17ROCPRIM_400000_NS6detail17trampoline_kernelINS0_14default_configENS1_32segmented_reduce_config_selectorIfEEZNS1_21segmented_reduce_implIS3_PKfPfPKlfN6hipcub16HIPCUB_304000_NS6detail27convert_result_type_wrapperIS8_S9_N2at6native12_GLOBAL__N_19CustomSumEEEEE10hipError_tPvRmT0_T1_jT2_SQ_T4_T3_P12ihipStream_tbEUlT_E_NS1_11comp_targetILNS1_3genE9ELNS1_11target_archE1100ELNS1_3gpuE3ELNS1_3repE0EEENS1_30default_config_static_selectorELNS0_4arch9wavefront6targetE0EEEvSP_.num_vgpr, 0
	.set _ZN7rocprim17ROCPRIM_400000_NS6detail17trampoline_kernelINS0_14default_configENS1_32segmented_reduce_config_selectorIfEEZNS1_21segmented_reduce_implIS3_PKfPfPKlfN6hipcub16HIPCUB_304000_NS6detail27convert_result_type_wrapperIS8_S9_N2at6native12_GLOBAL__N_19CustomSumEEEEE10hipError_tPvRmT0_T1_jT2_SQ_T4_T3_P12ihipStream_tbEUlT_E_NS1_11comp_targetILNS1_3genE9ELNS1_11target_archE1100ELNS1_3gpuE3ELNS1_3repE0EEENS1_30default_config_static_selectorELNS0_4arch9wavefront6targetE0EEEvSP_.num_agpr, 0
	.set _ZN7rocprim17ROCPRIM_400000_NS6detail17trampoline_kernelINS0_14default_configENS1_32segmented_reduce_config_selectorIfEEZNS1_21segmented_reduce_implIS3_PKfPfPKlfN6hipcub16HIPCUB_304000_NS6detail27convert_result_type_wrapperIS8_S9_N2at6native12_GLOBAL__N_19CustomSumEEEEE10hipError_tPvRmT0_T1_jT2_SQ_T4_T3_P12ihipStream_tbEUlT_E_NS1_11comp_targetILNS1_3genE9ELNS1_11target_archE1100ELNS1_3gpuE3ELNS1_3repE0EEENS1_30default_config_static_selectorELNS0_4arch9wavefront6targetE0EEEvSP_.numbered_sgpr, 0
	.set _ZN7rocprim17ROCPRIM_400000_NS6detail17trampoline_kernelINS0_14default_configENS1_32segmented_reduce_config_selectorIfEEZNS1_21segmented_reduce_implIS3_PKfPfPKlfN6hipcub16HIPCUB_304000_NS6detail27convert_result_type_wrapperIS8_S9_N2at6native12_GLOBAL__N_19CustomSumEEEEE10hipError_tPvRmT0_T1_jT2_SQ_T4_T3_P12ihipStream_tbEUlT_E_NS1_11comp_targetILNS1_3genE9ELNS1_11target_archE1100ELNS1_3gpuE3ELNS1_3repE0EEENS1_30default_config_static_selectorELNS0_4arch9wavefront6targetE0EEEvSP_.num_named_barrier, 0
	.set _ZN7rocprim17ROCPRIM_400000_NS6detail17trampoline_kernelINS0_14default_configENS1_32segmented_reduce_config_selectorIfEEZNS1_21segmented_reduce_implIS3_PKfPfPKlfN6hipcub16HIPCUB_304000_NS6detail27convert_result_type_wrapperIS8_S9_N2at6native12_GLOBAL__N_19CustomSumEEEEE10hipError_tPvRmT0_T1_jT2_SQ_T4_T3_P12ihipStream_tbEUlT_E_NS1_11comp_targetILNS1_3genE9ELNS1_11target_archE1100ELNS1_3gpuE3ELNS1_3repE0EEENS1_30default_config_static_selectorELNS0_4arch9wavefront6targetE0EEEvSP_.private_seg_size, 0
	.set _ZN7rocprim17ROCPRIM_400000_NS6detail17trampoline_kernelINS0_14default_configENS1_32segmented_reduce_config_selectorIfEEZNS1_21segmented_reduce_implIS3_PKfPfPKlfN6hipcub16HIPCUB_304000_NS6detail27convert_result_type_wrapperIS8_S9_N2at6native12_GLOBAL__N_19CustomSumEEEEE10hipError_tPvRmT0_T1_jT2_SQ_T4_T3_P12ihipStream_tbEUlT_E_NS1_11comp_targetILNS1_3genE9ELNS1_11target_archE1100ELNS1_3gpuE3ELNS1_3repE0EEENS1_30default_config_static_selectorELNS0_4arch9wavefront6targetE0EEEvSP_.uses_vcc, 0
	.set _ZN7rocprim17ROCPRIM_400000_NS6detail17trampoline_kernelINS0_14default_configENS1_32segmented_reduce_config_selectorIfEEZNS1_21segmented_reduce_implIS3_PKfPfPKlfN6hipcub16HIPCUB_304000_NS6detail27convert_result_type_wrapperIS8_S9_N2at6native12_GLOBAL__N_19CustomSumEEEEE10hipError_tPvRmT0_T1_jT2_SQ_T4_T3_P12ihipStream_tbEUlT_E_NS1_11comp_targetILNS1_3genE9ELNS1_11target_archE1100ELNS1_3gpuE3ELNS1_3repE0EEENS1_30default_config_static_selectorELNS0_4arch9wavefront6targetE0EEEvSP_.uses_flat_scratch, 0
	.set _ZN7rocprim17ROCPRIM_400000_NS6detail17trampoline_kernelINS0_14default_configENS1_32segmented_reduce_config_selectorIfEEZNS1_21segmented_reduce_implIS3_PKfPfPKlfN6hipcub16HIPCUB_304000_NS6detail27convert_result_type_wrapperIS8_S9_N2at6native12_GLOBAL__N_19CustomSumEEEEE10hipError_tPvRmT0_T1_jT2_SQ_T4_T3_P12ihipStream_tbEUlT_E_NS1_11comp_targetILNS1_3genE9ELNS1_11target_archE1100ELNS1_3gpuE3ELNS1_3repE0EEENS1_30default_config_static_selectorELNS0_4arch9wavefront6targetE0EEEvSP_.has_dyn_sized_stack, 0
	.set _ZN7rocprim17ROCPRIM_400000_NS6detail17trampoline_kernelINS0_14default_configENS1_32segmented_reduce_config_selectorIfEEZNS1_21segmented_reduce_implIS3_PKfPfPKlfN6hipcub16HIPCUB_304000_NS6detail27convert_result_type_wrapperIS8_S9_N2at6native12_GLOBAL__N_19CustomSumEEEEE10hipError_tPvRmT0_T1_jT2_SQ_T4_T3_P12ihipStream_tbEUlT_E_NS1_11comp_targetILNS1_3genE9ELNS1_11target_archE1100ELNS1_3gpuE3ELNS1_3repE0EEENS1_30default_config_static_selectorELNS0_4arch9wavefront6targetE0EEEvSP_.has_recursion, 0
	.set _ZN7rocprim17ROCPRIM_400000_NS6detail17trampoline_kernelINS0_14default_configENS1_32segmented_reduce_config_selectorIfEEZNS1_21segmented_reduce_implIS3_PKfPfPKlfN6hipcub16HIPCUB_304000_NS6detail27convert_result_type_wrapperIS8_S9_N2at6native12_GLOBAL__N_19CustomSumEEEEE10hipError_tPvRmT0_T1_jT2_SQ_T4_T3_P12ihipStream_tbEUlT_E_NS1_11comp_targetILNS1_3genE9ELNS1_11target_archE1100ELNS1_3gpuE3ELNS1_3repE0EEENS1_30default_config_static_selectorELNS0_4arch9wavefront6targetE0EEEvSP_.has_indirect_call, 0
	.section	.AMDGPU.csdata,"",@progbits
; Kernel info:
; codeLenInByte = 0
; TotalNumSgprs: 0
; NumVgprs: 0
; ScratchSize: 0
; MemoryBound: 0
; FloatMode: 240
; IeeeMode: 1
; LDSByteSize: 0 bytes/workgroup (compile time only)
; SGPRBlocks: 0
; VGPRBlocks: 0
; NumSGPRsForWavesPerEU: 1
; NumVGPRsForWavesPerEU: 1
; Occupancy: 16
; WaveLimiterHint : 0
; COMPUTE_PGM_RSRC2:SCRATCH_EN: 0
; COMPUTE_PGM_RSRC2:USER_SGPR: 6
; COMPUTE_PGM_RSRC2:TRAP_HANDLER: 0
; COMPUTE_PGM_RSRC2:TGID_X_EN: 1
; COMPUTE_PGM_RSRC2:TGID_Y_EN: 0
; COMPUTE_PGM_RSRC2:TGID_Z_EN: 0
; COMPUTE_PGM_RSRC2:TIDIG_COMP_CNT: 0
	.section	.text._ZN7rocprim17ROCPRIM_400000_NS6detail17trampoline_kernelINS0_14default_configENS1_32segmented_reduce_config_selectorIfEEZNS1_21segmented_reduce_implIS3_PKfPfPKlfN6hipcub16HIPCUB_304000_NS6detail27convert_result_type_wrapperIS8_S9_N2at6native12_GLOBAL__N_19CustomSumEEEEE10hipError_tPvRmT0_T1_jT2_SQ_T4_T3_P12ihipStream_tbEUlT_E_NS1_11comp_targetILNS1_3genE8ELNS1_11target_archE1030ELNS1_3gpuE2ELNS1_3repE0EEENS1_30default_config_static_selectorELNS0_4arch9wavefront6targetE0EEEvSP_,"axG",@progbits,_ZN7rocprim17ROCPRIM_400000_NS6detail17trampoline_kernelINS0_14default_configENS1_32segmented_reduce_config_selectorIfEEZNS1_21segmented_reduce_implIS3_PKfPfPKlfN6hipcub16HIPCUB_304000_NS6detail27convert_result_type_wrapperIS8_S9_N2at6native12_GLOBAL__N_19CustomSumEEEEE10hipError_tPvRmT0_T1_jT2_SQ_T4_T3_P12ihipStream_tbEUlT_E_NS1_11comp_targetILNS1_3genE8ELNS1_11target_archE1030ELNS1_3gpuE2ELNS1_3repE0EEENS1_30default_config_static_selectorELNS0_4arch9wavefront6targetE0EEEvSP_,comdat
	.globl	_ZN7rocprim17ROCPRIM_400000_NS6detail17trampoline_kernelINS0_14default_configENS1_32segmented_reduce_config_selectorIfEEZNS1_21segmented_reduce_implIS3_PKfPfPKlfN6hipcub16HIPCUB_304000_NS6detail27convert_result_type_wrapperIS8_S9_N2at6native12_GLOBAL__N_19CustomSumEEEEE10hipError_tPvRmT0_T1_jT2_SQ_T4_T3_P12ihipStream_tbEUlT_E_NS1_11comp_targetILNS1_3genE8ELNS1_11target_archE1030ELNS1_3gpuE2ELNS1_3repE0EEENS1_30default_config_static_selectorELNS0_4arch9wavefront6targetE0EEEvSP_ ; -- Begin function _ZN7rocprim17ROCPRIM_400000_NS6detail17trampoline_kernelINS0_14default_configENS1_32segmented_reduce_config_selectorIfEEZNS1_21segmented_reduce_implIS3_PKfPfPKlfN6hipcub16HIPCUB_304000_NS6detail27convert_result_type_wrapperIS8_S9_N2at6native12_GLOBAL__N_19CustomSumEEEEE10hipError_tPvRmT0_T1_jT2_SQ_T4_T3_P12ihipStream_tbEUlT_E_NS1_11comp_targetILNS1_3genE8ELNS1_11target_archE1030ELNS1_3gpuE2ELNS1_3repE0EEENS1_30default_config_static_selectorELNS0_4arch9wavefront6targetE0EEEvSP_
	.p2align	8
	.type	_ZN7rocprim17ROCPRIM_400000_NS6detail17trampoline_kernelINS0_14default_configENS1_32segmented_reduce_config_selectorIfEEZNS1_21segmented_reduce_implIS3_PKfPfPKlfN6hipcub16HIPCUB_304000_NS6detail27convert_result_type_wrapperIS8_S9_N2at6native12_GLOBAL__N_19CustomSumEEEEE10hipError_tPvRmT0_T1_jT2_SQ_T4_T3_P12ihipStream_tbEUlT_E_NS1_11comp_targetILNS1_3genE8ELNS1_11target_archE1030ELNS1_3gpuE2ELNS1_3repE0EEENS1_30default_config_static_selectorELNS0_4arch9wavefront6targetE0EEEvSP_,@function
_ZN7rocprim17ROCPRIM_400000_NS6detail17trampoline_kernelINS0_14default_configENS1_32segmented_reduce_config_selectorIfEEZNS1_21segmented_reduce_implIS3_PKfPfPKlfN6hipcub16HIPCUB_304000_NS6detail27convert_result_type_wrapperIS8_S9_N2at6native12_GLOBAL__N_19CustomSumEEEEE10hipError_tPvRmT0_T1_jT2_SQ_T4_T3_P12ihipStream_tbEUlT_E_NS1_11comp_targetILNS1_3genE8ELNS1_11target_archE1030ELNS1_3gpuE2ELNS1_3repE0EEENS1_30default_config_static_selectorELNS0_4arch9wavefront6targetE0EEEvSP_: ; @_ZN7rocprim17ROCPRIM_400000_NS6detail17trampoline_kernelINS0_14default_configENS1_32segmented_reduce_config_selectorIfEEZNS1_21segmented_reduce_implIS3_PKfPfPKlfN6hipcub16HIPCUB_304000_NS6detail27convert_result_type_wrapperIS8_S9_N2at6native12_GLOBAL__N_19CustomSumEEEEE10hipError_tPvRmT0_T1_jT2_SQ_T4_T3_P12ihipStream_tbEUlT_E_NS1_11comp_targetILNS1_3genE8ELNS1_11target_archE1030ELNS1_3gpuE2ELNS1_3repE0EEENS1_30default_config_static_selectorELNS0_4arch9wavefront6targetE0EEEvSP_
; %bb.0:
	s_clause 0x2
	s_load_dwordx8 s[20:27], s[4:5], 0x0
	s_load_dwordx2 s[0:1], s[4:5], 0x20
	s_load_dword s17, s[4:5], 0x2c
	s_mov_b32 s7, 0
	s_mov_b32 s30, s7
	s_waitcnt lgkmcnt(0)
	s_lshl_b64 s[2:3], s[24:25], 3
	s_add_u32 s4, s26, s2
	s_addc_u32 s5, s27, s3
	s_add_u32 s8, s0, s2
	s_addc_u32 s9, s1, s3
	s_lshl_b64 s[0:1], s[6:7], 3
	s_add_u32 s2, s4, s0
	s_addc_u32 s3, s5, s1
	s_add_u32 s0, s8, s0
	s_addc_u32 s1, s9, s1
	s_load_dwordx2 s[26:27], s[2:3], 0x0
	s_load_dwordx2 s[18:19], s[0:1], 0x0
	s_mov_b32 s1, -1
	s_waitcnt lgkmcnt(0)
	v_cmp_gt_i64_e64 s0, s[18:19], s[26:27]
	s_and_b32 vcc_lo, exec_lo, s0
	v_cmp_eq_u32_e64 s0, 0, v0
	s_cbranch_vccnz .LBB194_2
; %bb.1:
	s_mov_b32 s1, 0
	s_and_b32 s30, s0, exec_lo
.LBB194_2:
	s_andn2_b32 vcc_lo, exec_lo, s1
	s_cbranch_vccnz .LBB194_44
; %bb.3:
	s_add_u32 s0, s26, 0x1000
	s_addc_u32 s1, s27, 0
	v_cmp_le_i64_e64 s2, s[0:1], s[18:19]
	s_and_b32 vcc_lo, exec_lo, s2
	s_cbranch_vccz .LBB194_45
; %bb.4:
	v_lshlrev_b32_e32 v20, 2, v0
	s_lshl_b64 s[2:3], s[26:27], 2
	s_add_u32 s4, s20, s2
	s_addc_u32 s5, s21, s3
	v_add_co_u32 v18, s8, s4, v20
	v_add_co_ci_u32_e64 v19, null, s5, 0, s8
	s_clause 0x1
	global_load_dword v4, v20, s[4:5]
	global_load_dword v3, v20, s[4:5] offset:1024
	v_add_co_u32 v1, vcc_lo, v18, 0x1000
	v_add_co_ci_u32_e64 v2, null, 0, v19, vcc_lo
	v_add_co_u32 v7, vcc_lo, 0x800, v18
	v_add_co_ci_u32_e64 v8, null, 0, v19, vcc_lo
	s_clause 0x1
	global_load_dword v6, v[1:2], off offset:-2048
	global_load_dword v5, v[7:8], off offset:1024
	v_add_co_u32 v8, vcc_lo, 0x1000, v18
	v_add_co_ci_u32_e64 v9, null, 0, v19, vcc_lo
	global_load_dword v7, v[1:2], off
	s_add_u32 s4, s26, 0x2000
	s_addc_u32 s5, s27, 0
	global_load_dword v8, v[8:9], off offset:1024
	v_add_co_u32 v1, vcc_lo, v18, 0x2000
	v_add_co_ci_u32_e64 v2, null, 0, v19, vcc_lo
	v_add_co_u32 v11, vcc_lo, 0x1800, v18
	v_add_co_ci_u32_e64 v12, null, 0, v19, vcc_lo
	s_clause 0x1
	global_load_dword v10, v[1:2], off offset:-2048
	global_load_dword v9, v[11:12], off offset:1024
	v_add_co_u32 v12, vcc_lo, 0x2000, v18
	v_add_co_ci_u32_e64 v13, null, 0, v19, vcc_lo
	global_load_dword v11, v[1:2], off
	v_cmp_ge_i64_e64 s4, s[4:5], s[18:19]
	global_load_dword v12, v[12:13], off offset:1024
	v_add_co_u32 v1, vcc_lo, v18, 0x3000
	v_add_co_ci_u32_e64 v2, null, 0, v19, vcc_lo
	v_add_co_u32 v15, vcc_lo, 0x2800, v18
	v_add_co_ci_u32_e64 v16, null, 0, v19, vcc_lo
	s_clause 0x1
	global_load_dword v14, v[1:2], off offset:-2048
	global_load_dword v13, v[15:16], off offset:1024
	v_add_co_u32 v16, vcc_lo, 0x3000, v18
	global_load_dword v15, v[1:2], off
	v_add_co_ci_u32_e64 v17, null, 0, v19, vcc_lo
	v_add_co_u32 v1, vcc_lo, 0x3800, v18
	v_add_co_ci_u32_e64 v2, null, 0, v19, vcc_lo
	s_clause 0x2
	global_load_dword v16, v[16:17], off offset:1024
	global_load_dword v17, v[1:2], off
	global_load_dword v18, v[1:2], off offset:1024
	s_and_b32 vcc_lo, exec_lo, s4
	s_waitcnt vmcnt(14)
	v_add_f32_e32 v1, v4, v3
	s_waitcnt vmcnt(13)
	v_add_f32_e32 v1, v1, v6
	;; [unrolled: 2-line block ×15, first 2 shown]
	s_cbranch_vccnz .LBB194_7
; %bb.5:
	s_add_u32 s2, s20, s2
	s_addc_u32 s3, s21, s3
	v_add_co_u32 v1, s2, s2, v20
	v_add_co_ci_u32_e64 v2, null, s3, 0, s2
	v_add_co_u32 v1, vcc_lo, 0x4000, v1
	v_add_co_ci_u32_e64 v2, null, 0, v2, vcc_lo
.LBB194_6:                              ; =>This Inner Loop Header: Depth=1
	s_clause 0x1
	global_load_dword v4, v[1:2], off
	global_load_dword v3, v[1:2], off offset:1024
	v_add_co_u32 v7, vcc_lo, v1, 0x1000
	v_add_co_ci_u32_e64 v8, null, 0, v2, vcc_lo
	v_add_co_u32 v9, vcc_lo, 0x800, v1
	v_add_co_ci_u32_e64 v10, null, 0, v2, vcc_lo
	s_clause 0x1
	global_load_dword v6, v[7:8], off offset:-2048
	global_load_dword v5, v[9:10], off offset:1024
	v_add_co_u32 v9, vcc_lo, 0x1000, v1
	v_add_co_ci_u32_e64 v10, null, 0, v2, vcc_lo
	global_load_dword v7, v[7:8], off
	v_add_co_u32 v11, vcc_lo, v1, 0x2000
	v_add_co_ci_u32_e64 v12, null, 0, v2, vcc_lo
	global_load_dword v8, v[9:10], off offset:1024
	v_add_co_u32 v13, vcc_lo, 0x1800, v1
	v_add_co_ci_u32_e64 v14, null, 0, v2, vcc_lo
	s_clause 0x1
	global_load_dword v10, v[11:12], off offset:-2048
	global_load_dword v9, v[13:14], off offset:1024
	v_add_co_u32 v13, vcc_lo, 0x2000, v1
	v_add_co_ci_u32_e64 v14, null, 0, v2, vcc_lo
	global_load_dword v11, v[11:12], off
	v_add_co_u32 v15, vcc_lo, v1, 0x3000
	v_add_co_ci_u32_e64 v16, null, 0, v2, vcc_lo
	global_load_dword v12, v[13:14], off offset:1024
	v_add_co_u32 v17, vcc_lo, 0x2800, v1
	v_add_co_ci_u32_e64 v18, null, 0, v2, vcc_lo
	s_clause 0x1
	global_load_dword v14, v[15:16], off offset:-2048
	global_load_dword v13, v[17:18], off offset:1024
	v_add_co_u32 v17, vcc_lo, 0x3000, v1
	global_load_dword v15, v[15:16], off
	v_add_co_ci_u32_e64 v18, null, 0, v2, vcc_lo
	v_add_co_u32 v21, vcc_lo, 0x3800, v1
	v_add_co_ci_u32_e64 v22, null, 0, v2, vcc_lo
	s_clause 0x2
	global_load_dword v16, v[17:18], off offset:1024
	global_load_dword v17, v[21:22], off
	global_load_dword v18, v[21:22], off offset:1024
	s_mov_b64 s[2:3], s[0:1]
	v_add_co_u32 v1, vcc_lo, 0x4000, v1
	s_add_u32 s0, s2, 0x1000
	s_addc_u32 s1, s3, 0
	s_add_u32 s2, s2, 0x2000
	s_addc_u32 s3, s3, 0
	v_add_co_ci_u32_e64 v2, null, 0, v2, vcc_lo
	v_cmp_lt_i64_e64 s2, s[2:3], s[18:19]
	s_and_b32 vcc_lo, exec_lo, s2
	s_waitcnt vmcnt(15)
	v_add_f32_e32 v19, v19, v4
	s_waitcnt vmcnt(14)
	v_add_f32_e32 v19, v19, v3
	;; [unrolled: 2-line block ×16, first 2 shown]
	s_cbranch_vccnz .LBB194_6
.LBB194_7:
	s_sub_i32 s16, s18, s0
	s_lshl_b64 s[0:1], s[0:1], 2
	v_cmp_gt_u32_e32 vcc_lo, s16, v0
	s_add_u32 s28, s20, s0
	s_addc_u32 s29, s21, s1
	s_and_saveexec_b32 s0, vcc_lo
	s_cbranch_execz .LBB194_9
; %bb.8:
	global_load_dword v4, v20, s[28:29]
.LBB194_9:
	s_or_b32 exec_lo, exec_lo, s0
	v_or_b32_e32 v1, 0x100, v0
	v_cmp_gt_u32_e64 s0, s16, v1
	s_and_saveexec_b32 s1, s0
	s_cbranch_execz .LBB194_11
; %bb.10:
	global_load_dword v3, v20, s[28:29] offset:1024
.LBB194_11:
	s_or_b32 exec_lo, exec_lo, s1
	v_or_b32_e32 v1, 0x200, v0
	v_cmp_gt_u32_e64 s1, s16, v1
	s_and_saveexec_b32 s2, s1
	s_cbranch_execz .LBB194_13
; %bb.12:
	v_lshlrev_b32_e32 v1, 2, v1
	global_load_dword v6, v1, s[28:29]
.LBB194_13:
	s_or_b32 exec_lo, exec_lo, s2
	v_or_b32_e32 v1, 0x300, v0
	v_cmp_gt_u32_e64 s2, s16, v1
	s_and_saveexec_b32 s3, s2
	s_cbranch_execz .LBB194_15
; %bb.14:
	v_lshlrev_b32_e32 v1, 2, v1
	global_load_dword v5, v1, s[28:29]
.LBB194_15:
	;; [unrolled: 9-line block ×14, first 2 shown]
	s_or_b32 exec_lo, exec_lo, s31
	s_waitcnt vmcnt(0)
	v_add_f32_e32 v1, v19, v4
	v_cndmask_b32_e32 v1, v19, v1, vcc_lo
	v_add_f32_e32 v2, v3, v1
	v_cndmask_b32_e64 v1, v1, v2, s0
	s_mov_b32 s0, exec_lo
	v_add_f32_e32 v2, v6, v1
	v_cndmask_b32_e64 v1, v1, v2, s1
	v_add_f32_e32 v2, v5, v1
	v_cndmask_b32_e64 v1, v1, v2, s2
	;; [unrolled: 2-line block ×14, first 2 shown]
	v_mov_b32_dpp v2, v1 quad_perm:[1,0,3,2] row_mask:0xf bank_mask:0xf
	v_add_f32_e32 v1, v1, v2
	v_mov_b32_dpp v2, v1 quad_perm:[2,3,0,1] row_mask:0xf bank_mask:0xf
	v_add_f32_e32 v1, v1, v2
	v_mov_b32_dpp v2, v1 row_ror:4 row_mask:0xf bank_mask:0xf
	v_add_f32_e32 v1, v1, v2
	v_mov_b32_dpp v2, v1 row_ror:8 row_mask:0xf bank_mask:0xf
	v_add_f32_e32 v1, v1, v2
	ds_swizzle_b32 v2, v1 offset:swizzle(BROADCAST,32,15)
	s_waitcnt lgkmcnt(0)
	v_add_f32_e32 v1, v1, v2
	v_mov_b32_e32 v2, 0
	ds_bpermute_b32 v2, v2, v1 offset:124
	v_mbcnt_lo_u32_b32 v1, -1, 0
	v_cmpx_eq_u32_e32 0, v1
	s_cbranch_execz .LBB194_41
; %bb.40:
	v_lshrrev_b32_e32 v3, 3, v0
	v_and_b32_e32 v3, 28, v3
	s_waitcnt lgkmcnt(0)
	ds_write_b32 v3, v2
.LBB194_41:
	s_or_b32 exec_lo, exec_lo, s0
	s_mov_b32 s0, exec_lo
	s_waitcnt lgkmcnt(0)
	s_barrier
	buffer_gl0_inv
	v_cmpx_gt_u32_e32 32, v0
	s_cbranch_execz .LBB194_43
; %bb.42:
	v_and_b32_e32 v2, 7, v1
	v_lshlrev_b32_e32 v3, 2, v2
	v_cmp_ne_u32_e32 vcc_lo, 7, v2
	ds_read_b32 v3, v3
	v_add_co_ci_u32_e64 v4, null, 0, v1, vcc_lo
	v_cmp_gt_u32_e32 vcc_lo, 6, v2
	v_lshlrev_b32_e32 v4, 2, v4
	v_cndmask_b32_e64 v2, 0, 2, vcc_lo
	v_add_lshl_u32 v2, v2, v1, 2
	v_lshlrev_b32_e32 v1, 2, v1
	v_or_b32_e32 v1, 16, v1
	s_waitcnt lgkmcnt(0)
	ds_bpermute_b32 v4, v4, v3
	s_waitcnt lgkmcnt(0)
	v_add_f32_e32 v3, v3, v4
	ds_bpermute_b32 v2, v2, v3
	s_waitcnt lgkmcnt(0)
	v_add_f32_e32 v2, v3, v2
	;; [unrolled: 3-line block ×3, first 2 shown]
.LBB194_43:
	s_or_b32 exec_lo, exec_lo, s0
	s_branch .LBB194_64
.LBB194_44:
	v_mov_b32_e32 v1, s17
	s_and_saveexec_b32 s0, s30
	s_cbranch_execnz .LBB194_67
	s_branch .LBB194_68
.LBB194_45:
                                        ; implicit-def: $vgpr2
	s_cbranch_execz .LBB194_64
; %bb.46:
	s_sub_i32 s2, s18, s26
	s_mov_b32 s1, exec_lo
                                        ; implicit-def: $vgpr5
	v_cmpx_gt_u32_e64 s2, v0
	s_cbranch_execz .LBB194_52
; %bb.47:
	v_add_co_u32 v1, s0, s26, v0
	v_add_co_ci_u32_e64 v2, null, s27, 0, s0
	s_mov_b32 s3, exec_lo
	v_lshlrev_b64 v[3:4], 2, v[1:2]
	v_add_co_u32 v3, vcc_lo, s20, v3
	v_add_co_ci_u32_e64 v4, null, s21, v4, vcc_lo
	v_add_co_u32 v1, vcc_lo, 0x100, v1
	v_add_co_ci_u32_e64 v2, null, 0, v2, vcc_lo
	global_load_dword v5, v[3:4], off
	v_cmpx_gt_i64_e64 s[18:19], v[1:2]
	s_cbranch_execz .LBB194_51
; %bb.48:
	v_add_co_u32 v3, vcc_lo, 0x400, v3
	v_add_co_ci_u32_e64 v4, null, 0, v4, vcc_lo
	s_mov_b32 s4, 0
	.p2align	6
.LBB194_49:                             ; =>This Inner Loop Header: Depth=1
	global_load_dword v6, v[3:4], off
	v_add_co_u32 v1, vcc_lo, 0x100, v1
	v_add_co_ci_u32_e64 v2, null, 0, v2, vcc_lo
	v_add_co_u32 v3, s0, 0x400, v3
	v_add_co_ci_u32_e64 v4, null, 0, v4, s0
	v_cmp_le_i64_e32 vcc_lo, s[18:19], v[1:2]
	s_or_b32 s4, vcc_lo, s4
	s_waitcnt vmcnt(0)
	v_add_f32_e32 v5, v5, v6
	s_andn2_b32 exec_lo, exec_lo, s4
	s_cbranch_execnz .LBB194_49
; %bb.50:
	s_or_b32 exec_lo, exec_lo, s4
.LBB194_51:
	s_or_b32 exec_lo, exec_lo, s3
.LBB194_52:
	s_or_b32 exec_lo, exec_lo, s1
	v_mbcnt_lo_u32_b32 v1, -1, 0
	s_cmpk_lt_u32 s2, 0x100
	s_mov_b32 s0, -1
                                        ; implicit-def: $vgpr2
	v_cmp_eq_u32_e32 vcc_lo, 0, v1
	s_cbranch_scc0 .LBB194_58
; %bb.53:
	v_cmp_ne_u32_e64 s0, 31, v1
	v_and_b32_e32 v3, 0xe0, v0
	v_add_nc_u32_e32 v4, 1, v1
	v_cmp_gt_u32_e64 s1, 28, v1
	v_add_co_ci_u32_e64 v2, null, 0, v1, s0
	v_cmp_gt_u32_e64 s0, 30, v1
	v_sub_nc_u32_e64 v7, s2, v3 clamp
	v_lshlrev_b32_e32 v2, 2, v2
	v_cndmask_b32_e64 v6, 0, 2, s0
	v_cmp_lt_u32_e64 s0, v4, v7
	v_cndmask_b32_e64 v4, 0, 4, s1
	s_waitcnt vmcnt(0)
	ds_bpermute_b32 v2, v2, v5
	v_add_lshl_u32 v3, v6, v1, 2
	v_add_nc_u32_e32 v6, 2, v1
	v_add_lshl_u32 v4, v4, v1, 2
	v_cmp_lt_u32_e64 s1, v6, v7
	v_add_nc_u32_e32 v6, 4, v1
	s_waitcnt lgkmcnt(0)
	v_add_f32_e32 v2, v5, v2
	v_cndmask_b32_e64 v2, v5, v2, s0
	ds_bpermute_b32 v3, v3, v2
	s_waitcnt lgkmcnt(0)
	v_add_f32_e32 v3, v2, v3
	v_cndmask_b32_e64 v2, v2, v3, s1
	v_cmp_gt_u32_e64 s1, 24, v1
	ds_bpermute_b32 v3, v4, v2
	v_cndmask_b32_e64 v4, 0, 8, s1
	v_cmp_lt_u32_e64 s1, v6, v7
	v_add_lshl_u32 v4, v4, v1, 2
	s_waitcnt lgkmcnt(0)
	v_add_f32_e32 v3, v2, v3
	v_cndmask_b32_e64 v2, v2, v3, s1
	ds_bpermute_b32 v3, v4, v2
	v_add_nc_u32_e32 v4, 8, v1
	v_cmp_lt_u32_e64 s1, v4, v7
	s_waitcnt lgkmcnt(0)
	v_add_f32_e32 v6, v2, v3
	v_lshlrev_b32_e32 v3, 2, v1
	v_cndmask_b32_e64 v2, v2, v6, s1
	v_or_b32_e32 v4, 64, v3
	v_add_nc_u32_e32 v6, 16, v1
	ds_bpermute_b32 v4, v4, v2
	v_cmp_lt_u32_e64 s1, v6, v7
	s_waitcnt lgkmcnt(0)
	v_add_f32_e32 v4, v2, v4
	v_cndmask_b32_e64 v2, v2, v4, s1
	v_cndmask_b32_e64 v2, v5, v2, s0
	s_and_saveexec_b32 s0, vcc_lo
; %bb.54:
	v_lshrrev_b32_e32 v4, 3, v0
	v_and_b32_e32 v4, 28, v4
	ds_write_b32 v4, v2
; %bb.55:
	s_or_b32 exec_lo, exec_lo, s0
	s_mov_b32 s1, exec_lo
	s_waitcnt lgkmcnt(0)
	s_barrier
	buffer_gl0_inv
	v_cmpx_gt_u32_e32 8, v0
	s_cbranch_execz .LBB194_57
; %bb.56:
	ds_read_b32 v2, v3
	v_and_b32_e32 v4, 7, v1
	s_add_i32 s2, s2, 31
	v_or_b32_e32 v3, 16, v3
	s_lshr_b32 s2, s2, 5
	v_cmp_ne_u32_e32 vcc_lo, 7, v4
	v_add_nc_u32_e32 v8, 1, v4
	v_add_co_ci_u32_e64 v6, null, 0, v1, vcc_lo
	v_cmp_gt_u32_e32 vcc_lo, 6, v4
	v_lshlrev_b32_e32 v6, 2, v6
	v_cndmask_b32_e64 v7, 0, 2, vcc_lo
	v_cmp_gt_u32_e32 vcc_lo, s2, v8
	v_add_nc_u32_e32 v8, 2, v4
	s_waitcnt lgkmcnt(0)
	ds_bpermute_b32 v6, v6, v2
	v_add_nc_u32_e32 v4, 4, v4
	v_add_lshl_u32 v7, v7, v1, 2
	v_cmp_gt_u32_e64 s0, s2, v8
	s_waitcnt lgkmcnt(0)
	v_add_f32_e32 v6, v2, v6
	v_cndmask_b32_e32 v6, v2, v6, vcc_lo
	ds_bpermute_b32 v7, v7, v6
	s_waitcnt lgkmcnt(0)
	v_add_f32_e32 v7, v6, v7
	v_cndmask_b32_e64 v6, v6, v7, s0
	v_cmp_gt_u32_e64 s0, s2, v4
	ds_bpermute_b32 v3, v3, v6
	s_waitcnt lgkmcnt(0)
	v_add_f32_e32 v3, v6, v3
	v_cndmask_b32_e64 v3, v6, v3, s0
	v_cndmask_b32_e32 v2, v2, v3, vcc_lo
.LBB194_57:
	s_or_b32 exec_lo, exec_lo, s1
	s_mov_b32 s0, 0
.LBB194_58:
	s_and_b32 vcc_lo, exec_lo, s0
	s_cbranch_vccz .LBB194_64
; %bb.59:
	s_waitcnt vmcnt(0)
	v_mov_b32_dpp v2, v5 quad_perm:[1,0,3,2] row_mask:0xf bank_mask:0xf
	s_mov_b32 s0, exec_lo
	v_add_f32_e32 v2, v5, v2
	v_mov_b32_dpp v3, v2 quad_perm:[2,3,0,1] row_mask:0xf bank_mask:0xf
	v_add_f32_e32 v2, v2, v3
	v_mov_b32_dpp v3, v2 row_ror:4 row_mask:0xf bank_mask:0xf
	v_add_f32_e32 v2, v2, v3
	v_mov_b32_dpp v3, v2 row_ror:8 row_mask:0xf bank_mask:0xf
	v_add_f32_e32 v2, v2, v3
	ds_swizzle_b32 v3, v2 offset:swizzle(BROADCAST,32,15)
	s_waitcnt lgkmcnt(0)
	v_add_f32_e32 v2, v2, v3
	v_mov_b32_e32 v3, 0
	ds_bpermute_b32 v2, v3, v2 offset:124
	v_cmpx_eq_u32_e32 0, v1
	s_cbranch_execz .LBB194_61
; %bb.60:
	v_lshrrev_b32_e32 v3, 3, v0
	v_and_b32_e32 v3, 28, v3
	s_waitcnt lgkmcnt(0)
	ds_write_b32 v3, v2
.LBB194_61:
	s_or_b32 exec_lo, exec_lo, s0
	s_mov_b32 s0, exec_lo
	s_waitcnt lgkmcnt(0)
	s_barrier
	buffer_gl0_inv
	v_cmpx_gt_u32_e32 32, v0
	s_cbranch_execz .LBB194_63
; %bb.62:
	v_and_b32_e32 v2, 7, v1
	v_lshlrev_b32_e32 v3, 2, v2
	v_cmp_ne_u32_e32 vcc_lo, 7, v2
	ds_read_b32 v3, v3
	v_add_co_ci_u32_e64 v4, null, 0, v1, vcc_lo
	v_cmp_gt_u32_e32 vcc_lo, 6, v2
	v_lshlrev_b32_e32 v4, 2, v4
	v_cndmask_b32_e64 v2, 0, 2, vcc_lo
	v_add_lshl_u32 v2, v2, v1, 2
	v_lshlrev_b32_e32 v1, 2, v1
	v_or_b32_e32 v1, 16, v1
	s_waitcnt lgkmcnt(0)
	ds_bpermute_b32 v4, v4, v3
	s_waitcnt lgkmcnt(0)
	v_add_f32_e32 v3, v3, v4
	ds_bpermute_b32 v2, v2, v3
	s_waitcnt lgkmcnt(0)
	v_add_f32_e32 v2, v3, v2
	;; [unrolled: 3-line block ×3, first 2 shown]
.LBB194_63:
	s_or_b32 exec_lo, exec_lo, s0
.LBB194_64:
	s_mov_b32 s0, exec_lo
                                        ; implicit-def: $vgpr1
	v_cmpx_eq_u32_e32 0, v0
; %bb.65:
	v_add_f32_e32 v1, s17, v2
	s_or_b32 s30, s30, exec_lo
; %bb.66:
	s_or_b32 exec_lo, exec_lo, s0
	s_and_saveexec_b32 s0, s30
	s_cbranch_execz .LBB194_68
.LBB194_67:
	s_lshl_b64 s[0:1], s[24:25], 2
	v_mov_b32_e32 v0, 0
	s_add_u32 s2, s22, s0
	s_addc_u32 s3, s23, s1
	s_lshl_b64 s[0:1], s[6:7], 2
	s_add_u32 s0, s2, s0
	s_addc_u32 s1, s3, s1
	global_store_dword v0, v1, s[0:1]
.LBB194_68:
	s_endpgm
	.section	.rodata,"a",@progbits
	.p2align	6, 0x0
	.amdhsa_kernel _ZN7rocprim17ROCPRIM_400000_NS6detail17trampoline_kernelINS0_14default_configENS1_32segmented_reduce_config_selectorIfEEZNS1_21segmented_reduce_implIS3_PKfPfPKlfN6hipcub16HIPCUB_304000_NS6detail27convert_result_type_wrapperIS8_S9_N2at6native12_GLOBAL__N_19CustomSumEEEEE10hipError_tPvRmT0_T1_jT2_SQ_T4_T3_P12ihipStream_tbEUlT_E_NS1_11comp_targetILNS1_3genE8ELNS1_11target_archE1030ELNS1_3gpuE2ELNS1_3repE0EEENS1_30default_config_static_selectorELNS0_4arch9wavefront6targetE0EEEvSP_
		.amdhsa_group_segment_fixed_size 32
		.amdhsa_private_segment_fixed_size 0
		.amdhsa_kernarg_size 48
		.amdhsa_user_sgpr_count 6
		.amdhsa_user_sgpr_private_segment_buffer 1
		.amdhsa_user_sgpr_dispatch_ptr 0
		.amdhsa_user_sgpr_queue_ptr 0
		.amdhsa_user_sgpr_kernarg_segment_ptr 1
		.amdhsa_user_sgpr_dispatch_id 0
		.amdhsa_user_sgpr_flat_scratch_init 0
		.amdhsa_user_sgpr_private_segment_size 0
		.amdhsa_wavefront_size32 1
		.amdhsa_uses_dynamic_stack 0
		.amdhsa_system_sgpr_private_segment_wavefront_offset 0
		.amdhsa_system_sgpr_workgroup_id_x 1
		.amdhsa_system_sgpr_workgroup_id_y 0
		.amdhsa_system_sgpr_workgroup_id_z 0
		.amdhsa_system_sgpr_workgroup_info 0
		.amdhsa_system_vgpr_workitem_id 0
		.amdhsa_next_free_vgpr 23
		.amdhsa_next_free_sgpr 32
		.amdhsa_reserve_vcc 1
		.amdhsa_reserve_flat_scratch 0
		.amdhsa_float_round_mode_32 0
		.amdhsa_float_round_mode_16_64 0
		.amdhsa_float_denorm_mode_32 3
		.amdhsa_float_denorm_mode_16_64 3
		.amdhsa_dx10_clamp 1
		.amdhsa_ieee_mode 1
		.amdhsa_fp16_overflow 0
		.amdhsa_workgroup_processor_mode 1
		.amdhsa_memory_ordered 1
		.amdhsa_forward_progress 1
		.amdhsa_shared_vgpr_count 0
		.amdhsa_exception_fp_ieee_invalid_op 0
		.amdhsa_exception_fp_denorm_src 0
		.amdhsa_exception_fp_ieee_div_zero 0
		.amdhsa_exception_fp_ieee_overflow 0
		.amdhsa_exception_fp_ieee_underflow 0
		.amdhsa_exception_fp_ieee_inexact 0
		.amdhsa_exception_int_div_zero 0
	.end_amdhsa_kernel
	.section	.text._ZN7rocprim17ROCPRIM_400000_NS6detail17trampoline_kernelINS0_14default_configENS1_32segmented_reduce_config_selectorIfEEZNS1_21segmented_reduce_implIS3_PKfPfPKlfN6hipcub16HIPCUB_304000_NS6detail27convert_result_type_wrapperIS8_S9_N2at6native12_GLOBAL__N_19CustomSumEEEEE10hipError_tPvRmT0_T1_jT2_SQ_T4_T3_P12ihipStream_tbEUlT_E_NS1_11comp_targetILNS1_3genE8ELNS1_11target_archE1030ELNS1_3gpuE2ELNS1_3repE0EEENS1_30default_config_static_selectorELNS0_4arch9wavefront6targetE0EEEvSP_,"axG",@progbits,_ZN7rocprim17ROCPRIM_400000_NS6detail17trampoline_kernelINS0_14default_configENS1_32segmented_reduce_config_selectorIfEEZNS1_21segmented_reduce_implIS3_PKfPfPKlfN6hipcub16HIPCUB_304000_NS6detail27convert_result_type_wrapperIS8_S9_N2at6native12_GLOBAL__N_19CustomSumEEEEE10hipError_tPvRmT0_T1_jT2_SQ_T4_T3_P12ihipStream_tbEUlT_E_NS1_11comp_targetILNS1_3genE8ELNS1_11target_archE1030ELNS1_3gpuE2ELNS1_3repE0EEENS1_30default_config_static_selectorELNS0_4arch9wavefront6targetE0EEEvSP_,comdat
.Lfunc_end194:
	.size	_ZN7rocprim17ROCPRIM_400000_NS6detail17trampoline_kernelINS0_14default_configENS1_32segmented_reduce_config_selectorIfEEZNS1_21segmented_reduce_implIS3_PKfPfPKlfN6hipcub16HIPCUB_304000_NS6detail27convert_result_type_wrapperIS8_S9_N2at6native12_GLOBAL__N_19CustomSumEEEEE10hipError_tPvRmT0_T1_jT2_SQ_T4_T3_P12ihipStream_tbEUlT_E_NS1_11comp_targetILNS1_3genE8ELNS1_11target_archE1030ELNS1_3gpuE2ELNS1_3repE0EEENS1_30default_config_static_selectorELNS0_4arch9wavefront6targetE0EEEvSP_, .Lfunc_end194-_ZN7rocprim17ROCPRIM_400000_NS6detail17trampoline_kernelINS0_14default_configENS1_32segmented_reduce_config_selectorIfEEZNS1_21segmented_reduce_implIS3_PKfPfPKlfN6hipcub16HIPCUB_304000_NS6detail27convert_result_type_wrapperIS8_S9_N2at6native12_GLOBAL__N_19CustomSumEEEEE10hipError_tPvRmT0_T1_jT2_SQ_T4_T3_P12ihipStream_tbEUlT_E_NS1_11comp_targetILNS1_3genE8ELNS1_11target_archE1030ELNS1_3gpuE2ELNS1_3repE0EEENS1_30default_config_static_selectorELNS0_4arch9wavefront6targetE0EEEvSP_
                                        ; -- End function
	.set _ZN7rocprim17ROCPRIM_400000_NS6detail17trampoline_kernelINS0_14default_configENS1_32segmented_reduce_config_selectorIfEEZNS1_21segmented_reduce_implIS3_PKfPfPKlfN6hipcub16HIPCUB_304000_NS6detail27convert_result_type_wrapperIS8_S9_N2at6native12_GLOBAL__N_19CustomSumEEEEE10hipError_tPvRmT0_T1_jT2_SQ_T4_T3_P12ihipStream_tbEUlT_E_NS1_11comp_targetILNS1_3genE8ELNS1_11target_archE1030ELNS1_3gpuE2ELNS1_3repE0EEENS1_30default_config_static_selectorELNS0_4arch9wavefront6targetE0EEEvSP_.num_vgpr, 23
	.set _ZN7rocprim17ROCPRIM_400000_NS6detail17trampoline_kernelINS0_14default_configENS1_32segmented_reduce_config_selectorIfEEZNS1_21segmented_reduce_implIS3_PKfPfPKlfN6hipcub16HIPCUB_304000_NS6detail27convert_result_type_wrapperIS8_S9_N2at6native12_GLOBAL__N_19CustomSumEEEEE10hipError_tPvRmT0_T1_jT2_SQ_T4_T3_P12ihipStream_tbEUlT_E_NS1_11comp_targetILNS1_3genE8ELNS1_11target_archE1030ELNS1_3gpuE2ELNS1_3repE0EEENS1_30default_config_static_selectorELNS0_4arch9wavefront6targetE0EEEvSP_.num_agpr, 0
	.set _ZN7rocprim17ROCPRIM_400000_NS6detail17trampoline_kernelINS0_14default_configENS1_32segmented_reduce_config_selectorIfEEZNS1_21segmented_reduce_implIS3_PKfPfPKlfN6hipcub16HIPCUB_304000_NS6detail27convert_result_type_wrapperIS8_S9_N2at6native12_GLOBAL__N_19CustomSumEEEEE10hipError_tPvRmT0_T1_jT2_SQ_T4_T3_P12ihipStream_tbEUlT_E_NS1_11comp_targetILNS1_3genE8ELNS1_11target_archE1030ELNS1_3gpuE2ELNS1_3repE0EEENS1_30default_config_static_selectorELNS0_4arch9wavefront6targetE0EEEvSP_.numbered_sgpr, 32
	.set _ZN7rocprim17ROCPRIM_400000_NS6detail17trampoline_kernelINS0_14default_configENS1_32segmented_reduce_config_selectorIfEEZNS1_21segmented_reduce_implIS3_PKfPfPKlfN6hipcub16HIPCUB_304000_NS6detail27convert_result_type_wrapperIS8_S9_N2at6native12_GLOBAL__N_19CustomSumEEEEE10hipError_tPvRmT0_T1_jT2_SQ_T4_T3_P12ihipStream_tbEUlT_E_NS1_11comp_targetILNS1_3genE8ELNS1_11target_archE1030ELNS1_3gpuE2ELNS1_3repE0EEENS1_30default_config_static_selectorELNS0_4arch9wavefront6targetE0EEEvSP_.num_named_barrier, 0
	.set _ZN7rocprim17ROCPRIM_400000_NS6detail17trampoline_kernelINS0_14default_configENS1_32segmented_reduce_config_selectorIfEEZNS1_21segmented_reduce_implIS3_PKfPfPKlfN6hipcub16HIPCUB_304000_NS6detail27convert_result_type_wrapperIS8_S9_N2at6native12_GLOBAL__N_19CustomSumEEEEE10hipError_tPvRmT0_T1_jT2_SQ_T4_T3_P12ihipStream_tbEUlT_E_NS1_11comp_targetILNS1_3genE8ELNS1_11target_archE1030ELNS1_3gpuE2ELNS1_3repE0EEENS1_30default_config_static_selectorELNS0_4arch9wavefront6targetE0EEEvSP_.private_seg_size, 0
	.set _ZN7rocprim17ROCPRIM_400000_NS6detail17trampoline_kernelINS0_14default_configENS1_32segmented_reduce_config_selectorIfEEZNS1_21segmented_reduce_implIS3_PKfPfPKlfN6hipcub16HIPCUB_304000_NS6detail27convert_result_type_wrapperIS8_S9_N2at6native12_GLOBAL__N_19CustomSumEEEEE10hipError_tPvRmT0_T1_jT2_SQ_T4_T3_P12ihipStream_tbEUlT_E_NS1_11comp_targetILNS1_3genE8ELNS1_11target_archE1030ELNS1_3gpuE2ELNS1_3repE0EEENS1_30default_config_static_selectorELNS0_4arch9wavefront6targetE0EEEvSP_.uses_vcc, 1
	.set _ZN7rocprim17ROCPRIM_400000_NS6detail17trampoline_kernelINS0_14default_configENS1_32segmented_reduce_config_selectorIfEEZNS1_21segmented_reduce_implIS3_PKfPfPKlfN6hipcub16HIPCUB_304000_NS6detail27convert_result_type_wrapperIS8_S9_N2at6native12_GLOBAL__N_19CustomSumEEEEE10hipError_tPvRmT0_T1_jT2_SQ_T4_T3_P12ihipStream_tbEUlT_E_NS1_11comp_targetILNS1_3genE8ELNS1_11target_archE1030ELNS1_3gpuE2ELNS1_3repE0EEENS1_30default_config_static_selectorELNS0_4arch9wavefront6targetE0EEEvSP_.uses_flat_scratch, 0
	.set _ZN7rocprim17ROCPRIM_400000_NS6detail17trampoline_kernelINS0_14default_configENS1_32segmented_reduce_config_selectorIfEEZNS1_21segmented_reduce_implIS3_PKfPfPKlfN6hipcub16HIPCUB_304000_NS6detail27convert_result_type_wrapperIS8_S9_N2at6native12_GLOBAL__N_19CustomSumEEEEE10hipError_tPvRmT0_T1_jT2_SQ_T4_T3_P12ihipStream_tbEUlT_E_NS1_11comp_targetILNS1_3genE8ELNS1_11target_archE1030ELNS1_3gpuE2ELNS1_3repE0EEENS1_30default_config_static_selectorELNS0_4arch9wavefront6targetE0EEEvSP_.has_dyn_sized_stack, 0
	.set _ZN7rocprim17ROCPRIM_400000_NS6detail17trampoline_kernelINS0_14default_configENS1_32segmented_reduce_config_selectorIfEEZNS1_21segmented_reduce_implIS3_PKfPfPKlfN6hipcub16HIPCUB_304000_NS6detail27convert_result_type_wrapperIS8_S9_N2at6native12_GLOBAL__N_19CustomSumEEEEE10hipError_tPvRmT0_T1_jT2_SQ_T4_T3_P12ihipStream_tbEUlT_E_NS1_11comp_targetILNS1_3genE8ELNS1_11target_archE1030ELNS1_3gpuE2ELNS1_3repE0EEENS1_30default_config_static_selectorELNS0_4arch9wavefront6targetE0EEEvSP_.has_recursion, 0
	.set _ZN7rocprim17ROCPRIM_400000_NS6detail17trampoline_kernelINS0_14default_configENS1_32segmented_reduce_config_selectorIfEEZNS1_21segmented_reduce_implIS3_PKfPfPKlfN6hipcub16HIPCUB_304000_NS6detail27convert_result_type_wrapperIS8_S9_N2at6native12_GLOBAL__N_19CustomSumEEEEE10hipError_tPvRmT0_T1_jT2_SQ_T4_T3_P12ihipStream_tbEUlT_E_NS1_11comp_targetILNS1_3genE8ELNS1_11target_archE1030ELNS1_3gpuE2ELNS1_3repE0EEENS1_30default_config_static_selectorELNS0_4arch9wavefront6targetE0EEEvSP_.has_indirect_call, 0
	.section	.AMDGPU.csdata,"",@progbits
; Kernel info:
; codeLenInByte = 3540
; TotalNumSgprs: 34
; NumVgprs: 23
; ScratchSize: 0
; MemoryBound: 0
; FloatMode: 240
; IeeeMode: 1
; LDSByteSize: 32 bytes/workgroup (compile time only)
; SGPRBlocks: 0
; VGPRBlocks: 2
; NumSGPRsForWavesPerEU: 34
; NumVGPRsForWavesPerEU: 23
; Occupancy: 16
; WaveLimiterHint : 1
; COMPUTE_PGM_RSRC2:SCRATCH_EN: 0
; COMPUTE_PGM_RSRC2:USER_SGPR: 6
; COMPUTE_PGM_RSRC2:TRAP_HANDLER: 0
; COMPUTE_PGM_RSRC2:TGID_X_EN: 1
; COMPUTE_PGM_RSRC2:TGID_Y_EN: 0
; COMPUTE_PGM_RSRC2:TGID_Z_EN: 0
; COMPUTE_PGM_RSRC2:TIDIG_COMP_CNT: 0
	.section	.text._ZN2at6native12_GLOBAL__N_119post_sum_div_kernelIflEEvPT_PKT0_lbS3_,"axG",@progbits,_ZN2at6native12_GLOBAL__N_119post_sum_div_kernelIflEEvPT_PKT0_lbS3_,comdat
	.globl	_ZN2at6native12_GLOBAL__N_119post_sum_div_kernelIflEEvPT_PKT0_lbS3_ ; -- Begin function _ZN2at6native12_GLOBAL__N_119post_sum_div_kernelIflEEvPT_PKT0_lbS3_
	.p2align	8
	.type	_ZN2at6native12_GLOBAL__N_119post_sum_div_kernelIflEEvPT_PKT0_lbS3_,@function
_ZN2at6native12_GLOBAL__N_119post_sum_div_kernelIflEEvPT_PKT0_lbS3_: ; @_ZN2at6native12_GLOBAL__N_119post_sum_div_kernelIflEEvPT_PKT0_lbS3_
; %bb.0:
	s_clause 0x1
	s_load_dword s7, s[4:5], 0x2c
	s_load_dwordx2 s[2:3], s[4:5], 0x10
	v_mov_b32_e32 v1, 0
	s_add_u32 s0, s4, 32
	s_addc_u32 s1, s5, 0
	s_waitcnt lgkmcnt(0)
	s_and_b32 s8, s7, 0xffff
	v_mad_u64_u32 v[2:3], null, s8, s6, v[0:1]
	s_mov_b32 s6, exec_lo
	v_cmpx_gt_i64_e64 s[2:3], v[2:3]
	s_cbranch_execz .LBB195_12
; %bb.1:
	s_load_dwordx2 s[10:11], s[4:5], 0x18
	s_load_dword s0, s[0:1], 0x0
	s_load_dwordx4 s[4:7], s[4:5], 0x0
	v_mov_b32_e32 v0, v1
	v_mov_b32_e32 v1, v2
	s_mov_b32 s1, 0
                                        ; implicit-def: $sgpr9
                                        ; implicit-def: $sgpr12
	s_waitcnt lgkmcnt(0)
	v_mov_b32_e32 v4, s11
	s_bitcmp1_b32 s10, 0
	s_mul_i32 s8, s0, s8
	s_cselect_b32 vcc_lo, -1, 0
	s_mov_b32 s10, s8
	v_cndmask_b32_e32 v8, 0x7fc00000, v4, vcc_lo
                                        ; implicit-def: $sgpr11
.LBB195_2:                              ; =>This Inner Loop Header: Depth=1
	v_ashrrev_i64 v[4:5], 29, v[0:1]
	s_or_b32 s11, s11, exec_lo
	s_or_b32 s12, s12, exec_lo
	s_mov_b32 s13, exec_lo
	v_add_co_u32 v4, vcc_lo, s6, v4
	v_add_co_ci_u32_e64 v5, null, s7, v5, vcc_lo
	global_load_dwordx2 v[6:7], v[4:5], off
	s_waitcnt vmcnt(0)
	v_cmpx_lt_i64_e32 -1, v[6:7]
	s_cbranch_execz .LBB195_10
; %bb.3:                                ;   in Loop: Header=BB195_2 Depth=1
	v_ashrrev_i32_e32 v5, 31, v1
	v_mov_b32_e32 v4, v1
	v_mov_b32_e32 v9, v8
	s_mov_b32 s14, -1
	v_lshlrev_b64 v[4:5], 2, v[4:5]
	v_add_co_u32 v4, s0, s4, v4
	v_add_co_ci_u32_e64 v5, null, s5, v5, s0
	s_mov_b32 s0, exec_lo
	v_cmpx_ne_u64_e32 0, v[6:7]
	s_cbranch_execz .LBB195_7
; %bb.4:                                ;   in Loop: Header=BB195_2 Depth=1
	global_load_dword v10, v[4:5], off
	s_mov_b32 s14, 0
	s_mov_b32 s15, exec_lo
                                        ; implicit-def: $vgpr9
	s_waitcnt vmcnt(0)
	v_cmpx_o_f32_e32 v10, v10
	s_cbranch_execz .LBB195_6
; %bb.5:                                ;   in Loop: Header=BB195_2 Depth=1
	v_ffbh_u32_e32 v9, v7
	s_mov_b32 s14, exec_lo
	v_min_u32_e32 v9, 32, v9
	v_lshlrev_b64 v[6:7], v9, v[6:7]
	v_min_u32_e32 v6, 1, v6
	v_or_b32_e32 v6, v7, v6
	v_sub_nc_u32_e32 v7, 32, v9
	v_cvt_f32_u32_e32 v6, v6
	v_ldexp_f32 v6, v6, v7
	v_div_scale_f32 v7, null, v6, v6, v10
	v_rcp_f32_e32 v9, v7
	v_fma_f32 v11, -v7, v9, 1.0
	v_fmac_f32_e32 v9, v11, v9
	v_div_scale_f32 v11, vcc_lo, v10, v6, v10
	v_mul_f32_e32 v12, v11, v9
	v_fma_f32 v13, -v7, v12, v11
	v_fmac_f32_e32 v12, v13, v9
	v_fma_f32 v7, -v7, v12, v11
	v_div_fmas_f32 v7, v7, v9, v12
	v_div_fixup_f32 v9, v7, v6, v10
.LBB195_6:                              ;   in Loop: Header=BB195_2 Depth=1
	s_or_b32 exec_lo, exec_lo, s15
	s_orn2_b32 s14, s14, exec_lo
.LBB195_7:                              ;   in Loop: Header=BB195_2 Depth=1
	s_or_b32 exec_lo, exec_lo, s0
	s_and_saveexec_b32 s0, s14
	s_cbranch_execz .LBB195_9
; %bb.8:                                ;   in Loop: Header=BB195_2 Depth=1
	global_store_dword v[4:5], v9, off
.LBB195_9:                              ;   in Loop: Header=BB195_2 Depth=1
	s_or_b32 exec_lo, exec_lo, s0
	v_add_co_u32 v2, vcc_lo, v2, s8
	v_add_co_ci_u32_e64 v3, null, 0, v3, vcc_lo
	v_add_co_u32 v0, s0, v0, 0
	v_add_co_ci_u32_e64 v1, null, s10, v1, s0
	v_cmp_le_i64_e32 vcc_lo, s[2:3], v[2:3]
	s_andn2_b32 s0, s12, exec_lo
	s_andn2_b32 s11, s11, exec_lo
	s_and_b32 s12, vcc_lo, exec_lo
	s_or_b32 s12, s0, s12
.LBB195_10:                             ;   in Loop: Header=BB195_2 Depth=1
	s_or_b32 exec_lo, exec_lo, s13
	s_and_b32 s0, exec_lo, s12
	s_or_b32 s1, s0, s1
	s_andn2_b32 s0, s9, exec_lo
	s_and_b32 s9, s11, exec_lo
	s_or_b32 s9, s0, s9
	s_andn2_b32 exec_lo, exec_lo, s1
	s_cbranch_execnz .LBB195_2
; %bb.11:
	s_or_b32 exec_lo, exec_lo, s1
	s_and_saveexec_b32 s0, s9
	s_xor_b32 s0, exec_lo, s0
	s_cbranch_execnz .LBB195_13
.LBB195_12:
	s_endpgm
.LBB195_13:
	s_trap 2
	; divergent unreachable
	s_endpgm
	.section	.rodata,"a",@progbits
	.p2align	6, 0x0
	.amdhsa_kernel _ZN2at6native12_GLOBAL__N_119post_sum_div_kernelIflEEvPT_PKT0_lbS3_
		.amdhsa_group_segment_fixed_size 0
		.amdhsa_private_segment_fixed_size 0
		.amdhsa_kernarg_size 288
		.amdhsa_user_sgpr_count 6
		.amdhsa_user_sgpr_private_segment_buffer 1
		.amdhsa_user_sgpr_dispatch_ptr 0
		.amdhsa_user_sgpr_queue_ptr 0
		.amdhsa_user_sgpr_kernarg_segment_ptr 1
		.amdhsa_user_sgpr_dispatch_id 0
		.amdhsa_user_sgpr_flat_scratch_init 0
		.amdhsa_user_sgpr_private_segment_size 0
		.amdhsa_wavefront_size32 1
		.amdhsa_uses_dynamic_stack 0
		.amdhsa_system_sgpr_private_segment_wavefront_offset 0
		.amdhsa_system_sgpr_workgroup_id_x 1
		.amdhsa_system_sgpr_workgroup_id_y 0
		.amdhsa_system_sgpr_workgroup_id_z 0
		.amdhsa_system_sgpr_workgroup_info 0
		.amdhsa_system_vgpr_workitem_id 0
		.amdhsa_next_free_vgpr 14
		.amdhsa_next_free_sgpr 16
		.amdhsa_reserve_vcc 1
		.amdhsa_reserve_flat_scratch 0
		.amdhsa_float_round_mode_32 0
		.amdhsa_float_round_mode_16_64 0
		.amdhsa_float_denorm_mode_32 3
		.amdhsa_float_denorm_mode_16_64 3
		.amdhsa_dx10_clamp 1
		.amdhsa_ieee_mode 1
		.amdhsa_fp16_overflow 0
		.amdhsa_workgroup_processor_mode 1
		.amdhsa_memory_ordered 1
		.amdhsa_forward_progress 1
		.amdhsa_shared_vgpr_count 0
		.amdhsa_exception_fp_ieee_invalid_op 0
		.amdhsa_exception_fp_denorm_src 0
		.amdhsa_exception_fp_ieee_div_zero 0
		.amdhsa_exception_fp_ieee_overflow 0
		.amdhsa_exception_fp_ieee_underflow 0
		.amdhsa_exception_fp_ieee_inexact 0
		.amdhsa_exception_int_div_zero 0
	.end_amdhsa_kernel
	.section	.text._ZN2at6native12_GLOBAL__N_119post_sum_div_kernelIflEEvPT_PKT0_lbS3_,"axG",@progbits,_ZN2at6native12_GLOBAL__N_119post_sum_div_kernelIflEEvPT_PKT0_lbS3_,comdat
.Lfunc_end195:
	.size	_ZN2at6native12_GLOBAL__N_119post_sum_div_kernelIflEEvPT_PKT0_lbS3_, .Lfunc_end195-_ZN2at6native12_GLOBAL__N_119post_sum_div_kernelIflEEvPT_PKT0_lbS3_
                                        ; -- End function
	.set _ZN2at6native12_GLOBAL__N_119post_sum_div_kernelIflEEvPT_PKT0_lbS3_.num_vgpr, 14
	.set _ZN2at6native12_GLOBAL__N_119post_sum_div_kernelIflEEvPT_PKT0_lbS3_.num_agpr, 0
	.set _ZN2at6native12_GLOBAL__N_119post_sum_div_kernelIflEEvPT_PKT0_lbS3_.numbered_sgpr, 16
	.set _ZN2at6native12_GLOBAL__N_119post_sum_div_kernelIflEEvPT_PKT0_lbS3_.num_named_barrier, 0
	.set _ZN2at6native12_GLOBAL__N_119post_sum_div_kernelIflEEvPT_PKT0_lbS3_.private_seg_size, 0
	.set _ZN2at6native12_GLOBAL__N_119post_sum_div_kernelIflEEvPT_PKT0_lbS3_.uses_vcc, 1
	.set _ZN2at6native12_GLOBAL__N_119post_sum_div_kernelIflEEvPT_PKT0_lbS3_.uses_flat_scratch, 0
	.set _ZN2at6native12_GLOBAL__N_119post_sum_div_kernelIflEEvPT_PKT0_lbS3_.has_dyn_sized_stack, 0
	.set _ZN2at6native12_GLOBAL__N_119post_sum_div_kernelIflEEvPT_PKT0_lbS3_.has_recursion, 0
	.set _ZN2at6native12_GLOBAL__N_119post_sum_div_kernelIflEEvPT_PKT0_lbS3_.has_indirect_call, 0
	.section	.AMDGPU.csdata,"",@progbits
; Kernel info:
; codeLenInByte = 532
; TotalNumSgprs: 18
; NumVgprs: 14
; ScratchSize: 0
; MemoryBound: 0
; FloatMode: 240
; IeeeMode: 1
; LDSByteSize: 0 bytes/workgroup (compile time only)
; SGPRBlocks: 0
; VGPRBlocks: 1
; NumSGPRsForWavesPerEU: 18
; NumVGPRsForWavesPerEU: 14
; Occupancy: 16
; WaveLimiterHint : 0
; COMPUTE_PGM_RSRC2:SCRATCH_EN: 0
; COMPUTE_PGM_RSRC2:USER_SGPR: 6
; COMPUTE_PGM_RSRC2:TRAP_HANDLER: 0
; COMPUTE_PGM_RSRC2:TGID_X_EN: 1
; COMPUTE_PGM_RSRC2:TGID_Y_EN: 0
; COMPUTE_PGM_RSRC2:TGID_Z_EN: 0
; COMPUTE_PGM_RSRC2:TIDIG_COMP_CNT: 0
	.section	.text._ZN7rocprim17ROCPRIM_400000_NS6detail17trampoline_kernelINS0_14default_configENS1_32segmented_reduce_config_selectorIfEEZNS1_21segmented_reduce_implIS3_PKfPfPKlfN6hipcub16HIPCUB_304000_NS6detail27convert_result_type_wrapperIS8_S9_N2at6native12_GLOBAL__N_19CustomMinEEEEE10hipError_tPvRmT0_T1_jT2_SQ_T4_T3_P12ihipStream_tbEUlT_E_NS1_11comp_targetILNS1_3genE0ELNS1_11target_archE4294967295ELNS1_3gpuE0ELNS1_3repE0EEENS1_30default_config_static_selectorELNS0_4arch9wavefront6targetE0EEEvSP_,"axG",@progbits,_ZN7rocprim17ROCPRIM_400000_NS6detail17trampoline_kernelINS0_14default_configENS1_32segmented_reduce_config_selectorIfEEZNS1_21segmented_reduce_implIS3_PKfPfPKlfN6hipcub16HIPCUB_304000_NS6detail27convert_result_type_wrapperIS8_S9_N2at6native12_GLOBAL__N_19CustomMinEEEEE10hipError_tPvRmT0_T1_jT2_SQ_T4_T3_P12ihipStream_tbEUlT_E_NS1_11comp_targetILNS1_3genE0ELNS1_11target_archE4294967295ELNS1_3gpuE0ELNS1_3repE0EEENS1_30default_config_static_selectorELNS0_4arch9wavefront6targetE0EEEvSP_,comdat
	.globl	_ZN7rocprim17ROCPRIM_400000_NS6detail17trampoline_kernelINS0_14default_configENS1_32segmented_reduce_config_selectorIfEEZNS1_21segmented_reduce_implIS3_PKfPfPKlfN6hipcub16HIPCUB_304000_NS6detail27convert_result_type_wrapperIS8_S9_N2at6native12_GLOBAL__N_19CustomMinEEEEE10hipError_tPvRmT0_T1_jT2_SQ_T4_T3_P12ihipStream_tbEUlT_E_NS1_11comp_targetILNS1_3genE0ELNS1_11target_archE4294967295ELNS1_3gpuE0ELNS1_3repE0EEENS1_30default_config_static_selectorELNS0_4arch9wavefront6targetE0EEEvSP_ ; -- Begin function _ZN7rocprim17ROCPRIM_400000_NS6detail17trampoline_kernelINS0_14default_configENS1_32segmented_reduce_config_selectorIfEEZNS1_21segmented_reduce_implIS3_PKfPfPKlfN6hipcub16HIPCUB_304000_NS6detail27convert_result_type_wrapperIS8_S9_N2at6native12_GLOBAL__N_19CustomMinEEEEE10hipError_tPvRmT0_T1_jT2_SQ_T4_T3_P12ihipStream_tbEUlT_E_NS1_11comp_targetILNS1_3genE0ELNS1_11target_archE4294967295ELNS1_3gpuE0ELNS1_3repE0EEENS1_30default_config_static_selectorELNS0_4arch9wavefront6targetE0EEEvSP_
	.p2align	8
	.type	_ZN7rocprim17ROCPRIM_400000_NS6detail17trampoline_kernelINS0_14default_configENS1_32segmented_reduce_config_selectorIfEEZNS1_21segmented_reduce_implIS3_PKfPfPKlfN6hipcub16HIPCUB_304000_NS6detail27convert_result_type_wrapperIS8_S9_N2at6native12_GLOBAL__N_19CustomMinEEEEE10hipError_tPvRmT0_T1_jT2_SQ_T4_T3_P12ihipStream_tbEUlT_E_NS1_11comp_targetILNS1_3genE0ELNS1_11target_archE4294967295ELNS1_3gpuE0ELNS1_3repE0EEENS1_30default_config_static_selectorELNS0_4arch9wavefront6targetE0EEEvSP_,@function
_ZN7rocprim17ROCPRIM_400000_NS6detail17trampoline_kernelINS0_14default_configENS1_32segmented_reduce_config_selectorIfEEZNS1_21segmented_reduce_implIS3_PKfPfPKlfN6hipcub16HIPCUB_304000_NS6detail27convert_result_type_wrapperIS8_S9_N2at6native12_GLOBAL__N_19CustomMinEEEEE10hipError_tPvRmT0_T1_jT2_SQ_T4_T3_P12ihipStream_tbEUlT_E_NS1_11comp_targetILNS1_3genE0ELNS1_11target_archE4294967295ELNS1_3gpuE0ELNS1_3repE0EEENS1_30default_config_static_selectorELNS0_4arch9wavefront6targetE0EEEvSP_: ; @_ZN7rocprim17ROCPRIM_400000_NS6detail17trampoline_kernelINS0_14default_configENS1_32segmented_reduce_config_selectorIfEEZNS1_21segmented_reduce_implIS3_PKfPfPKlfN6hipcub16HIPCUB_304000_NS6detail27convert_result_type_wrapperIS8_S9_N2at6native12_GLOBAL__N_19CustomMinEEEEE10hipError_tPvRmT0_T1_jT2_SQ_T4_T3_P12ihipStream_tbEUlT_E_NS1_11comp_targetILNS1_3genE0ELNS1_11target_archE4294967295ELNS1_3gpuE0ELNS1_3repE0EEENS1_30default_config_static_selectorELNS0_4arch9wavefront6targetE0EEEvSP_
; %bb.0:
	.section	.rodata,"a",@progbits
	.p2align	6, 0x0
	.amdhsa_kernel _ZN7rocprim17ROCPRIM_400000_NS6detail17trampoline_kernelINS0_14default_configENS1_32segmented_reduce_config_selectorIfEEZNS1_21segmented_reduce_implIS3_PKfPfPKlfN6hipcub16HIPCUB_304000_NS6detail27convert_result_type_wrapperIS8_S9_N2at6native12_GLOBAL__N_19CustomMinEEEEE10hipError_tPvRmT0_T1_jT2_SQ_T4_T3_P12ihipStream_tbEUlT_E_NS1_11comp_targetILNS1_3genE0ELNS1_11target_archE4294967295ELNS1_3gpuE0ELNS1_3repE0EEENS1_30default_config_static_selectorELNS0_4arch9wavefront6targetE0EEEvSP_
		.amdhsa_group_segment_fixed_size 0
		.amdhsa_private_segment_fixed_size 0
		.amdhsa_kernarg_size 48
		.amdhsa_user_sgpr_count 6
		.amdhsa_user_sgpr_private_segment_buffer 1
		.amdhsa_user_sgpr_dispatch_ptr 0
		.amdhsa_user_sgpr_queue_ptr 0
		.amdhsa_user_sgpr_kernarg_segment_ptr 1
		.amdhsa_user_sgpr_dispatch_id 0
		.amdhsa_user_sgpr_flat_scratch_init 0
		.amdhsa_user_sgpr_private_segment_size 0
		.amdhsa_wavefront_size32 1
		.amdhsa_uses_dynamic_stack 0
		.amdhsa_system_sgpr_private_segment_wavefront_offset 0
		.amdhsa_system_sgpr_workgroup_id_x 1
		.amdhsa_system_sgpr_workgroup_id_y 0
		.amdhsa_system_sgpr_workgroup_id_z 0
		.amdhsa_system_sgpr_workgroup_info 0
		.amdhsa_system_vgpr_workitem_id 0
		.amdhsa_next_free_vgpr 1
		.amdhsa_next_free_sgpr 1
		.amdhsa_reserve_vcc 0
		.amdhsa_reserve_flat_scratch 0
		.amdhsa_float_round_mode_32 0
		.amdhsa_float_round_mode_16_64 0
		.amdhsa_float_denorm_mode_32 3
		.amdhsa_float_denorm_mode_16_64 3
		.amdhsa_dx10_clamp 1
		.amdhsa_ieee_mode 1
		.amdhsa_fp16_overflow 0
		.amdhsa_workgroup_processor_mode 1
		.amdhsa_memory_ordered 1
		.amdhsa_forward_progress 1
		.amdhsa_shared_vgpr_count 0
		.amdhsa_exception_fp_ieee_invalid_op 0
		.amdhsa_exception_fp_denorm_src 0
		.amdhsa_exception_fp_ieee_div_zero 0
		.amdhsa_exception_fp_ieee_overflow 0
		.amdhsa_exception_fp_ieee_underflow 0
		.amdhsa_exception_fp_ieee_inexact 0
		.amdhsa_exception_int_div_zero 0
	.end_amdhsa_kernel
	.section	.text._ZN7rocprim17ROCPRIM_400000_NS6detail17trampoline_kernelINS0_14default_configENS1_32segmented_reduce_config_selectorIfEEZNS1_21segmented_reduce_implIS3_PKfPfPKlfN6hipcub16HIPCUB_304000_NS6detail27convert_result_type_wrapperIS8_S9_N2at6native12_GLOBAL__N_19CustomMinEEEEE10hipError_tPvRmT0_T1_jT2_SQ_T4_T3_P12ihipStream_tbEUlT_E_NS1_11comp_targetILNS1_3genE0ELNS1_11target_archE4294967295ELNS1_3gpuE0ELNS1_3repE0EEENS1_30default_config_static_selectorELNS0_4arch9wavefront6targetE0EEEvSP_,"axG",@progbits,_ZN7rocprim17ROCPRIM_400000_NS6detail17trampoline_kernelINS0_14default_configENS1_32segmented_reduce_config_selectorIfEEZNS1_21segmented_reduce_implIS3_PKfPfPKlfN6hipcub16HIPCUB_304000_NS6detail27convert_result_type_wrapperIS8_S9_N2at6native12_GLOBAL__N_19CustomMinEEEEE10hipError_tPvRmT0_T1_jT2_SQ_T4_T3_P12ihipStream_tbEUlT_E_NS1_11comp_targetILNS1_3genE0ELNS1_11target_archE4294967295ELNS1_3gpuE0ELNS1_3repE0EEENS1_30default_config_static_selectorELNS0_4arch9wavefront6targetE0EEEvSP_,comdat
.Lfunc_end196:
	.size	_ZN7rocprim17ROCPRIM_400000_NS6detail17trampoline_kernelINS0_14default_configENS1_32segmented_reduce_config_selectorIfEEZNS1_21segmented_reduce_implIS3_PKfPfPKlfN6hipcub16HIPCUB_304000_NS6detail27convert_result_type_wrapperIS8_S9_N2at6native12_GLOBAL__N_19CustomMinEEEEE10hipError_tPvRmT0_T1_jT2_SQ_T4_T3_P12ihipStream_tbEUlT_E_NS1_11comp_targetILNS1_3genE0ELNS1_11target_archE4294967295ELNS1_3gpuE0ELNS1_3repE0EEENS1_30default_config_static_selectorELNS0_4arch9wavefront6targetE0EEEvSP_, .Lfunc_end196-_ZN7rocprim17ROCPRIM_400000_NS6detail17trampoline_kernelINS0_14default_configENS1_32segmented_reduce_config_selectorIfEEZNS1_21segmented_reduce_implIS3_PKfPfPKlfN6hipcub16HIPCUB_304000_NS6detail27convert_result_type_wrapperIS8_S9_N2at6native12_GLOBAL__N_19CustomMinEEEEE10hipError_tPvRmT0_T1_jT2_SQ_T4_T3_P12ihipStream_tbEUlT_E_NS1_11comp_targetILNS1_3genE0ELNS1_11target_archE4294967295ELNS1_3gpuE0ELNS1_3repE0EEENS1_30default_config_static_selectorELNS0_4arch9wavefront6targetE0EEEvSP_
                                        ; -- End function
	.set _ZN7rocprim17ROCPRIM_400000_NS6detail17trampoline_kernelINS0_14default_configENS1_32segmented_reduce_config_selectorIfEEZNS1_21segmented_reduce_implIS3_PKfPfPKlfN6hipcub16HIPCUB_304000_NS6detail27convert_result_type_wrapperIS8_S9_N2at6native12_GLOBAL__N_19CustomMinEEEEE10hipError_tPvRmT0_T1_jT2_SQ_T4_T3_P12ihipStream_tbEUlT_E_NS1_11comp_targetILNS1_3genE0ELNS1_11target_archE4294967295ELNS1_3gpuE0ELNS1_3repE0EEENS1_30default_config_static_selectorELNS0_4arch9wavefront6targetE0EEEvSP_.num_vgpr, 0
	.set _ZN7rocprim17ROCPRIM_400000_NS6detail17trampoline_kernelINS0_14default_configENS1_32segmented_reduce_config_selectorIfEEZNS1_21segmented_reduce_implIS3_PKfPfPKlfN6hipcub16HIPCUB_304000_NS6detail27convert_result_type_wrapperIS8_S9_N2at6native12_GLOBAL__N_19CustomMinEEEEE10hipError_tPvRmT0_T1_jT2_SQ_T4_T3_P12ihipStream_tbEUlT_E_NS1_11comp_targetILNS1_3genE0ELNS1_11target_archE4294967295ELNS1_3gpuE0ELNS1_3repE0EEENS1_30default_config_static_selectorELNS0_4arch9wavefront6targetE0EEEvSP_.num_agpr, 0
	.set _ZN7rocprim17ROCPRIM_400000_NS6detail17trampoline_kernelINS0_14default_configENS1_32segmented_reduce_config_selectorIfEEZNS1_21segmented_reduce_implIS3_PKfPfPKlfN6hipcub16HIPCUB_304000_NS6detail27convert_result_type_wrapperIS8_S9_N2at6native12_GLOBAL__N_19CustomMinEEEEE10hipError_tPvRmT0_T1_jT2_SQ_T4_T3_P12ihipStream_tbEUlT_E_NS1_11comp_targetILNS1_3genE0ELNS1_11target_archE4294967295ELNS1_3gpuE0ELNS1_3repE0EEENS1_30default_config_static_selectorELNS0_4arch9wavefront6targetE0EEEvSP_.numbered_sgpr, 0
	.set _ZN7rocprim17ROCPRIM_400000_NS6detail17trampoline_kernelINS0_14default_configENS1_32segmented_reduce_config_selectorIfEEZNS1_21segmented_reduce_implIS3_PKfPfPKlfN6hipcub16HIPCUB_304000_NS6detail27convert_result_type_wrapperIS8_S9_N2at6native12_GLOBAL__N_19CustomMinEEEEE10hipError_tPvRmT0_T1_jT2_SQ_T4_T3_P12ihipStream_tbEUlT_E_NS1_11comp_targetILNS1_3genE0ELNS1_11target_archE4294967295ELNS1_3gpuE0ELNS1_3repE0EEENS1_30default_config_static_selectorELNS0_4arch9wavefront6targetE0EEEvSP_.num_named_barrier, 0
	.set _ZN7rocprim17ROCPRIM_400000_NS6detail17trampoline_kernelINS0_14default_configENS1_32segmented_reduce_config_selectorIfEEZNS1_21segmented_reduce_implIS3_PKfPfPKlfN6hipcub16HIPCUB_304000_NS6detail27convert_result_type_wrapperIS8_S9_N2at6native12_GLOBAL__N_19CustomMinEEEEE10hipError_tPvRmT0_T1_jT2_SQ_T4_T3_P12ihipStream_tbEUlT_E_NS1_11comp_targetILNS1_3genE0ELNS1_11target_archE4294967295ELNS1_3gpuE0ELNS1_3repE0EEENS1_30default_config_static_selectorELNS0_4arch9wavefront6targetE0EEEvSP_.private_seg_size, 0
	.set _ZN7rocprim17ROCPRIM_400000_NS6detail17trampoline_kernelINS0_14default_configENS1_32segmented_reduce_config_selectorIfEEZNS1_21segmented_reduce_implIS3_PKfPfPKlfN6hipcub16HIPCUB_304000_NS6detail27convert_result_type_wrapperIS8_S9_N2at6native12_GLOBAL__N_19CustomMinEEEEE10hipError_tPvRmT0_T1_jT2_SQ_T4_T3_P12ihipStream_tbEUlT_E_NS1_11comp_targetILNS1_3genE0ELNS1_11target_archE4294967295ELNS1_3gpuE0ELNS1_3repE0EEENS1_30default_config_static_selectorELNS0_4arch9wavefront6targetE0EEEvSP_.uses_vcc, 0
	.set _ZN7rocprim17ROCPRIM_400000_NS6detail17trampoline_kernelINS0_14default_configENS1_32segmented_reduce_config_selectorIfEEZNS1_21segmented_reduce_implIS3_PKfPfPKlfN6hipcub16HIPCUB_304000_NS6detail27convert_result_type_wrapperIS8_S9_N2at6native12_GLOBAL__N_19CustomMinEEEEE10hipError_tPvRmT0_T1_jT2_SQ_T4_T3_P12ihipStream_tbEUlT_E_NS1_11comp_targetILNS1_3genE0ELNS1_11target_archE4294967295ELNS1_3gpuE0ELNS1_3repE0EEENS1_30default_config_static_selectorELNS0_4arch9wavefront6targetE0EEEvSP_.uses_flat_scratch, 0
	.set _ZN7rocprim17ROCPRIM_400000_NS6detail17trampoline_kernelINS0_14default_configENS1_32segmented_reduce_config_selectorIfEEZNS1_21segmented_reduce_implIS3_PKfPfPKlfN6hipcub16HIPCUB_304000_NS6detail27convert_result_type_wrapperIS8_S9_N2at6native12_GLOBAL__N_19CustomMinEEEEE10hipError_tPvRmT0_T1_jT2_SQ_T4_T3_P12ihipStream_tbEUlT_E_NS1_11comp_targetILNS1_3genE0ELNS1_11target_archE4294967295ELNS1_3gpuE0ELNS1_3repE0EEENS1_30default_config_static_selectorELNS0_4arch9wavefront6targetE0EEEvSP_.has_dyn_sized_stack, 0
	.set _ZN7rocprim17ROCPRIM_400000_NS6detail17trampoline_kernelINS0_14default_configENS1_32segmented_reduce_config_selectorIfEEZNS1_21segmented_reduce_implIS3_PKfPfPKlfN6hipcub16HIPCUB_304000_NS6detail27convert_result_type_wrapperIS8_S9_N2at6native12_GLOBAL__N_19CustomMinEEEEE10hipError_tPvRmT0_T1_jT2_SQ_T4_T3_P12ihipStream_tbEUlT_E_NS1_11comp_targetILNS1_3genE0ELNS1_11target_archE4294967295ELNS1_3gpuE0ELNS1_3repE0EEENS1_30default_config_static_selectorELNS0_4arch9wavefront6targetE0EEEvSP_.has_recursion, 0
	.set _ZN7rocprim17ROCPRIM_400000_NS6detail17trampoline_kernelINS0_14default_configENS1_32segmented_reduce_config_selectorIfEEZNS1_21segmented_reduce_implIS3_PKfPfPKlfN6hipcub16HIPCUB_304000_NS6detail27convert_result_type_wrapperIS8_S9_N2at6native12_GLOBAL__N_19CustomMinEEEEE10hipError_tPvRmT0_T1_jT2_SQ_T4_T3_P12ihipStream_tbEUlT_E_NS1_11comp_targetILNS1_3genE0ELNS1_11target_archE4294967295ELNS1_3gpuE0ELNS1_3repE0EEENS1_30default_config_static_selectorELNS0_4arch9wavefront6targetE0EEEvSP_.has_indirect_call, 0
	.section	.AMDGPU.csdata,"",@progbits
; Kernel info:
; codeLenInByte = 0
; TotalNumSgprs: 0
; NumVgprs: 0
; ScratchSize: 0
; MemoryBound: 0
; FloatMode: 240
; IeeeMode: 1
; LDSByteSize: 0 bytes/workgroup (compile time only)
; SGPRBlocks: 0
; VGPRBlocks: 0
; NumSGPRsForWavesPerEU: 1
; NumVGPRsForWavesPerEU: 1
; Occupancy: 16
; WaveLimiterHint : 0
; COMPUTE_PGM_RSRC2:SCRATCH_EN: 0
; COMPUTE_PGM_RSRC2:USER_SGPR: 6
; COMPUTE_PGM_RSRC2:TRAP_HANDLER: 0
; COMPUTE_PGM_RSRC2:TGID_X_EN: 1
; COMPUTE_PGM_RSRC2:TGID_Y_EN: 0
; COMPUTE_PGM_RSRC2:TGID_Z_EN: 0
; COMPUTE_PGM_RSRC2:TIDIG_COMP_CNT: 0
	.section	.text._ZN7rocprim17ROCPRIM_400000_NS6detail17trampoline_kernelINS0_14default_configENS1_32segmented_reduce_config_selectorIfEEZNS1_21segmented_reduce_implIS3_PKfPfPKlfN6hipcub16HIPCUB_304000_NS6detail27convert_result_type_wrapperIS8_S9_N2at6native12_GLOBAL__N_19CustomMinEEEEE10hipError_tPvRmT0_T1_jT2_SQ_T4_T3_P12ihipStream_tbEUlT_E_NS1_11comp_targetILNS1_3genE5ELNS1_11target_archE942ELNS1_3gpuE9ELNS1_3repE0EEENS1_30default_config_static_selectorELNS0_4arch9wavefront6targetE0EEEvSP_,"axG",@progbits,_ZN7rocprim17ROCPRIM_400000_NS6detail17trampoline_kernelINS0_14default_configENS1_32segmented_reduce_config_selectorIfEEZNS1_21segmented_reduce_implIS3_PKfPfPKlfN6hipcub16HIPCUB_304000_NS6detail27convert_result_type_wrapperIS8_S9_N2at6native12_GLOBAL__N_19CustomMinEEEEE10hipError_tPvRmT0_T1_jT2_SQ_T4_T3_P12ihipStream_tbEUlT_E_NS1_11comp_targetILNS1_3genE5ELNS1_11target_archE942ELNS1_3gpuE9ELNS1_3repE0EEENS1_30default_config_static_selectorELNS0_4arch9wavefront6targetE0EEEvSP_,comdat
	.globl	_ZN7rocprim17ROCPRIM_400000_NS6detail17trampoline_kernelINS0_14default_configENS1_32segmented_reduce_config_selectorIfEEZNS1_21segmented_reduce_implIS3_PKfPfPKlfN6hipcub16HIPCUB_304000_NS6detail27convert_result_type_wrapperIS8_S9_N2at6native12_GLOBAL__N_19CustomMinEEEEE10hipError_tPvRmT0_T1_jT2_SQ_T4_T3_P12ihipStream_tbEUlT_E_NS1_11comp_targetILNS1_3genE5ELNS1_11target_archE942ELNS1_3gpuE9ELNS1_3repE0EEENS1_30default_config_static_selectorELNS0_4arch9wavefront6targetE0EEEvSP_ ; -- Begin function _ZN7rocprim17ROCPRIM_400000_NS6detail17trampoline_kernelINS0_14default_configENS1_32segmented_reduce_config_selectorIfEEZNS1_21segmented_reduce_implIS3_PKfPfPKlfN6hipcub16HIPCUB_304000_NS6detail27convert_result_type_wrapperIS8_S9_N2at6native12_GLOBAL__N_19CustomMinEEEEE10hipError_tPvRmT0_T1_jT2_SQ_T4_T3_P12ihipStream_tbEUlT_E_NS1_11comp_targetILNS1_3genE5ELNS1_11target_archE942ELNS1_3gpuE9ELNS1_3repE0EEENS1_30default_config_static_selectorELNS0_4arch9wavefront6targetE0EEEvSP_
	.p2align	8
	.type	_ZN7rocprim17ROCPRIM_400000_NS6detail17trampoline_kernelINS0_14default_configENS1_32segmented_reduce_config_selectorIfEEZNS1_21segmented_reduce_implIS3_PKfPfPKlfN6hipcub16HIPCUB_304000_NS6detail27convert_result_type_wrapperIS8_S9_N2at6native12_GLOBAL__N_19CustomMinEEEEE10hipError_tPvRmT0_T1_jT2_SQ_T4_T3_P12ihipStream_tbEUlT_E_NS1_11comp_targetILNS1_3genE5ELNS1_11target_archE942ELNS1_3gpuE9ELNS1_3repE0EEENS1_30default_config_static_selectorELNS0_4arch9wavefront6targetE0EEEvSP_,@function
_ZN7rocprim17ROCPRIM_400000_NS6detail17trampoline_kernelINS0_14default_configENS1_32segmented_reduce_config_selectorIfEEZNS1_21segmented_reduce_implIS3_PKfPfPKlfN6hipcub16HIPCUB_304000_NS6detail27convert_result_type_wrapperIS8_S9_N2at6native12_GLOBAL__N_19CustomMinEEEEE10hipError_tPvRmT0_T1_jT2_SQ_T4_T3_P12ihipStream_tbEUlT_E_NS1_11comp_targetILNS1_3genE5ELNS1_11target_archE942ELNS1_3gpuE9ELNS1_3repE0EEENS1_30default_config_static_selectorELNS0_4arch9wavefront6targetE0EEEvSP_: ; @_ZN7rocprim17ROCPRIM_400000_NS6detail17trampoline_kernelINS0_14default_configENS1_32segmented_reduce_config_selectorIfEEZNS1_21segmented_reduce_implIS3_PKfPfPKlfN6hipcub16HIPCUB_304000_NS6detail27convert_result_type_wrapperIS8_S9_N2at6native12_GLOBAL__N_19CustomMinEEEEE10hipError_tPvRmT0_T1_jT2_SQ_T4_T3_P12ihipStream_tbEUlT_E_NS1_11comp_targetILNS1_3genE5ELNS1_11target_archE942ELNS1_3gpuE9ELNS1_3repE0EEENS1_30default_config_static_selectorELNS0_4arch9wavefront6targetE0EEEvSP_
; %bb.0:
	.section	.rodata,"a",@progbits
	.p2align	6, 0x0
	.amdhsa_kernel _ZN7rocprim17ROCPRIM_400000_NS6detail17trampoline_kernelINS0_14default_configENS1_32segmented_reduce_config_selectorIfEEZNS1_21segmented_reduce_implIS3_PKfPfPKlfN6hipcub16HIPCUB_304000_NS6detail27convert_result_type_wrapperIS8_S9_N2at6native12_GLOBAL__N_19CustomMinEEEEE10hipError_tPvRmT0_T1_jT2_SQ_T4_T3_P12ihipStream_tbEUlT_E_NS1_11comp_targetILNS1_3genE5ELNS1_11target_archE942ELNS1_3gpuE9ELNS1_3repE0EEENS1_30default_config_static_selectorELNS0_4arch9wavefront6targetE0EEEvSP_
		.amdhsa_group_segment_fixed_size 0
		.amdhsa_private_segment_fixed_size 0
		.amdhsa_kernarg_size 48
		.amdhsa_user_sgpr_count 6
		.amdhsa_user_sgpr_private_segment_buffer 1
		.amdhsa_user_sgpr_dispatch_ptr 0
		.amdhsa_user_sgpr_queue_ptr 0
		.amdhsa_user_sgpr_kernarg_segment_ptr 1
		.amdhsa_user_sgpr_dispatch_id 0
		.amdhsa_user_sgpr_flat_scratch_init 0
		.amdhsa_user_sgpr_private_segment_size 0
		.amdhsa_wavefront_size32 1
		.amdhsa_uses_dynamic_stack 0
		.amdhsa_system_sgpr_private_segment_wavefront_offset 0
		.amdhsa_system_sgpr_workgroup_id_x 1
		.amdhsa_system_sgpr_workgroup_id_y 0
		.amdhsa_system_sgpr_workgroup_id_z 0
		.amdhsa_system_sgpr_workgroup_info 0
		.amdhsa_system_vgpr_workitem_id 0
		.amdhsa_next_free_vgpr 1
		.amdhsa_next_free_sgpr 1
		.amdhsa_reserve_vcc 0
		.amdhsa_reserve_flat_scratch 0
		.amdhsa_float_round_mode_32 0
		.amdhsa_float_round_mode_16_64 0
		.amdhsa_float_denorm_mode_32 3
		.amdhsa_float_denorm_mode_16_64 3
		.amdhsa_dx10_clamp 1
		.amdhsa_ieee_mode 1
		.amdhsa_fp16_overflow 0
		.amdhsa_workgroup_processor_mode 1
		.amdhsa_memory_ordered 1
		.amdhsa_forward_progress 1
		.amdhsa_shared_vgpr_count 0
		.amdhsa_exception_fp_ieee_invalid_op 0
		.amdhsa_exception_fp_denorm_src 0
		.amdhsa_exception_fp_ieee_div_zero 0
		.amdhsa_exception_fp_ieee_overflow 0
		.amdhsa_exception_fp_ieee_underflow 0
		.amdhsa_exception_fp_ieee_inexact 0
		.amdhsa_exception_int_div_zero 0
	.end_amdhsa_kernel
	.section	.text._ZN7rocprim17ROCPRIM_400000_NS6detail17trampoline_kernelINS0_14default_configENS1_32segmented_reduce_config_selectorIfEEZNS1_21segmented_reduce_implIS3_PKfPfPKlfN6hipcub16HIPCUB_304000_NS6detail27convert_result_type_wrapperIS8_S9_N2at6native12_GLOBAL__N_19CustomMinEEEEE10hipError_tPvRmT0_T1_jT2_SQ_T4_T3_P12ihipStream_tbEUlT_E_NS1_11comp_targetILNS1_3genE5ELNS1_11target_archE942ELNS1_3gpuE9ELNS1_3repE0EEENS1_30default_config_static_selectorELNS0_4arch9wavefront6targetE0EEEvSP_,"axG",@progbits,_ZN7rocprim17ROCPRIM_400000_NS6detail17trampoline_kernelINS0_14default_configENS1_32segmented_reduce_config_selectorIfEEZNS1_21segmented_reduce_implIS3_PKfPfPKlfN6hipcub16HIPCUB_304000_NS6detail27convert_result_type_wrapperIS8_S9_N2at6native12_GLOBAL__N_19CustomMinEEEEE10hipError_tPvRmT0_T1_jT2_SQ_T4_T3_P12ihipStream_tbEUlT_E_NS1_11comp_targetILNS1_3genE5ELNS1_11target_archE942ELNS1_3gpuE9ELNS1_3repE0EEENS1_30default_config_static_selectorELNS0_4arch9wavefront6targetE0EEEvSP_,comdat
.Lfunc_end197:
	.size	_ZN7rocprim17ROCPRIM_400000_NS6detail17trampoline_kernelINS0_14default_configENS1_32segmented_reduce_config_selectorIfEEZNS1_21segmented_reduce_implIS3_PKfPfPKlfN6hipcub16HIPCUB_304000_NS6detail27convert_result_type_wrapperIS8_S9_N2at6native12_GLOBAL__N_19CustomMinEEEEE10hipError_tPvRmT0_T1_jT2_SQ_T4_T3_P12ihipStream_tbEUlT_E_NS1_11comp_targetILNS1_3genE5ELNS1_11target_archE942ELNS1_3gpuE9ELNS1_3repE0EEENS1_30default_config_static_selectorELNS0_4arch9wavefront6targetE0EEEvSP_, .Lfunc_end197-_ZN7rocprim17ROCPRIM_400000_NS6detail17trampoline_kernelINS0_14default_configENS1_32segmented_reduce_config_selectorIfEEZNS1_21segmented_reduce_implIS3_PKfPfPKlfN6hipcub16HIPCUB_304000_NS6detail27convert_result_type_wrapperIS8_S9_N2at6native12_GLOBAL__N_19CustomMinEEEEE10hipError_tPvRmT0_T1_jT2_SQ_T4_T3_P12ihipStream_tbEUlT_E_NS1_11comp_targetILNS1_3genE5ELNS1_11target_archE942ELNS1_3gpuE9ELNS1_3repE0EEENS1_30default_config_static_selectorELNS0_4arch9wavefront6targetE0EEEvSP_
                                        ; -- End function
	.set _ZN7rocprim17ROCPRIM_400000_NS6detail17trampoline_kernelINS0_14default_configENS1_32segmented_reduce_config_selectorIfEEZNS1_21segmented_reduce_implIS3_PKfPfPKlfN6hipcub16HIPCUB_304000_NS6detail27convert_result_type_wrapperIS8_S9_N2at6native12_GLOBAL__N_19CustomMinEEEEE10hipError_tPvRmT0_T1_jT2_SQ_T4_T3_P12ihipStream_tbEUlT_E_NS1_11comp_targetILNS1_3genE5ELNS1_11target_archE942ELNS1_3gpuE9ELNS1_3repE0EEENS1_30default_config_static_selectorELNS0_4arch9wavefront6targetE0EEEvSP_.num_vgpr, 0
	.set _ZN7rocprim17ROCPRIM_400000_NS6detail17trampoline_kernelINS0_14default_configENS1_32segmented_reduce_config_selectorIfEEZNS1_21segmented_reduce_implIS3_PKfPfPKlfN6hipcub16HIPCUB_304000_NS6detail27convert_result_type_wrapperIS8_S9_N2at6native12_GLOBAL__N_19CustomMinEEEEE10hipError_tPvRmT0_T1_jT2_SQ_T4_T3_P12ihipStream_tbEUlT_E_NS1_11comp_targetILNS1_3genE5ELNS1_11target_archE942ELNS1_3gpuE9ELNS1_3repE0EEENS1_30default_config_static_selectorELNS0_4arch9wavefront6targetE0EEEvSP_.num_agpr, 0
	.set _ZN7rocprim17ROCPRIM_400000_NS6detail17trampoline_kernelINS0_14default_configENS1_32segmented_reduce_config_selectorIfEEZNS1_21segmented_reduce_implIS3_PKfPfPKlfN6hipcub16HIPCUB_304000_NS6detail27convert_result_type_wrapperIS8_S9_N2at6native12_GLOBAL__N_19CustomMinEEEEE10hipError_tPvRmT0_T1_jT2_SQ_T4_T3_P12ihipStream_tbEUlT_E_NS1_11comp_targetILNS1_3genE5ELNS1_11target_archE942ELNS1_3gpuE9ELNS1_3repE0EEENS1_30default_config_static_selectorELNS0_4arch9wavefront6targetE0EEEvSP_.numbered_sgpr, 0
	.set _ZN7rocprim17ROCPRIM_400000_NS6detail17trampoline_kernelINS0_14default_configENS1_32segmented_reduce_config_selectorIfEEZNS1_21segmented_reduce_implIS3_PKfPfPKlfN6hipcub16HIPCUB_304000_NS6detail27convert_result_type_wrapperIS8_S9_N2at6native12_GLOBAL__N_19CustomMinEEEEE10hipError_tPvRmT0_T1_jT2_SQ_T4_T3_P12ihipStream_tbEUlT_E_NS1_11comp_targetILNS1_3genE5ELNS1_11target_archE942ELNS1_3gpuE9ELNS1_3repE0EEENS1_30default_config_static_selectorELNS0_4arch9wavefront6targetE0EEEvSP_.num_named_barrier, 0
	.set _ZN7rocprim17ROCPRIM_400000_NS6detail17trampoline_kernelINS0_14default_configENS1_32segmented_reduce_config_selectorIfEEZNS1_21segmented_reduce_implIS3_PKfPfPKlfN6hipcub16HIPCUB_304000_NS6detail27convert_result_type_wrapperIS8_S9_N2at6native12_GLOBAL__N_19CustomMinEEEEE10hipError_tPvRmT0_T1_jT2_SQ_T4_T3_P12ihipStream_tbEUlT_E_NS1_11comp_targetILNS1_3genE5ELNS1_11target_archE942ELNS1_3gpuE9ELNS1_3repE0EEENS1_30default_config_static_selectorELNS0_4arch9wavefront6targetE0EEEvSP_.private_seg_size, 0
	.set _ZN7rocprim17ROCPRIM_400000_NS6detail17trampoline_kernelINS0_14default_configENS1_32segmented_reduce_config_selectorIfEEZNS1_21segmented_reduce_implIS3_PKfPfPKlfN6hipcub16HIPCUB_304000_NS6detail27convert_result_type_wrapperIS8_S9_N2at6native12_GLOBAL__N_19CustomMinEEEEE10hipError_tPvRmT0_T1_jT2_SQ_T4_T3_P12ihipStream_tbEUlT_E_NS1_11comp_targetILNS1_3genE5ELNS1_11target_archE942ELNS1_3gpuE9ELNS1_3repE0EEENS1_30default_config_static_selectorELNS0_4arch9wavefront6targetE0EEEvSP_.uses_vcc, 0
	.set _ZN7rocprim17ROCPRIM_400000_NS6detail17trampoline_kernelINS0_14default_configENS1_32segmented_reduce_config_selectorIfEEZNS1_21segmented_reduce_implIS3_PKfPfPKlfN6hipcub16HIPCUB_304000_NS6detail27convert_result_type_wrapperIS8_S9_N2at6native12_GLOBAL__N_19CustomMinEEEEE10hipError_tPvRmT0_T1_jT2_SQ_T4_T3_P12ihipStream_tbEUlT_E_NS1_11comp_targetILNS1_3genE5ELNS1_11target_archE942ELNS1_3gpuE9ELNS1_3repE0EEENS1_30default_config_static_selectorELNS0_4arch9wavefront6targetE0EEEvSP_.uses_flat_scratch, 0
	.set _ZN7rocprim17ROCPRIM_400000_NS6detail17trampoline_kernelINS0_14default_configENS1_32segmented_reduce_config_selectorIfEEZNS1_21segmented_reduce_implIS3_PKfPfPKlfN6hipcub16HIPCUB_304000_NS6detail27convert_result_type_wrapperIS8_S9_N2at6native12_GLOBAL__N_19CustomMinEEEEE10hipError_tPvRmT0_T1_jT2_SQ_T4_T3_P12ihipStream_tbEUlT_E_NS1_11comp_targetILNS1_3genE5ELNS1_11target_archE942ELNS1_3gpuE9ELNS1_3repE0EEENS1_30default_config_static_selectorELNS0_4arch9wavefront6targetE0EEEvSP_.has_dyn_sized_stack, 0
	.set _ZN7rocprim17ROCPRIM_400000_NS6detail17trampoline_kernelINS0_14default_configENS1_32segmented_reduce_config_selectorIfEEZNS1_21segmented_reduce_implIS3_PKfPfPKlfN6hipcub16HIPCUB_304000_NS6detail27convert_result_type_wrapperIS8_S9_N2at6native12_GLOBAL__N_19CustomMinEEEEE10hipError_tPvRmT0_T1_jT2_SQ_T4_T3_P12ihipStream_tbEUlT_E_NS1_11comp_targetILNS1_3genE5ELNS1_11target_archE942ELNS1_3gpuE9ELNS1_3repE0EEENS1_30default_config_static_selectorELNS0_4arch9wavefront6targetE0EEEvSP_.has_recursion, 0
	.set _ZN7rocprim17ROCPRIM_400000_NS6detail17trampoline_kernelINS0_14default_configENS1_32segmented_reduce_config_selectorIfEEZNS1_21segmented_reduce_implIS3_PKfPfPKlfN6hipcub16HIPCUB_304000_NS6detail27convert_result_type_wrapperIS8_S9_N2at6native12_GLOBAL__N_19CustomMinEEEEE10hipError_tPvRmT0_T1_jT2_SQ_T4_T3_P12ihipStream_tbEUlT_E_NS1_11comp_targetILNS1_3genE5ELNS1_11target_archE942ELNS1_3gpuE9ELNS1_3repE0EEENS1_30default_config_static_selectorELNS0_4arch9wavefront6targetE0EEEvSP_.has_indirect_call, 0
	.section	.AMDGPU.csdata,"",@progbits
; Kernel info:
; codeLenInByte = 0
; TotalNumSgprs: 0
; NumVgprs: 0
; ScratchSize: 0
; MemoryBound: 0
; FloatMode: 240
; IeeeMode: 1
; LDSByteSize: 0 bytes/workgroup (compile time only)
; SGPRBlocks: 0
; VGPRBlocks: 0
; NumSGPRsForWavesPerEU: 1
; NumVGPRsForWavesPerEU: 1
; Occupancy: 16
; WaveLimiterHint : 0
; COMPUTE_PGM_RSRC2:SCRATCH_EN: 0
; COMPUTE_PGM_RSRC2:USER_SGPR: 6
; COMPUTE_PGM_RSRC2:TRAP_HANDLER: 0
; COMPUTE_PGM_RSRC2:TGID_X_EN: 1
; COMPUTE_PGM_RSRC2:TGID_Y_EN: 0
; COMPUTE_PGM_RSRC2:TGID_Z_EN: 0
; COMPUTE_PGM_RSRC2:TIDIG_COMP_CNT: 0
	.section	.text._ZN7rocprim17ROCPRIM_400000_NS6detail17trampoline_kernelINS0_14default_configENS1_32segmented_reduce_config_selectorIfEEZNS1_21segmented_reduce_implIS3_PKfPfPKlfN6hipcub16HIPCUB_304000_NS6detail27convert_result_type_wrapperIS8_S9_N2at6native12_GLOBAL__N_19CustomMinEEEEE10hipError_tPvRmT0_T1_jT2_SQ_T4_T3_P12ihipStream_tbEUlT_E_NS1_11comp_targetILNS1_3genE10ELNS1_11target_archE1201ELNS1_3gpuE5ELNS1_3repE0EEENS1_30default_config_static_selectorELNS0_4arch9wavefront6targetE0EEEvSP_,"axG",@progbits,_ZN7rocprim17ROCPRIM_400000_NS6detail17trampoline_kernelINS0_14default_configENS1_32segmented_reduce_config_selectorIfEEZNS1_21segmented_reduce_implIS3_PKfPfPKlfN6hipcub16HIPCUB_304000_NS6detail27convert_result_type_wrapperIS8_S9_N2at6native12_GLOBAL__N_19CustomMinEEEEE10hipError_tPvRmT0_T1_jT2_SQ_T4_T3_P12ihipStream_tbEUlT_E_NS1_11comp_targetILNS1_3genE10ELNS1_11target_archE1201ELNS1_3gpuE5ELNS1_3repE0EEENS1_30default_config_static_selectorELNS0_4arch9wavefront6targetE0EEEvSP_,comdat
	.globl	_ZN7rocprim17ROCPRIM_400000_NS6detail17trampoline_kernelINS0_14default_configENS1_32segmented_reduce_config_selectorIfEEZNS1_21segmented_reduce_implIS3_PKfPfPKlfN6hipcub16HIPCUB_304000_NS6detail27convert_result_type_wrapperIS8_S9_N2at6native12_GLOBAL__N_19CustomMinEEEEE10hipError_tPvRmT0_T1_jT2_SQ_T4_T3_P12ihipStream_tbEUlT_E_NS1_11comp_targetILNS1_3genE10ELNS1_11target_archE1201ELNS1_3gpuE5ELNS1_3repE0EEENS1_30default_config_static_selectorELNS0_4arch9wavefront6targetE0EEEvSP_ ; -- Begin function _ZN7rocprim17ROCPRIM_400000_NS6detail17trampoline_kernelINS0_14default_configENS1_32segmented_reduce_config_selectorIfEEZNS1_21segmented_reduce_implIS3_PKfPfPKlfN6hipcub16HIPCUB_304000_NS6detail27convert_result_type_wrapperIS8_S9_N2at6native12_GLOBAL__N_19CustomMinEEEEE10hipError_tPvRmT0_T1_jT2_SQ_T4_T3_P12ihipStream_tbEUlT_E_NS1_11comp_targetILNS1_3genE10ELNS1_11target_archE1201ELNS1_3gpuE5ELNS1_3repE0EEENS1_30default_config_static_selectorELNS0_4arch9wavefront6targetE0EEEvSP_
	.p2align	8
	.type	_ZN7rocprim17ROCPRIM_400000_NS6detail17trampoline_kernelINS0_14default_configENS1_32segmented_reduce_config_selectorIfEEZNS1_21segmented_reduce_implIS3_PKfPfPKlfN6hipcub16HIPCUB_304000_NS6detail27convert_result_type_wrapperIS8_S9_N2at6native12_GLOBAL__N_19CustomMinEEEEE10hipError_tPvRmT0_T1_jT2_SQ_T4_T3_P12ihipStream_tbEUlT_E_NS1_11comp_targetILNS1_3genE10ELNS1_11target_archE1201ELNS1_3gpuE5ELNS1_3repE0EEENS1_30default_config_static_selectorELNS0_4arch9wavefront6targetE0EEEvSP_,@function
_ZN7rocprim17ROCPRIM_400000_NS6detail17trampoline_kernelINS0_14default_configENS1_32segmented_reduce_config_selectorIfEEZNS1_21segmented_reduce_implIS3_PKfPfPKlfN6hipcub16HIPCUB_304000_NS6detail27convert_result_type_wrapperIS8_S9_N2at6native12_GLOBAL__N_19CustomMinEEEEE10hipError_tPvRmT0_T1_jT2_SQ_T4_T3_P12ihipStream_tbEUlT_E_NS1_11comp_targetILNS1_3genE10ELNS1_11target_archE1201ELNS1_3gpuE5ELNS1_3repE0EEENS1_30default_config_static_selectorELNS0_4arch9wavefront6targetE0EEEvSP_: ; @_ZN7rocprim17ROCPRIM_400000_NS6detail17trampoline_kernelINS0_14default_configENS1_32segmented_reduce_config_selectorIfEEZNS1_21segmented_reduce_implIS3_PKfPfPKlfN6hipcub16HIPCUB_304000_NS6detail27convert_result_type_wrapperIS8_S9_N2at6native12_GLOBAL__N_19CustomMinEEEEE10hipError_tPvRmT0_T1_jT2_SQ_T4_T3_P12ihipStream_tbEUlT_E_NS1_11comp_targetILNS1_3genE10ELNS1_11target_archE1201ELNS1_3gpuE5ELNS1_3repE0EEENS1_30default_config_static_selectorELNS0_4arch9wavefront6targetE0EEEvSP_
; %bb.0:
	.section	.rodata,"a",@progbits
	.p2align	6, 0x0
	.amdhsa_kernel _ZN7rocprim17ROCPRIM_400000_NS6detail17trampoline_kernelINS0_14default_configENS1_32segmented_reduce_config_selectorIfEEZNS1_21segmented_reduce_implIS3_PKfPfPKlfN6hipcub16HIPCUB_304000_NS6detail27convert_result_type_wrapperIS8_S9_N2at6native12_GLOBAL__N_19CustomMinEEEEE10hipError_tPvRmT0_T1_jT2_SQ_T4_T3_P12ihipStream_tbEUlT_E_NS1_11comp_targetILNS1_3genE10ELNS1_11target_archE1201ELNS1_3gpuE5ELNS1_3repE0EEENS1_30default_config_static_selectorELNS0_4arch9wavefront6targetE0EEEvSP_
		.amdhsa_group_segment_fixed_size 0
		.amdhsa_private_segment_fixed_size 0
		.amdhsa_kernarg_size 48
		.amdhsa_user_sgpr_count 6
		.amdhsa_user_sgpr_private_segment_buffer 1
		.amdhsa_user_sgpr_dispatch_ptr 0
		.amdhsa_user_sgpr_queue_ptr 0
		.amdhsa_user_sgpr_kernarg_segment_ptr 1
		.amdhsa_user_sgpr_dispatch_id 0
		.amdhsa_user_sgpr_flat_scratch_init 0
		.amdhsa_user_sgpr_private_segment_size 0
		.amdhsa_wavefront_size32 1
		.amdhsa_uses_dynamic_stack 0
		.amdhsa_system_sgpr_private_segment_wavefront_offset 0
		.amdhsa_system_sgpr_workgroup_id_x 1
		.amdhsa_system_sgpr_workgroup_id_y 0
		.amdhsa_system_sgpr_workgroup_id_z 0
		.amdhsa_system_sgpr_workgroup_info 0
		.amdhsa_system_vgpr_workitem_id 0
		.amdhsa_next_free_vgpr 1
		.amdhsa_next_free_sgpr 1
		.amdhsa_reserve_vcc 0
		.amdhsa_reserve_flat_scratch 0
		.amdhsa_float_round_mode_32 0
		.amdhsa_float_round_mode_16_64 0
		.amdhsa_float_denorm_mode_32 3
		.amdhsa_float_denorm_mode_16_64 3
		.amdhsa_dx10_clamp 1
		.amdhsa_ieee_mode 1
		.amdhsa_fp16_overflow 0
		.amdhsa_workgroup_processor_mode 1
		.amdhsa_memory_ordered 1
		.amdhsa_forward_progress 1
		.amdhsa_shared_vgpr_count 0
		.amdhsa_exception_fp_ieee_invalid_op 0
		.amdhsa_exception_fp_denorm_src 0
		.amdhsa_exception_fp_ieee_div_zero 0
		.amdhsa_exception_fp_ieee_overflow 0
		.amdhsa_exception_fp_ieee_underflow 0
		.amdhsa_exception_fp_ieee_inexact 0
		.amdhsa_exception_int_div_zero 0
	.end_amdhsa_kernel
	.section	.text._ZN7rocprim17ROCPRIM_400000_NS6detail17trampoline_kernelINS0_14default_configENS1_32segmented_reduce_config_selectorIfEEZNS1_21segmented_reduce_implIS3_PKfPfPKlfN6hipcub16HIPCUB_304000_NS6detail27convert_result_type_wrapperIS8_S9_N2at6native12_GLOBAL__N_19CustomMinEEEEE10hipError_tPvRmT0_T1_jT2_SQ_T4_T3_P12ihipStream_tbEUlT_E_NS1_11comp_targetILNS1_3genE10ELNS1_11target_archE1201ELNS1_3gpuE5ELNS1_3repE0EEENS1_30default_config_static_selectorELNS0_4arch9wavefront6targetE0EEEvSP_,"axG",@progbits,_ZN7rocprim17ROCPRIM_400000_NS6detail17trampoline_kernelINS0_14default_configENS1_32segmented_reduce_config_selectorIfEEZNS1_21segmented_reduce_implIS3_PKfPfPKlfN6hipcub16HIPCUB_304000_NS6detail27convert_result_type_wrapperIS8_S9_N2at6native12_GLOBAL__N_19CustomMinEEEEE10hipError_tPvRmT0_T1_jT2_SQ_T4_T3_P12ihipStream_tbEUlT_E_NS1_11comp_targetILNS1_3genE10ELNS1_11target_archE1201ELNS1_3gpuE5ELNS1_3repE0EEENS1_30default_config_static_selectorELNS0_4arch9wavefront6targetE0EEEvSP_,comdat
.Lfunc_end198:
	.size	_ZN7rocprim17ROCPRIM_400000_NS6detail17trampoline_kernelINS0_14default_configENS1_32segmented_reduce_config_selectorIfEEZNS1_21segmented_reduce_implIS3_PKfPfPKlfN6hipcub16HIPCUB_304000_NS6detail27convert_result_type_wrapperIS8_S9_N2at6native12_GLOBAL__N_19CustomMinEEEEE10hipError_tPvRmT0_T1_jT2_SQ_T4_T3_P12ihipStream_tbEUlT_E_NS1_11comp_targetILNS1_3genE10ELNS1_11target_archE1201ELNS1_3gpuE5ELNS1_3repE0EEENS1_30default_config_static_selectorELNS0_4arch9wavefront6targetE0EEEvSP_, .Lfunc_end198-_ZN7rocprim17ROCPRIM_400000_NS6detail17trampoline_kernelINS0_14default_configENS1_32segmented_reduce_config_selectorIfEEZNS1_21segmented_reduce_implIS3_PKfPfPKlfN6hipcub16HIPCUB_304000_NS6detail27convert_result_type_wrapperIS8_S9_N2at6native12_GLOBAL__N_19CustomMinEEEEE10hipError_tPvRmT0_T1_jT2_SQ_T4_T3_P12ihipStream_tbEUlT_E_NS1_11comp_targetILNS1_3genE10ELNS1_11target_archE1201ELNS1_3gpuE5ELNS1_3repE0EEENS1_30default_config_static_selectorELNS0_4arch9wavefront6targetE0EEEvSP_
                                        ; -- End function
	.set _ZN7rocprim17ROCPRIM_400000_NS6detail17trampoline_kernelINS0_14default_configENS1_32segmented_reduce_config_selectorIfEEZNS1_21segmented_reduce_implIS3_PKfPfPKlfN6hipcub16HIPCUB_304000_NS6detail27convert_result_type_wrapperIS8_S9_N2at6native12_GLOBAL__N_19CustomMinEEEEE10hipError_tPvRmT0_T1_jT2_SQ_T4_T3_P12ihipStream_tbEUlT_E_NS1_11comp_targetILNS1_3genE10ELNS1_11target_archE1201ELNS1_3gpuE5ELNS1_3repE0EEENS1_30default_config_static_selectorELNS0_4arch9wavefront6targetE0EEEvSP_.num_vgpr, 0
	.set _ZN7rocprim17ROCPRIM_400000_NS6detail17trampoline_kernelINS0_14default_configENS1_32segmented_reduce_config_selectorIfEEZNS1_21segmented_reduce_implIS3_PKfPfPKlfN6hipcub16HIPCUB_304000_NS6detail27convert_result_type_wrapperIS8_S9_N2at6native12_GLOBAL__N_19CustomMinEEEEE10hipError_tPvRmT0_T1_jT2_SQ_T4_T3_P12ihipStream_tbEUlT_E_NS1_11comp_targetILNS1_3genE10ELNS1_11target_archE1201ELNS1_3gpuE5ELNS1_3repE0EEENS1_30default_config_static_selectorELNS0_4arch9wavefront6targetE0EEEvSP_.num_agpr, 0
	.set _ZN7rocprim17ROCPRIM_400000_NS6detail17trampoline_kernelINS0_14default_configENS1_32segmented_reduce_config_selectorIfEEZNS1_21segmented_reduce_implIS3_PKfPfPKlfN6hipcub16HIPCUB_304000_NS6detail27convert_result_type_wrapperIS8_S9_N2at6native12_GLOBAL__N_19CustomMinEEEEE10hipError_tPvRmT0_T1_jT2_SQ_T4_T3_P12ihipStream_tbEUlT_E_NS1_11comp_targetILNS1_3genE10ELNS1_11target_archE1201ELNS1_3gpuE5ELNS1_3repE0EEENS1_30default_config_static_selectorELNS0_4arch9wavefront6targetE0EEEvSP_.numbered_sgpr, 0
	.set _ZN7rocprim17ROCPRIM_400000_NS6detail17trampoline_kernelINS0_14default_configENS1_32segmented_reduce_config_selectorIfEEZNS1_21segmented_reduce_implIS3_PKfPfPKlfN6hipcub16HIPCUB_304000_NS6detail27convert_result_type_wrapperIS8_S9_N2at6native12_GLOBAL__N_19CustomMinEEEEE10hipError_tPvRmT0_T1_jT2_SQ_T4_T3_P12ihipStream_tbEUlT_E_NS1_11comp_targetILNS1_3genE10ELNS1_11target_archE1201ELNS1_3gpuE5ELNS1_3repE0EEENS1_30default_config_static_selectorELNS0_4arch9wavefront6targetE0EEEvSP_.num_named_barrier, 0
	.set _ZN7rocprim17ROCPRIM_400000_NS6detail17trampoline_kernelINS0_14default_configENS1_32segmented_reduce_config_selectorIfEEZNS1_21segmented_reduce_implIS3_PKfPfPKlfN6hipcub16HIPCUB_304000_NS6detail27convert_result_type_wrapperIS8_S9_N2at6native12_GLOBAL__N_19CustomMinEEEEE10hipError_tPvRmT0_T1_jT2_SQ_T4_T3_P12ihipStream_tbEUlT_E_NS1_11comp_targetILNS1_3genE10ELNS1_11target_archE1201ELNS1_3gpuE5ELNS1_3repE0EEENS1_30default_config_static_selectorELNS0_4arch9wavefront6targetE0EEEvSP_.private_seg_size, 0
	.set _ZN7rocprim17ROCPRIM_400000_NS6detail17trampoline_kernelINS0_14default_configENS1_32segmented_reduce_config_selectorIfEEZNS1_21segmented_reduce_implIS3_PKfPfPKlfN6hipcub16HIPCUB_304000_NS6detail27convert_result_type_wrapperIS8_S9_N2at6native12_GLOBAL__N_19CustomMinEEEEE10hipError_tPvRmT0_T1_jT2_SQ_T4_T3_P12ihipStream_tbEUlT_E_NS1_11comp_targetILNS1_3genE10ELNS1_11target_archE1201ELNS1_3gpuE5ELNS1_3repE0EEENS1_30default_config_static_selectorELNS0_4arch9wavefront6targetE0EEEvSP_.uses_vcc, 0
	.set _ZN7rocprim17ROCPRIM_400000_NS6detail17trampoline_kernelINS0_14default_configENS1_32segmented_reduce_config_selectorIfEEZNS1_21segmented_reduce_implIS3_PKfPfPKlfN6hipcub16HIPCUB_304000_NS6detail27convert_result_type_wrapperIS8_S9_N2at6native12_GLOBAL__N_19CustomMinEEEEE10hipError_tPvRmT0_T1_jT2_SQ_T4_T3_P12ihipStream_tbEUlT_E_NS1_11comp_targetILNS1_3genE10ELNS1_11target_archE1201ELNS1_3gpuE5ELNS1_3repE0EEENS1_30default_config_static_selectorELNS0_4arch9wavefront6targetE0EEEvSP_.uses_flat_scratch, 0
	.set _ZN7rocprim17ROCPRIM_400000_NS6detail17trampoline_kernelINS0_14default_configENS1_32segmented_reduce_config_selectorIfEEZNS1_21segmented_reduce_implIS3_PKfPfPKlfN6hipcub16HIPCUB_304000_NS6detail27convert_result_type_wrapperIS8_S9_N2at6native12_GLOBAL__N_19CustomMinEEEEE10hipError_tPvRmT0_T1_jT2_SQ_T4_T3_P12ihipStream_tbEUlT_E_NS1_11comp_targetILNS1_3genE10ELNS1_11target_archE1201ELNS1_3gpuE5ELNS1_3repE0EEENS1_30default_config_static_selectorELNS0_4arch9wavefront6targetE0EEEvSP_.has_dyn_sized_stack, 0
	.set _ZN7rocprim17ROCPRIM_400000_NS6detail17trampoline_kernelINS0_14default_configENS1_32segmented_reduce_config_selectorIfEEZNS1_21segmented_reduce_implIS3_PKfPfPKlfN6hipcub16HIPCUB_304000_NS6detail27convert_result_type_wrapperIS8_S9_N2at6native12_GLOBAL__N_19CustomMinEEEEE10hipError_tPvRmT0_T1_jT2_SQ_T4_T3_P12ihipStream_tbEUlT_E_NS1_11comp_targetILNS1_3genE10ELNS1_11target_archE1201ELNS1_3gpuE5ELNS1_3repE0EEENS1_30default_config_static_selectorELNS0_4arch9wavefront6targetE0EEEvSP_.has_recursion, 0
	.set _ZN7rocprim17ROCPRIM_400000_NS6detail17trampoline_kernelINS0_14default_configENS1_32segmented_reduce_config_selectorIfEEZNS1_21segmented_reduce_implIS3_PKfPfPKlfN6hipcub16HIPCUB_304000_NS6detail27convert_result_type_wrapperIS8_S9_N2at6native12_GLOBAL__N_19CustomMinEEEEE10hipError_tPvRmT0_T1_jT2_SQ_T4_T3_P12ihipStream_tbEUlT_E_NS1_11comp_targetILNS1_3genE10ELNS1_11target_archE1201ELNS1_3gpuE5ELNS1_3repE0EEENS1_30default_config_static_selectorELNS0_4arch9wavefront6targetE0EEEvSP_.has_indirect_call, 0
	.section	.AMDGPU.csdata,"",@progbits
; Kernel info:
; codeLenInByte = 0
; TotalNumSgprs: 0
; NumVgprs: 0
; ScratchSize: 0
; MemoryBound: 0
; FloatMode: 240
; IeeeMode: 1
; LDSByteSize: 0 bytes/workgroup (compile time only)
; SGPRBlocks: 0
; VGPRBlocks: 0
; NumSGPRsForWavesPerEU: 1
; NumVGPRsForWavesPerEU: 1
; Occupancy: 16
; WaveLimiterHint : 0
; COMPUTE_PGM_RSRC2:SCRATCH_EN: 0
; COMPUTE_PGM_RSRC2:USER_SGPR: 6
; COMPUTE_PGM_RSRC2:TRAP_HANDLER: 0
; COMPUTE_PGM_RSRC2:TGID_X_EN: 1
; COMPUTE_PGM_RSRC2:TGID_Y_EN: 0
; COMPUTE_PGM_RSRC2:TGID_Z_EN: 0
; COMPUTE_PGM_RSRC2:TIDIG_COMP_CNT: 0
	.section	.text._ZN7rocprim17ROCPRIM_400000_NS6detail17trampoline_kernelINS0_14default_configENS1_32segmented_reduce_config_selectorIfEEZNS1_21segmented_reduce_implIS3_PKfPfPKlfN6hipcub16HIPCUB_304000_NS6detail27convert_result_type_wrapperIS8_S9_N2at6native12_GLOBAL__N_19CustomMinEEEEE10hipError_tPvRmT0_T1_jT2_SQ_T4_T3_P12ihipStream_tbEUlT_E_NS1_11comp_targetILNS1_3genE4ELNS1_11target_archE910ELNS1_3gpuE8ELNS1_3repE0EEENS1_30default_config_static_selectorELNS0_4arch9wavefront6targetE0EEEvSP_,"axG",@progbits,_ZN7rocprim17ROCPRIM_400000_NS6detail17trampoline_kernelINS0_14default_configENS1_32segmented_reduce_config_selectorIfEEZNS1_21segmented_reduce_implIS3_PKfPfPKlfN6hipcub16HIPCUB_304000_NS6detail27convert_result_type_wrapperIS8_S9_N2at6native12_GLOBAL__N_19CustomMinEEEEE10hipError_tPvRmT0_T1_jT2_SQ_T4_T3_P12ihipStream_tbEUlT_E_NS1_11comp_targetILNS1_3genE4ELNS1_11target_archE910ELNS1_3gpuE8ELNS1_3repE0EEENS1_30default_config_static_selectorELNS0_4arch9wavefront6targetE0EEEvSP_,comdat
	.globl	_ZN7rocprim17ROCPRIM_400000_NS6detail17trampoline_kernelINS0_14default_configENS1_32segmented_reduce_config_selectorIfEEZNS1_21segmented_reduce_implIS3_PKfPfPKlfN6hipcub16HIPCUB_304000_NS6detail27convert_result_type_wrapperIS8_S9_N2at6native12_GLOBAL__N_19CustomMinEEEEE10hipError_tPvRmT0_T1_jT2_SQ_T4_T3_P12ihipStream_tbEUlT_E_NS1_11comp_targetILNS1_3genE4ELNS1_11target_archE910ELNS1_3gpuE8ELNS1_3repE0EEENS1_30default_config_static_selectorELNS0_4arch9wavefront6targetE0EEEvSP_ ; -- Begin function _ZN7rocprim17ROCPRIM_400000_NS6detail17trampoline_kernelINS0_14default_configENS1_32segmented_reduce_config_selectorIfEEZNS1_21segmented_reduce_implIS3_PKfPfPKlfN6hipcub16HIPCUB_304000_NS6detail27convert_result_type_wrapperIS8_S9_N2at6native12_GLOBAL__N_19CustomMinEEEEE10hipError_tPvRmT0_T1_jT2_SQ_T4_T3_P12ihipStream_tbEUlT_E_NS1_11comp_targetILNS1_3genE4ELNS1_11target_archE910ELNS1_3gpuE8ELNS1_3repE0EEENS1_30default_config_static_selectorELNS0_4arch9wavefront6targetE0EEEvSP_
	.p2align	8
	.type	_ZN7rocprim17ROCPRIM_400000_NS6detail17trampoline_kernelINS0_14default_configENS1_32segmented_reduce_config_selectorIfEEZNS1_21segmented_reduce_implIS3_PKfPfPKlfN6hipcub16HIPCUB_304000_NS6detail27convert_result_type_wrapperIS8_S9_N2at6native12_GLOBAL__N_19CustomMinEEEEE10hipError_tPvRmT0_T1_jT2_SQ_T4_T3_P12ihipStream_tbEUlT_E_NS1_11comp_targetILNS1_3genE4ELNS1_11target_archE910ELNS1_3gpuE8ELNS1_3repE0EEENS1_30default_config_static_selectorELNS0_4arch9wavefront6targetE0EEEvSP_,@function
_ZN7rocprim17ROCPRIM_400000_NS6detail17trampoline_kernelINS0_14default_configENS1_32segmented_reduce_config_selectorIfEEZNS1_21segmented_reduce_implIS3_PKfPfPKlfN6hipcub16HIPCUB_304000_NS6detail27convert_result_type_wrapperIS8_S9_N2at6native12_GLOBAL__N_19CustomMinEEEEE10hipError_tPvRmT0_T1_jT2_SQ_T4_T3_P12ihipStream_tbEUlT_E_NS1_11comp_targetILNS1_3genE4ELNS1_11target_archE910ELNS1_3gpuE8ELNS1_3repE0EEENS1_30default_config_static_selectorELNS0_4arch9wavefront6targetE0EEEvSP_: ; @_ZN7rocprim17ROCPRIM_400000_NS6detail17trampoline_kernelINS0_14default_configENS1_32segmented_reduce_config_selectorIfEEZNS1_21segmented_reduce_implIS3_PKfPfPKlfN6hipcub16HIPCUB_304000_NS6detail27convert_result_type_wrapperIS8_S9_N2at6native12_GLOBAL__N_19CustomMinEEEEE10hipError_tPvRmT0_T1_jT2_SQ_T4_T3_P12ihipStream_tbEUlT_E_NS1_11comp_targetILNS1_3genE4ELNS1_11target_archE910ELNS1_3gpuE8ELNS1_3repE0EEENS1_30default_config_static_selectorELNS0_4arch9wavefront6targetE0EEEvSP_
; %bb.0:
	.section	.rodata,"a",@progbits
	.p2align	6, 0x0
	.amdhsa_kernel _ZN7rocprim17ROCPRIM_400000_NS6detail17trampoline_kernelINS0_14default_configENS1_32segmented_reduce_config_selectorIfEEZNS1_21segmented_reduce_implIS3_PKfPfPKlfN6hipcub16HIPCUB_304000_NS6detail27convert_result_type_wrapperIS8_S9_N2at6native12_GLOBAL__N_19CustomMinEEEEE10hipError_tPvRmT0_T1_jT2_SQ_T4_T3_P12ihipStream_tbEUlT_E_NS1_11comp_targetILNS1_3genE4ELNS1_11target_archE910ELNS1_3gpuE8ELNS1_3repE0EEENS1_30default_config_static_selectorELNS0_4arch9wavefront6targetE0EEEvSP_
		.amdhsa_group_segment_fixed_size 0
		.amdhsa_private_segment_fixed_size 0
		.amdhsa_kernarg_size 48
		.amdhsa_user_sgpr_count 6
		.amdhsa_user_sgpr_private_segment_buffer 1
		.amdhsa_user_sgpr_dispatch_ptr 0
		.amdhsa_user_sgpr_queue_ptr 0
		.amdhsa_user_sgpr_kernarg_segment_ptr 1
		.amdhsa_user_sgpr_dispatch_id 0
		.amdhsa_user_sgpr_flat_scratch_init 0
		.amdhsa_user_sgpr_private_segment_size 0
		.amdhsa_wavefront_size32 1
		.amdhsa_uses_dynamic_stack 0
		.amdhsa_system_sgpr_private_segment_wavefront_offset 0
		.amdhsa_system_sgpr_workgroup_id_x 1
		.amdhsa_system_sgpr_workgroup_id_y 0
		.amdhsa_system_sgpr_workgroup_id_z 0
		.amdhsa_system_sgpr_workgroup_info 0
		.amdhsa_system_vgpr_workitem_id 0
		.amdhsa_next_free_vgpr 1
		.amdhsa_next_free_sgpr 1
		.amdhsa_reserve_vcc 0
		.amdhsa_reserve_flat_scratch 0
		.amdhsa_float_round_mode_32 0
		.amdhsa_float_round_mode_16_64 0
		.amdhsa_float_denorm_mode_32 3
		.amdhsa_float_denorm_mode_16_64 3
		.amdhsa_dx10_clamp 1
		.amdhsa_ieee_mode 1
		.amdhsa_fp16_overflow 0
		.amdhsa_workgroup_processor_mode 1
		.amdhsa_memory_ordered 1
		.amdhsa_forward_progress 1
		.amdhsa_shared_vgpr_count 0
		.amdhsa_exception_fp_ieee_invalid_op 0
		.amdhsa_exception_fp_denorm_src 0
		.amdhsa_exception_fp_ieee_div_zero 0
		.amdhsa_exception_fp_ieee_overflow 0
		.amdhsa_exception_fp_ieee_underflow 0
		.amdhsa_exception_fp_ieee_inexact 0
		.amdhsa_exception_int_div_zero 0
	.end_amdhsa_kernel
	.section	.text._ZN7rocprim17ROCPRIM_400000_NS6detail17trampoline_kernelINS0_14default_configENS1_32segmented_reduce_config_selectorIfEEZNS1_21segmented_reduce_implIS3_PKfPfPKlfN6hipcub16HIPCUB_304000_NS6detail27convert_result_type_wrapperIS8_S9_N2at6native12_GLOBAL__N_19CustomMinEEEEE10hipError_tPvRmT0_T1_jT2_SQ_T4_T3_P12ihipStream_tbEUlT_E_NS1_11comp_targetILNS1_3genE4ELNS1_11target_archE910ELNS1_3gpuE8ELNS1_3repE0EEENS1_30default_config_static_selectorELNS0_4arch9wavefront6targetE0EEEvSP_,"axG",@progbits,_ZN7rocprim17ROCPRIM_400000_NS6detail17trampoline_kernelINS0_14default_configENS1_32segmented_reduce_config_selectorIfEEZNS1_21segmented_reduce_implIS3_PKfPfPKlfN6hipcub16HIPCUB_304000_NS6detail27convert_result_type_wrapperIS8_S9_N2at6native12_GLOBAL__N_19CustomMinEEEEE10hipError_tPvRmT0_T1_jT2_SQ_T4_T3_P12ihipStream_tbEUlT_E_NS1_11comp_targetILNS1_3genE4ELNS1_11target_archE910ELNS1_3gpuE8ELNS1_3repE0EEENS1_30default_config_static_selectorELNS0_4arch9wavefront6targetE0EEEvSP_,comdat
.Lfunc_end199:
	.size	_ZN7rocprim17ROCPRIM_400000_NS6detail17trampoline_kernelINS0_14default_configENS1_32segmented_reduce_config_selectorIfEEZNS1_21segmented_reduce_implIS3_PKfPfPKlfN6hipcub16HIPCUB_304000_NS6detail27convert_result_type_wrapperIS8_S9_N2at6native12_GLOBAL__N_19CustomMinEEEEE10hipError_tPvRmT0_T1_jT2_SQ_T4_T3_P12ihipStream_tbEUlT_E_NS1_11comp_targetILNS1_3genE4ELNS1_11target_archE910ELNS1_3gpuE8ELNS1_3repE0EEENS1_30default_config_static_selectorELNS0_4arch9wavefront6targetE0EEEvSP_, .Lfunc_end199-_ZN7rocprim17ROCPRIM_400000_NS6detail17trampoline_kernelINS0_14default_configENS1_32segmented_reduce_config_selectorIfEEZNS1_21segmented_reduce_implIS3_PKfPfPKlfN6hipcub16HIPCUB_304000_NS6detail27convert_result_type_wrapperIS8_S9_N2at6native12_GLOBAL__N_19CustomMinEEEEE10hipError_tPvRmT0_T1_jT2_SQ_T4_T3_P12ihipStream_tbEUlT_E_NS1_11comp_targetILNS1_3genE4ELNS1_11target_archE910ELNS1_3gpuE8ELNS1_3repE0EEENS1_30default_config_static_selectorELNS0_4arch9wavefront6targetE0EEEvSP_
                                        ; -- End function
	.set _ZN7rocprim17ROCPRIM_400000_NS6detail17trampoline_kernelINS0_14default_configENS1_32segmented_reduce_config_selectorIfEEZNS1_21segmented_reduce_implIS3_PKfPfPKlfN6hipcub16HIPCUB_304000_NS6detail27convert_result_type_wrapperIS8_S9_N2at6native12_GLOBAL__N_19CustomMinEEEEE10hipError_tPvRmT0_T1_jT2_SQ_T4_T3_P12ihipStream_tbEUlT_E_NS1_11comp_targetILNS1_3genE4ELNS1_11target_archE910ELNS1_3gpuE8ELNS1_3repE0EEENS1_30default_config_static_selectorELNS0_4arch9wavefront6targetE0EEEvSP_.num_vgpr, 0
	.set _ZN7rocprim17ROCPRIM_400000_NS6detail17trampoline_kernelINS0_14default_configENS1_32segmented_reduce_config_selectorIfEEZNS1_21segmented_reduce_implIS3_PKfPfPKlfN6hipcub16HIPCUB_304000_NS6detail27convert_result_type_wrapperIS8_S9_N2at6native12_GLOBAL__N_19CustomMinEEEEE10hipError_tPvRmT0_T1_jT2_SQ_T4_T3_P12ihipStream_tbEUlT_E_NS1_11comp_targetILNS1_3genE4ELNS1_11target_archE910ELNS1_3gpuE8ELNS1_3repE0EEENS1_30default_config_static_selectorELNS0_4arch9wavefront6targetE0EEEvSP_.num_agpr, 0
	.set _ZN7rocprim17ROCPRIM_400000_NS6detail17trampoline_kernelINS0_14default_configENS1_32segmented_reduce_config_selectorIfEEZNS1_21segmented_reduce_implIS3_PKfPfPKlfN6hipcub16HIPCUB_304000_NS6detail27convert_result_type_wrapperIS8_S9_N2at6native12_GLOBAL__N_19CustomMinEEEEE10hipError_tPvRmT0_T1_jT2_SQ_T4_T3_P12ihipStream_tbEUlT_E_NS1_11comp_targetILNS1_3genE4ELNS1_11target_archE910ELNS1_3gpuE8ELNS1_3repE0EEENS1_30default_config_static_selectorELNS0_4arch9wavefront6targetE0EEEvSP_.numbered_sgpr, 0
	.set _ZN7rocprim17ROCPRIM_400000_NS6detail17trampoline_kernelINS0_14default_configENS1_32segmented_reduce_config_selectorIfEEZNS1_21segmented_reduce_implIS3_PKfPfPKlfN6hipcub16HIPCUB_304000_NS6detail27convert_result_type_wrapperIS8_S9_N2at6native12_GLOBAL__N_19CustomMinEEEEE10hipError_tPvRmT0_T1_jT2_SQ_T4_T3_P12ihipStream_tbEUlT_E_NS1_11comp_targetILNS1_3genE4ELNS1_11target_archE910ELNS1_3gpuE8ELNS1_3repE0EEENS1_30default_config_static_selectorELNS0_4arch9wavefront6targetE0EEEvSP_.num_named_barrier, 0
	.set _ZN7rocprim17ROCPRIM_400000_NS6detail17trampoline_kernelINS0_14default_configENS1_32segmented_reduce_config_selectorIfEEZNS1_21segmented_reduce_implIS3_PKfPfPKlfN6hipcub16HIPCUB_304000_NS6detail27convert_result_type_wrapperIS8_S9_N2at6native12_GLOBAL__N_19CustomMinEEEEE10hipError_tPvRmT0_T1_jT2_SQ_T4_T3_P12ihipStream_tbEUlT_E_NS1_11comp_targetILNS1_3genE4ELNS1_11target_archE910ELNS1_3gpuE8ELNS1_3repE0EEENS1_30default_config_static_selectorELNS0_4arch9wavefront6targetE0EEEvSP_.private_seg_size, 0
	.set _ZN7rocprim17ROCPRIM_400000_NS6detail17trampoline_kernelINS0_14default_configENS1_32segmented_reduce_config_selectorIfEEZNS1_21segmented_reduce_implIS3_PKfPfPKlfN6hipcub16HIPCUB_304000_NS6detail27convert_result_type_wrapperIS8_S9_N2at6native12_GLOBAL__N_19CustomMinEEEEE10hipError_tPvRmT0_T1_jT2_SQ_T4_T3_P12ihipStream_tbEUlT_E_NS1_11comp_targetILNS1_3genE4ELNS1_11target_archE910ELNS1_3gpuE8ELNS1_3repE0EEENS1_30default_config_static_selectorELNS0_4arch9wavefront6targetE0EEEvSP_.uses_vcc, 0
	.set _ZN7rocprim17ROCPRIM_400000_NS6detail17trampoline_kernelINS0_14default_configENS1_32segmented_reduce_config_selectorIfEEZNS1_21segmented_reduce_implIS3_PKfPfPKlfN6hipcub16HIPCUB_304000_NS6detail27convert_result_type_wrapperIS8_S9_N2at6native12_GLOBAL__N_19CustomMinEEEEE10hipError_tPvRmT0_T1_jT2_SQ_T4_T3_P12ihipStream_tbEUlT_E_NS1_11comp_targetILNS1_3genE4ELNS1_11target_archE910ELNS1_3gpuE8ELNS1_3repE0EEENS1_30default_config_static_selectorELNS0_4arch9wavefront6targetE0EEEvSP_.uses_flat_scratch, 0
	.set _ZN7rocprim17ROCPRIM_400000_NS6detail17trampoline_kernelINS0_14default_configENS1_32segmented_reduce_config_selectorIfEEZNS1_21segmented_reduce_implIS3_PKfPfPKlfN6hipcub16HIPCUB_304000_NS6detail27convert_result_type_wrapperIS8_S9_N2at6native12_GLOBAL__N_19CustomMinEEEEE10hipError_tPvRmT0_T1_jT2_SQ_T4_T3_P12ihipStream_tbEUlT_E_NS1_11comp_targetILNS1_3genE4ELNS1_11target_archE910ELNS1_3gpuE8ELNS1_3repE0EEENS1_30default_config_static_selectorELNS0_4arch9wavefront6targetE0EEEvSP_.has_dyn_sized_stack, 0
	.set _ZN7rocprim17ROCPRIM_400000_NS6detail17trampoline_kernelINS0_14default_configENS1_32segmented_reduce_config_selectorIfEEZNS1_21segmented_reduce_implIS3_PKfPfPKlfN6hipcub16HIPCUB_304000_NS6detail27convert_result_type_wrapperIS8_S9_N2at6native12_GLOBAL__N_19CustomMinEEEEE10hipError_tPvRmT0_T1_jT2_SQ_T4_T3_P12ihipStream_tbEUlT_E_NS1_11comp_targetILNS1_3genE4ELNS1_11target_archE910ELNS1_3gpuE8ELNS1_3repE0EEENS1_30default_config_static_selectorELNS0_4arch9wavefront6targetE0EEEvSP_.has_recursion, 0
	.set _ZN7rocprim17ROCPRIM_400000_NS6detail17trampoline_kernelINS0_14default_configENS1_32segmented_reduce_config_selectorIfEEZNS1_21segmented_reduce_implIS3_PKfPfPKlfN6hipcub16HIPCUB_304000_NS6detail27convert_result_type_wrapperIS8_S9_N2at6native12_GLOBAL__N_19CustomMinEEEEE10hipError_tPvRmT0_T1_jT2_SQ_T4_T3_P12ihipStream_tbEUlT_E_NS1_11comp_targetILNS1_3genE4ELNS1_11target_archE910ELNS1_3gpuE8ELNS1_3repE0EEENS1_30default_config_static_selectorELNS0_4arch9wavefront6targetE0EEEvSP_.has_indirect_call, 0
	.section	.AMDGPU.csdata,"",@progbits
; Kernel info:
; codeLenInByte = 0
; TotalNumSgprs: 0
; NumVgprs: 0
; ScratchSize: 0
; MemoryBound: 0
; FloatMode: 240
; IeeeMode: 1
; LDSByteSize: 0 bytes/workgroup (compile time only)
; SGPRBlocks: 0
; VGPRBlocks: 0
; NumSGPRsForWavesPerEU: 1
; NumVGPRsForWavesPerEU: 1
; Occupancy: 16
; WaveLimiterHint : 0
; COMPUTE_PGM_RSRC2:SCRATCH_EN: 0
; COMPUTE_PGM_RSRC2:USER_SGPR: 6
; COMPUTE_PGM_RSRC2:TRAP_HANDLER: 0
; COMPUTE_PGM_RSRC2:TGID_X_EN: 1
; COMPUTE_PGM_RSRC2:TGID_Y_EN: 0
; COMPUTE_PGM_RSRC2:TGID_Z_EN: 0
; COMPUTE_PGM_RSRC2:TIDIG_COMP_CNT: 0
	.section	.text._ZN7rocprim17ROCPRIM_400000_NS6detail17trampoline_kernelINS0_14default_configENS1_32segmented_reduce_config_selectorIfEEZNS1_21segmented_reduce_implIS3_PKfPfPKlfN6hipcub16HIPCUB_304000_NS6detail27convert_result_type_wrapperIS8_S9_N2at6native12_GLOBAL__N_19CustomMinEEEEE10hipError_tPvRmT0_T1_jT2_SQ_T4_T3_P12ihipStream_tbEUlT_E_NS1_11comp_targetILNS1_3genE3ELNS1_11target_archE908ELNS1_3gpuE7ELNS1_3repE0EEENS1_30default_config_static_selectorELNS0_4arch9wavefront6targetE0EEEvSP_,"axG",@progbits,_ZN7rocprim17ROCPRIM_400000_NS6detail17trampoline_kernelINS0_14default_configENS1_32segmented_reduce_config_selectorIfEEZNS1_21segmented_reduce_implIS3_PKfPfPKlfN6hipcub16HIPCUB_304000_NS6detail27convert_result_type_wrapperIS8_S9_N2at6native12_GLOBAL__N_19CustomMinEEEEE10hipError_tPvRmT0_T1_jT2_SQ_T4_T3_P12ihipStream_tbEUlT_E_NS1_11comp_targetILNS1_3genE3ELNS1_11target_archE908ELNS1_3gpuE7ELNS1_3repE0EEENS1_30default_config_static_selectorELNS0_4arch9wavefront6targetE0EEEvSP_,comdat
	.globl	_ZN7rocprim17ROCPRIM_400000_NS6detail17trampoline_kernelINS0_14default_configENS1_32segmented_reduce_config_selectorIfEEZNS1_21segmented_reduce_implIS3_PKfPfPKlfN6hipcub16HIPCUB_304000_NS6detail27convert_result_type_wrapperIS8_S9_N2at6native12_GLOBAL__N_19CustomMinEEEEE10hipError_tPvRmT0_T1_jT2_SQ_T4_T3_P12ihipStream_tbEUlT_E_NS1_11comp_targetILNS1_3genE3ELNS1_11target_archE908ELNS1_3gpuE7ELNS1_3repE0EEENS1_30default_config_static_selectorELNS0_4arch9wavefront6targetE0EEEvSP_ ; -- Begin function _ZN7rocprim17ROCPRIM_400000_NS6detail17trampoline_kernelINS0_14default_configENS1_32segmented_reduce_config_selectorIfEEZNS1_21segmented_reduce_implIS3_PKfPfPKlfN6hipcub16HIPCUB_304000_NS6detail27convert_result_type_wrapperIS8_S9_N2at6native12_GLOBAL__N_19CustomMinEEEEE10hipError_tPvRmT0_T1_jT2_SQ_T4_T3_P12ihipStream_tbEUlT_E_NS1_11comp_targetILNS1_3genE3ELNS1_11target_archE908ELNS1_3gpuE7ELNS1_3repE0EEENS1_30default_config_static_selectorELNS0_4arch9wavefront6targetE0EEEvSP_
	.p2align	8
	.type	_ZN7rocprim17ROCPRIM_400000_NS6detail17trampoline_kernelINS0_14default_configENS1_32segmented_reduce_config_selectorIfEEZNS1_21segmented_reduce_implIS3_PKfPfPKlfN6hipcub16HIPCUB_304000_NS6detail27convert_result_type_wrapperIS8_S9_N2at6native12_GLOBAL__N_19CustomMinEEEEE10hipError_tPvRmT0_T1_jT2_SQ_T4_T3_P12ihipStream_tbEUlT_E_NS1_11comp_targetILNS1_3genE3ELNS1_11target_archE908ELNS1_3gpuE7ELNS1_3repE0EEENS1_30default_config_static_selectorELNS0_4arch9wavefront6targetE0EEEvSP_,@function
_ZN7rocprim17ROCPRIM_400000_NS6detail17trampoline_kernelINS0_14default_configENS1_32segmented_reduce_config_selectorIfEEZNS1_21segmented_reduce_implIS3_PKfPfPKlfN6hipcub16HIPCUB_304000_NS6detail27convert_result_type_wrapperIS8_S9_N2at6native12_GLOBAL__N_19CustomMinEEEEE10hipError_tPvRmT0_T1_jT2_SQ_T4_T3_P12ihipStream_tbEUlT_E_NS1_11comp_targetILNS1_3genE3ELNS1_11target_archE908ELNS1_3gpuE7ELNS1_3repE0EEENS1_30default_config_static_selectorELNS0_4arch9wavefront6targetE0EEEvSP_: ; @_ZN7rocprim17ROCPRIM_400000_NS6detail17trampoline_kernelINS0_14default_configENS1_32segmented_reduce_config_selectorIfEEZNS1_21segmented_reduce_implIS3_PKfPfPKlfN6hipcub16HIPCUB_304000_NS6detail27convert_result_type_wrapperIS8_S9_N2at6native12_GLOBAL__N_19CustomMinEEEEE10hipError_tPvRmT0_T1_jT2_SQ_T4_T3_P12ihipStream_tbEUlT_E_NS1_11comp_targetILNS1_3genE3ELNS1_11target_archE908ELNS1_3gpuE7ELNS1_3repE0EEENS1_30default_config_static_selectorELNS0_4arch9wavefront6targetE0EEEvSP_
; %bb.0:
	.section	.rodata,"a",@progbits
	.p2align	6, 0x0
	.amdhsa_kernel _ZN7rocprim17ROCPRIM_400000_NS6detail17trampoline_kernelINS0_14default_configENS1_32segmented_reduce_config_selectorIfEEZNS1_21segmented_reduce_implIS3_PKfPfPKlfN6hipcub16HIPCUB_304000_NS6detail27convert_result_type_wrapperIS8_S9_N2at6native12_GLOBAL__N_19CustomMinEEEEE10hipError_tPvRmT0_T1_jT2_SQ_T4_T3_P12ihipStream_tbEUlT_E_NS1_11comp_targetILNS1_3genE3ELNS1_11target_archE908ELNS1_3gpuE7ELNS1_3repE0EEENS1_30default_config_static_selectorELNS0_4arch9wavefront6targetE0EEEvSP_
		.amdhsa_group_segment_fixed_size 0
		.amdhsa_private_segment_fixed_size 0
		.amdhsa_kernarg_size 48
		.amdhsa_user_sgpr_count 6
		.amdhsa_user_sgpr_private_segment_buffer 1
		.amdhsa_user_sgpr_dispatch_ptr 0
		.amdhsa_user_sgpr_queue_ptr 0
		.amdhsa_user_sgpr_kernarg_segment_ptr 1
		.amdhsa_user_sgpr_dispatch_id 0
		.amdhsa_user_sgpr_flat_scratch_init 0
		.amdhsa_user_sgpr_private_segment_size 0
		.amdhsa_wavefront_size32 1
		.amdhsa_uses_dynamic_stack 0
		.amdhsa_system_sgpr_private_segment_wavefront_offset 0
		.amdhsa_system_sgpr_workgroup_id_x 1
		.amdhsa_system_sgpr_workgroup_id_y 0
		.amdhsa_system_sgpr_workgroup_id_z 0
		.amdhsa_system_sgpr_workgroup_info 0
		.amdhsa_system_vgpr_workitem_id 0
		.amdhsa_next_free_vgpr 1
		.amdhsa_next_free_sgpr 1
		.amdhsa_reserve_vcc 0
		.amdhsa_reserve_flat_scratch 0
		.amdhsa_float_round_mode_32 0
		.amdhsa_float_round_mode_16_64 0
		.amdhsa_float_denorm_mode_32 3
		.amdhsa_float_denorm_mode_16_64 3
		.amdhsa_dx10_clamp 1
		.amdhsa_ieee_mode 1
		.amdhsa_fp16_overflow 0
		.amdhsa_workgroup_processor_mode 1
		.amdhsa_memory_ordered 1
		.amdhsa_forward_progress 1
		.amdhsa_shared_vgpr_count 0
		.amdhsa_exception_fp_ieee_invalid_op 0
		.amdhsa_exception_fp_denorm_src 0
		.amdhsa_exception_fp_ieee_div_zero 0
		.amdhsa_exception_fp_ieee_overflow 0
		.amdhsa_exception_fp_ieee_underflow 0
		.amdhsa_exception_fp_ieee_inexact 0
		.amdhsa_exception_int_div_zero 0
	.end_amdhsa_kernel
	.section	.text._ZN7rocprim17ROCPRIM_400000_NS6detail17trampoline_kernelINS0_14default_configENS1_32segmented_reduce_config_selectorIfEEZNS1_21segmented_reduce_implIS3_PKfPfPKlfN6hipcub16HIPCUB_304000_NS6detail27convert_result_type_wrapperIS8_S9_N2at6native12_GLOBAL__N_19CustomMinEEEEE10hipError_tPvRmT0_T1_jT2_SQ_T4_T3_P12ihipStream_tbEUlT_E_NS1_11comp_targetILNS1_3genE3ELNS1_11target_archE908ELNS1_3gpuE7ELNS1_3repE0EEENS1_30default_config_static_selectorELNS0_4arch9wavefront6targetE0EEEvSP_,"axG",@progbits,_ZN7rocprim17ROCPRIM_400000_NS6detail17trampoline_kernelINS0_14default_configENS1_32segmented_reduce_config_selectorIfEEZNS1_21segmented_reduce_implIS3_PKfPfPKlfN6hipcub16HIPCUB_304000_NS6detail27convert_result_type_wrapperIS8_S9_N2at6native12_GLOBAL__N_19CustomMinEEEEE10hipError_tPvRmT0_T1_jT2_SQ_T4_T3_P12ihipStream_tbEUlT_E_NS1_11comp_targetILNS1_3genE3ELNS1_11target_archE908ELNS1_3gpuE7ELNS1_3repE0EEENS1_30default_config_static_selectorELNS0_4arch9wavefront6targetE0EEEvSP_,comdat
.Lfunc_end200:
	.size	_ZN7rocprim17ROCPRIM_400000_NS6detail17trampoline_kernelINS0_14default_configENS1_32segmented_reduce_config_selectorIfEEZNS1_21segmented_reduce_implIS3_PKfPfPKlfN6hipcub16HIPCUB_304000_NS6detail27convert_result_type_wrapperIS8_S9_N2at6native12_GLOBAL__N_19CustomMinEEEEE10hipError_tPvRmT0_T1_jT2_SQ_T4_T3_P12ihipStream_tbEUlT_E_NS1_11comp_targetILNS1_3genE3ELNS1_11target_archE908ELNS1_3gpuE7ELNS1_3repE0EEENS1_30default_config_static_selectorELNS0_4arch9wavefront6targetE0EEEvSP_, .Lfunc_end200-_ZN7rocprim17ROCPRIM_400000_NS6detail17trampoline_kernelINS0_14default_configENS1_32segmented_reduce_config_selectorIfEEZNS1_21segmented_reduce_implIS3_PKfPfPKlfN6hipcub16HIPCUB_304000_NS6detail27convert_result_type_wrapperIS8_S9_N2at6native12_GLOBAL__N_19CustomMinEEEEE10hipError_tPvRmT0_T1_jT2_SQ_T4_T3_P12ihipStream_tbEUlT_E_NS1_11comp_targetILNS1_3genE3ELNS1_11target_archE908ELNS1_3gpuE7ELNS1_3repE0EEENS1_30default_config_static_selectorELNS0_4arch9wavefront6targetE0EEEvSP_
                                        ; -- End function
	.set _ZN7rocprim17ROCPRIM_400000_NS6detail17trampoline_kernelINS0_14default_configENS1_32segmented_reduce_config_selectorIfEEZNS1_21segmented_reduce_implIS3_PKfPfPKlfN6hipcub16HIPCUB_304000_NS6detail27convert_result_type_wrapperIS8_S9_N2at6native12_GLOBAL__N_19CustomMinEEEEE10hipError_tPvRmT0_T1_jT2_SQ_T4_T3_P12ihipStream_tbEUlT_E_NS1_11comp_targetILNS1_3genE3ELNS1_11target_archE908ELNS1_3gpuE7ELNS1_3repE0EEENS1_30default_config_static_selectorELNS0_4arch9wavefront6targetE0EEEvSP_.num_vgpr, 0
	.set _ZN7rocprim17ROCPRIM_400000_NS6detail17trampoline_kernelINS0_14default_configENS1_32segmented_reduce_config_selectorIfEEZNS1_21segmented_reduce_implIS3_PKfPfPKlfN6hipcub16HIPCUB_304000_NS6detail27convert_result_type_wrapperIS8_S9_N2at6native12_GLOBAL__N_19CustomMinEEEEE10hipError_tPvRmT0_T1_jT2_SQ_T4_T3_P12ihipStream_tbEUlT_E_NS1_11comp_targetILNS1_3genE3ELNS1_11target_archE908ELNS1_3gpuE7ELNS1_3repE0EEENS1_30default_config_static_selectorELNS0_4arch9wavefront6targetE0EEEvSP_.num_agpr, 0
	.set _ZN7rocprim17ROCPRIM_400000_NS6detail17trampoline_kernelINS0_14default_configENS1_32segmented_reduce_config_selectorIfEEZNS1_21segmented_reduce_implIS3_PKfPfPKlfN6hipcub16HIPCUB_304000_NS6detail27convert_result_type_wrapperIS8_S9_N2at6native12_GLOBAL__N_19CustomMinEEEEE10hipError_tPvRmT0_T1_jT2_SQ_T4_T3_P12ihipStream_tbEUlT_E_NS1_11comp_targetILNS1_3genE3ELNS1_11target_archE908ELNS1_3gpuE7ELNS1_3repE0EEENS1_30default_config_static_selectorELNS0_4arch9wavefront6targetE0EEEvSP_.numbered_sgpr, 0
	.set _ZN7rocprim17ROCPRIM_400000_NS6detail17trampoline_kernelINS0_14default_configENS1_32segmented_reduce_config_selectorIfEEZNS1_21segmented_reduce_implIS3_PKfPfPKlfN6hipcub16HIPCUB_304000_NS6detail27convert_result_type_wrapperIS8_S9_N2at6native12_GLOBAL__N_19CustomMinEEEEE10hipError_tPvRmT0_T1_jT2_SQ_T4_T3_P12ihipStream_tbEUlT_E_NS1_11comp_targetILNS1_3genE3ELNS1_11target_archE908ELNS1_3gpuE7ELNS1_3repE0EEENS1_30default_config_static_selectorELNS0_4arch9wavefront6targetE0EEEvSP_.num_named_barrier, 0
	.set _ZN7rocprim17ROCPRIM_400000_NS6detail17trampoline_kernelINS0_14default_configENS1_32segmented_reduce_config_selectorIfEEZNS1_21segmented_reduce_implIS3_PKfPfPKlfN6hipcub16HIPCUB_304000_NS6detail27convert_result_type_wrapperIS8_S9_N2at6native12_GLOBAL__N_19CustomMinEEEEE10hipError_tPvRmT0_T1_jT2_SQ_T4_T3_P12ihipStream_tbEUlT_E_NS1_11comp_targetILNS1_3genE3ELNS1_11target_archE908ELNS1_3gpuE7ELNS1_3repE0EEENS1_30default_config_static_selectorELNS0_4arch9wavefront6targetE0EEEvSP_.private_seg_size, 0
	.set _ZN7rocprim17ROCPRIM_400000_NS6detail17trampoline_kernelINS0_14default_configENS1_32segmented_reduce_config_selectorIfEEZNS1_21segmented_reduce_implIS3_PKfPfPKlfN6hipcub16HIPCUB_304000_NS6detail27convert_result_type_wrapperIS8_S9_N2at6native12_GLOBAL__N_19CustomMinEEEEE10hipError_tPvRmT0_T1_jT2_SQ_T4_T3_P12ihipStream_tbEUlT_E_NS1_11comp_targetILNS1_3genE3ELNS1_11target_archE908ELNS1_3gpuE7ELNS1_3repE0EEENS1_30default_config_static_selectorELNS0_4arch9wavefront6targetE0EEEvSP_.uses_vcc, 0
	.set _ZN7rocprim17ROCPRIM_400000_NS6detail17trampoline_kernelINS0_14default_configENS1_32segmented_reduce_config_selectorIfEEZNS1_21segmented_reduce_implIS3_PKfPfPKlfN6hipcub16HIPCUB_304000_NS6detail27convert_result_type_wrapperIS8_S9_N2at6native12_GLOBAL__N_19CustomMinEEEEE10hipError_tPvRmT0_T1_jT2_SQ_T4_T3_P12ihipStream_tbEUlT_E_NS1_11comp_targetILNS1_3genE3ELNS1_11target_archE908ELNS1_3gpuE7ELNS1_3repE0EEENS1_30default_config_static_selectorELNS0_4arch9wavefront6targetE0EEEvSP_.uses_flat_scratch, 0
	.set _ZN7rocprim17ROCPRIM_400000_NS6detail17trampoline_kernelINS0_14default_configENS1_32segmented_reduce_config_selectorIfEEZNS1_21segmented_reduce_implIS3_PKfPfPKlfN6hipcub16HIPCUB_304000_NS6detail27convert_result_type_wrapperIS8_S9_N2at6native12_GLOBAL__N_19CustomMinEEEEE10hipError_tPvRmT0_T1_jT2_SQ_T4_T3_P12ihipStream_tbEUlT_E_NS1_11comp_targetILNS1_3genE3ELNS1_11target_archE908ELNS1_3gpuE7ELNS1_3repE0EEENS1_30default_config_static_selectorELNS0_4arch9wavefront6targetE0EEEvSP_.has_dyn_sized_stack, 0
	.set _ZN7rocprim17ROCPRIM_400000_NS6detail17trampoline_kernelINS0_14default_configENS1_32segmented_reduce_config_selectorIfEEZNS1_21segmented_reduce_implIS3_PKfPfPKlfN6hipcub16HIPCUB_304000_NS6detail27convert_result_type_wrapperIS8_S9_N2at6native12_GLOBAL__N_19CustomMinEEEEE10hipError_tPvRmT0_T1_jT2_SQ_T4_T3_P12ihipStream_tbEUlT_E_NS1_11comp_targetILNS1_3genE3ELNS1_11target_archE908ELNS1_3gpuE7ELNS1_3repE0EEENS1_30default_config_static_selectorELNS0_4arch9wavefront6targetE0EEEvSP_.has_recursion, 0
	.set _ZN7rocprim17ROCPRIM_400000_NS6detail17trampoline_kernelINS0_14default_configENS1_32segmented_reduce_config_selectorIfEEZNS1_21segmented_reduce_implIS3_PKfPfPKlfN6hipcub16HIPCUB_304000_NS6detail27convert_result_type_wrapperIS8_S9_N2at6native12_GLOBAL__N_19CustomMinEEEEE10hipError_tPvRmT0_T1_jT2_SQ_T4_T3_P12ihipStream_tbEUlT_E_NS1_11comp_targetILNS1_3genE3ELNS1_11target_archE908ELNS1_3gpuE7ELNS1_3repE0EEENS1_30default_config_static_selectorELNS0_4arch9wavefront6targetE0EEEvSP_.has_indirect_call, 0
	.section	.AMDGPU.csdata,"",@progbits
; Kernel info:
; codeLenInByte = 0
; TotalNumSgprs: 0
; NumVgprs: 0
; ScratchSize: 0
; MemoryBound: 0
; FloatMode: 240
; IeeeMode: 1
; LDSByteSize: 0 bytes/workgroup (compile time only)
; SGPRBlocks: 0
; VGPRBlocks: 0
; NumSGPRsForWavesPerEU: 1
; NumVGPRsForWavesPerEU: 1
; Occupancy: 16
; WaveLimiterHint : 0
; COMPUTE_PGM_RSRC2:SCRATCH_EN: 0
; COMPUTE_PGM_RSRC2:USER_SGPR: 6
; COMPUTE_PGM_RSRC2:TRAP_HANDLER: 0
; COMPUTE_PGM_RSRC2:TGID_X_EN: 1
; COMPUTE_PGM_RSRC2:TGID_Y_EN: 0
; COMPUTE_PGM_RSRC2:TGID_Z_EN: 0
; COMPUTE_PGM_RSRC2:TIDIG_COMP_CNT: 0
	.section	.text._ZN7rocprim17ROCPRIM_400000_NS6detail17trampoline_kernelINS0_14default_configENS1_32segmented_reduce_config_selectorIfEEZNS1_21segmented_reduce_implIS3_PKfPfPKlfN6hipcub16HIPCUB_304000_NS6detail27convert_result_type_wrapperIS8_S9_N2at6native12_GLOBAL__N_19CustomMinEEEEE10hipError_tPvRmT0_T1_jT2_SQ_T4_T3_P12ihipStream_tbEUlT_E_NS1_11comp_targetILNS1_3genE2ELNS1_11target_archE906ELNS1_3gpuE6ELNS1_3repE0EEENS1_30default_config_static_selectorELNS0_4arch9wavefront6targetE0EEEvSP_,"axG",@progbits,_ZN7rocprim17ROCPRIM_400000_NS6detail17trampoline_kernelINS0_14default_configENS1_32segmented_reduce_config_selectorIfEEZNS1_21segmented_reduce_implIS3_PKfPfPKlfN6hipcub16HIPCUB_304000_NS6detail27convert_result_type_wrapperIS8_S9_N2at6native12_GLOBAL__N_19CustomMinEEEEE10hipError_tPvRmT0_T1_jT2_SQ_T4_T3_P12ihipStream_tbEUlT_E_NS1_11comp_targetILNS1_3genE2ELNS1_11target_archE906ELNS1_3gpuE6ELNS1_3repE0EEENS1_30default_config_static_selectorELNS0_4arch9wavefront6targetE0EEEvSP_,comdat
	.globl	_ZN7rocprim17ROCPRIM_400000_NS6detail17trampoline_kernelINS0_14default_configENS1_32segmented_reduce_config_selectorIfEEZNS1_21segmented_reduce_implIS3_PKfPfPKlfN6hipcub16HIPCUB_304000_NS6detail27convert_result_type_wrapperIS8_S9_N2at6native12_GLOBAL__N_19CustomMinEEEEE10hipError_tPvRmT0_T1_jT2_SQ_T4_T3_P12ihipStream_tbEUlT_E_NS1_11comp_targetILNS1_3genE2ELNS1_11target_archE906ELNS1_3gpuE6ELNS1_3repE0EEENS1_30default_config_static_selectorELNS0_4arch9wavefront6targetE0EEEvSP_ ; -- Begin function _ZN7rocprim17ROCPRIM_400000_NS6detail17trampoline_kernelINS0_14default_configENS1_32segmented_reduce_config_selectorIfEEZNS1_21segmented_reduce_implIS3_PKfPfPKlfN6hipcub16HIPCUB_304000_NS6detail27convert_result_type_wrapperIS8_S9_N2at6native12_GLOBAL__N_19CustomMinEEEEE10hipError_tPvRmT0_T1_jT2_SQ_T4_T3_P12ihipStream_tbEUlT_E_NS1_11comp_targetILNS1_3genE2ELNS1_11target_archE906ELNS1_3gpuE6ELNS1_3repE0EEENS1_30default_config_static_selectorELNS0_4arch9wavefront6targetE0EEEvSP_
	.p2align	8
	.type	_ZN7rocprim17ROCPRIM_400000_NS6detail17trampoline_kernelINS0_14default_configENS1_32segmented_reduce_config_selectorIfEEZNS1_21segmented_reduce_implIS3_PKfPfPKlfN6hipcub16HIPCUB_304000_NS6detail27convert_result_type_wrapperIS8_S9_N2at6native12_GLOBAL__N_19CustomMinEEEEE10hipError_tPvRmT0_T1_jT2_SQ_T4_T3_P12ihipStream_tbEUlT_E_NS1_11comp_targetILNS1_3genE2ELNS1_11target_archE906ELNS1_3gpuE6ELNS1_3repE0EEENS1_30default_config_static_selectorELNS0_4arch9wavefront6targetE0EEEvSP_,@function
_ZN7rocprim17ROCPRIM_400000_NS6detail17trampoline_kernelINS0_14default_configENS1_32segmented_reduce_config_selectorIfEEZNS1_21segmented_reduce_implIS3_PKfPfPKlfN6hipcub16HIPCUB_304000_NS6detail27convert_result_type_wrapperIS8_S9_N2at6native12_GLOBAL__N_19CustomMinEEEEE10hipError_tPvRmT0_T1_jT2_SQ_T4_T3_P12ihipStream_tbEUlT_E_NS1_11comp_targetILNS1_3genE2ELNS1_11target_archE906ELNS1_3gpuE6ELNS1_3repE0EEENS1_30default_config_static_selectorELNS0_4arch9wavefront6targetE0EEEvSP_: ; @_ZN7rocprim17ROCPRIM_400000_NS6detail17trampoline_kernelINS0_14default_configENS1_32segmented_reduce_config_selectorIfEEZNS1_21segmented_reduce_implIS3_PKfPfPKlfN6hipcub16HIPCUB_304000_NS6detail27convert_result_type_wrapperIS8_S9_N2at6native12_GLOBAL__N_19CustomMinEEEEE10hipError_tPvRmT0_T1_jT2_SQ_T4_T3_P12ihipStream_tbEUlT_E_NS1_11comp_targetILNS1_3genE2ELNS1_11target_archE906ELNS1_3gpuE6ELNS1_3repE0EEENS1_30default_config_static_selectorELNS0_4arch9wavefront6targetE0EEEvSP_
; %bb.0:
	.section	.rodata,"a",@progbits
	.p2align	6, 0x0
	.amdhsa_kernel _ZN7rocprim17ROCPRIM_400000_NS6detail17trampoline_kernelINS0_14default_configENS1_32segmented_reduce_config_selectorIfEEZNS1_21segmented_reduce_implIS3_PKfPfPKlfN6hipcub16HIPCUB_304000_NS6detail27convert_result_type_wrapperIS8_S9_N2at6native12_GLOBAL__N_19CustomMinEEEEE10hipError_tPvRmT0_T1_jT2_SQ_T4_T3_P12ihipStream_tbEUlT_E_NS1_11comp_targetILNS1_3genE2ELNS1_11target_archE906ELNS1_3gpuE6ELNS1_3repE0EEENS1_30default_config_static_selectorELNS0_4arch9wavefront6targetE0EEEvSP_
		.amdhsa_group_segment_fixed_size 0
		.amdhsa_private_segment_fixed_size 0
		.amdhsa_kernarg_size 48
		.amdhsa_user_sgpr_count 6
		.amdhsa_user_sgpr_private_segment_buffer 1
		.amdhsa_user_sgpr_dispatch_ptr 0
		.amdhsa_user_sgpr_queue_ptr 0
		.amdhsa_user_sgpr_kernarg_segment_ptr 1
		.amdhsa_user_sgpr_dispatch_id 0
		.amdhsa_user_sgpr_flat_scratch_init 0
		.amdhsa_user_sgpr_private_segment_size 0
		.amdhsa_wavefront_size32 1
		.amdhsa_uses_dynamic_stack 0
		.amdhsa_system_sgpr_private_segment_wavefront_offset 0
		.amdhsa_system_sgpr_workgroup_id_x 1
		.amdhsa_system_sgpr_workgroup_id_y 0
		.amdhsa_system_sgpr_workgroup_id_z 0
		.amdhsa_system_sgpr_workgroup_info 0
		.amdhsa_system_vgpr_workitem_id 0
		.amdhsa_next_free_vgpr 1
		.amdhsa_next_free_sgpr 1
		.amdhsa_reserve_vcc 0
		.amdhsa_reserve_flat_scratch 0
		.amdhsa_float_round_mode_32 0
		.amdhsa_float_round_mode_16_64 0
		.amdhsa_float_denorm_mode_32 3
		.amdhsa_float_denorm_mode_16_64 3
		.amdhsa_dx10_clamp 1
		.amdhsa_ieee_mode 1
		.amdhsa_fp16_overflow 0
		.amdhsa_workgroup_processor_mode 1
		.amdhsa_memory_ordered 1
		.amdhsa_forward_progress 1
		.amdhsa_shared_vgpr_count 0
		.amdhsa_exception_fp_ieee_invalid_op 0
		.amdhsa_exception_fp_denorm_src 0
		.amdhsa_exception_fp_ieee_div_zero 0
		.amdhsa_exception_fp_ieee_overflow 0
		.amdhsa_exception_fp_ieee_underflow 0
		.amdhsa_exception_fp_ieee_inexact 0
		.amdhsa_exception_int_div_zero 0
	.end_amdhsa_kernel
	.section	.text._ZN7rocprim17ROCPRIM_400000_NS6detail17trampoline_kernelINS0_14default_configENS1_32segmented_reduce_config_selectorIfEEZNS1_21segmented_reduce_implIS3_PKfPfPKlfN6hipcub16HIPCUB_304000_NS6detail27convert_result_type_wrapperIS8_S9_N2at6native12_GLOBAL__N_19CustomMinEEEEE10hipError_tPvRmT0_T1_jT2_SQ_T4_T3_P12ihipStream_tbEUlT_E_NS1_11comp_targetILNS1_3genE2ELNS1_11target_archE906ELNS1_3gpuE6ELNS1_3repE0EEENS1_30default_config_static_selectorELNS0_4arch9wavefront6targetE0EEEvSP_,"axG",@progbits,_ZN7rocprim17ROCPRIM_400000_NS6detail17trampoline_kernelINS0_14default_configENS1_32segmented_reduce_config_selectorIfEEZNS1_21segmented_reduce_implIS3_PKfPfPKlfN6hipcub16HIPCUB_304000_NS6detail27convert_result_type_wrapperIS8_S9_N2at6native12_GLOBAL__N_19CustomMinEEEEE10hipError_tPvRmT0_T1_jT2_SQ_T4_T3_P12ihipStream_tbEUlT_E_NS1_11comp_targetILNS1_3genE2ELNS1_11target_archE906ELNS1_3gpuE6ELNS1_3repE0EEENS1_30default_config_static_selectorELNS0_4arch9wavefront6targetE0EEEvSP_,comdat
.Lfunc_end201:
	.size	_ZN7rocprim17ROCPRIM_400000_NS6detail17trampoline_kernelINS0_14default_configENS1_32segmented_reduce_config_selectorIfEEZNS1_21segmented_reduce_implIS3_PKfPfPKlfN6hipcub16HIPCUB_304000_NS6detail27convert_result_type_wrapperIS8_S9_N2at6native12_GLOBAL__N_19CustomMinEEEEE10hipError_tPvRmT0_T1_jT2_SQ_T4_T3_P12ihipStream_tbEUlT_E_NS1_11comp_targetILNS1_3genE2ELNS1_11target_archE906ELNS1_3gpuE6ELNS1_3repE0EEENS1_30default_config_static_selectorELNS0_4arch9wavefront6targetE0EEEvSP_, .Lfunc_end201-_ZN7rocprim17ROCPRIM_400000_NS6detail17trampoline_kernelINS0_14default_configENS1_32segmented_reduce_config_selectorIfEEZNS1_21segmented_reduce_implIS3_PKfPfPKlfN6hipcub16HIPCUB_304000_NS6detail27convert_result_type_wrapperIS8_S9_N2at6native12_GLOBAL__N_19CustomMinEEEEE10hipError_tPvRmT0_T1_jT2_SQ_T4_T3_P12ihipStream_tbEUlT_E_NS1_11comp_targetILNS1_3genE2ELNS1_11target_archE906ELNS1_3gpuE6ELNS1_3repE0EEENS1_30default_config_static_selectorELNS0_4arch9wavefront6targetE0EEEvSP_
                                        ; -- End function
	.set _ZN7rocprim17ROCPRIM_400000_NS6detail17trampoline_kernelINS0_14default_configENS1_32segmented_reduce_config_selectorIfEEZNS1_21segmented_reduce_implIS3_PKfPfPKlfN6hipcub16HIPCUB_304000_NS6detail27convert_result_type_wrapperIS8_S9_N2at6native12_GLOBAL__N_19CustomMinEEEEE10hipError_tPvRmT0_T1_jT2_SQ_T4_T3_P12ihipStream_tbEUlT_E_NS1_11comp_targetILNS1_3genE2ELNS1_11target_archE906ELNS1_3gpuE6ELNS1_3repE0EEENS1_30default_config_static_selectorELNS0_4arch9wavefront6targetE0EEEvSP_.num_vgpr, 0
	.set _ZN7rocprim17ROCPRIM_400000_NS6detail17trampoline_kernelINS0_14default_configENS1_32segmented_reduce_config_selectorIfEEZNS1_21segmented_reduce_implIS3_PKfPfPKlfN6hipcub16HIPCUB_304000_NS6detail27convert_result_type_wrapperIS8_S9_N2at6native12_GLOBAL__N_19CustomMinEEEEE10hipError_tPvRmT0_T1_jT2_SQ_T4_T3_P12ihipStream_tbEUlT_E_NS1_11comp_targetILNS1_3genE2ELNS1_11target_archE906ELNS1_3gpuE6ELNS1_3repE0EEENS1_30default_config_static_selectorELNS0_4arch9wavefront6targetE0EEEvSP_.num_agpr, 0
	.set _ZN7rocprim17ROCPRIM_400000_NS6detail17trampoline_kernelINS0_14default_configENS1_32segmented_reduce_config_selectorIfEEZNS1_21segmented_reduce_implIS3_PKfPfPKlfN6hipcub16HIPCUB_304000_NS6detail27convert_result_type_wrapperIS8_S9_N2at6native12_GLOBAL__N_19CustomMinEEEEE10hipError_tPvRmT0_T1_jT2_SQ_T4_T3_P12ihipStream_tbEUlT_E_NS1_11comp_targetILNS1_3genE2ELNS1_11target_archE906ELNS1_3gpuE6ELNS1_3repE0EEENS1_30default_config_static_selectorELNS0_4arch9wavefront6targetE0EEEvSP_.numbered_sgpr, 0
	.set _ZN7rocprim17ROCPRIM_400000_NS6detail17trampoline_kernelINS0_14default_configENS1_32segmented_reduce_config_selectorIfEEZNS1_21segmented_reduce_implIS3_PKfPfPKlfN6hipcub16HIPCUB_304000_NS6detail27convert_result_type_wrapperIS8_S9_N2at6native12_GLOBAL__N_19CustomMinEEEEE10hipError_tPvRmT0_T1_jT2_SQ_T4_T3_P12ihipStream_tbEUlT_E_NS1_11comp_targetILNS1_3genE2ELNS1_11target_archE906ELNS1_3gpuE6ELNS1_3repE0EEENS1_30default_config_static_selectorELNS0_4arch9wavefront6targetE0EEEvSP_.num_named_barrier, 0
	.set _ZN7rocprim17ROCPRIM_400000_NS6detail17trampoline_kernelINS0_14default_configENS1_32segmented_reduce_config_selectorIfEEZNS1_21segmented_reduce_implIS3_PKfPfPKlfN6hipcub16HIPCUB_304000_NS6detail27convert_result_type_wrapperIS8_S9_N2at6native12_GLOBAL__N_19CustomMinEEEEE10hipError_tPvRmT0_T1_jT2_SQ_T4_T3_P12ihipStream_tbEUlT_E_NS1_11comp_targetILNS1_3genE2ELNS1_11target_archE906ELNS1_3gpuE6ELNS1_3repE0EEENS1_30default_config_static_selectorELNS0_4arch9wavefront6targetE0EEEvSP_.private_seg_size, 0
	.set _ZN7rocprim17ROCPRIM_400000_NS6detail17trampoline_kernelINS0_14default_configENS1_32segmented_reduce_config_selectorIfEEZNS1_21segmented_reduce_implIS3_PKfPfPKlfN6hipcub16HIPCUB_304000_NS6detail27convert_result_type_wrapperIS8_S9_N2at6native12_GLOBAL__N_19CustomMinEEEEE10hipError_tPvRmT0_T1_jT2_SQ_T4_T3_P12ihipStream_tbEUlT_E_NS1_11comp_targetILNS1_3genE2ELNS1_11target_archE906ELNS1_3gpuE6ELNS1_3repE0EEENS1_30default_config_static_selectorELNS0_4arch9wavefront6targetE0EEEvSP_.uses_vcc, 0
	.set _ZN7rocprim17ROCPRIM_400000_NS6detail17trampoline_kernelINS0_14default_configENS1_32segmented_reduce_config_selectorIfEEZNS1_21segmented_reduce_implIS3_PKfPfPKlfN6hipcub16HIPCUB_304000_NS6detail27convert_result_type_wrapperIS8_S9_N2at6native12_GLOBAL__N_19CustomMinEEEEE10hipError_tPvRmT0_T1_jT2_SQ_T4_T3_P12ihipStream_tbEUlT_E_NS1_11comp_targetILNS1_3genE2ELNS1_11target_archE906ELNS1_3gpuE6ELNS1_3repE0EEENS1_30default_config_static_selectorELNS0_4arch9wavefront6targetE0EEEvSP_.uses_flat_scratch, 0
	.set _ZN7rocprim17ROCPRIM_400000_NS6detail17trampoline_kernelINS0_14default_configENS1_32segmented_reduce_config_selectorIfEEZNS1_21segmented_reduce_implIS3_PKfPfPKlfN6hipcub16HIPCUB_304000_NS6detail27convert_result_type_wrapperIS8_S9_N2at6native12_GLOBAL__N_19CustomMinEEEEE10hipError_tPvRmT0_T1_jT2_SQ_T4_T3_P12ihipStream_tbEUlT_E_NS1_11comp_targetILNS1_3genE2ELNS1_11target_archE906ELNS1_3gpuE6ELNS1_3repE0EEENS1_30default_config_static_selectorELNS0_4arch9wavefront6targetE0EEEvSP_.has_dyn_sized_stack, 0
	.set _ZN7rocprim17ROCPRIM_400000_NS6detail17trampoline_kernelINS0_14default_configENS1_32segmented_reduce_config_selectorIfEEZNS1_21segmented_reduce_implIS3_PKfPfPKlfN6hipcub16HIPCUB_304000_NS6detail27convert_result_type_wrapperIS8_S9_N2at6native12_GLOBAL__N_19CustomMinEEEEE10hipError_tPvRmT0_T1_jT2_SQ_T4_T3_P12ihipStream_tbEUlT_E_NS1_11comp_targetILNS1_3genE2ELNS1_11target_archE906ELNS1_3gpuE6ELNS1_3repE0EEENS1_30default_config_static_selectorELNS0_4arch9wavefront6targetE0EEEvSP_.has_recursion, 0
	.set _ZN7rocprim17ROCPRIM_400000_NS6detail17trampoline_kernelINS0_14default_configENS1_32segmented_reduce_config_selectorIfEEZNS1_21segmented_reduce_implIS3_PKfPfPKlfN6hipcub16HIPCUB_304000_NS6detail27convert_result_type_wrapperIS8_S9_N2at6native12_GLOBAL__N_19CustomMinEEEEE10hipError_tPvRmT0_T1_jT2_SQ_T4_T3_P12ihipStream_tbEUlT_E_NS1_11comp_targetILNS1_3genE2ELNS1_11target_archE906ELNS1_3gpuE6ELNS1_3repE0EEENS1_30default_config_static_selectorELNS0_4arch9wavefront6targetE0EEEvSP_.has_indirect_call, 0
	.section	.AMDGPU.csdata,"",@progbits
; Kernel info:
; codeLenInByte = 0
; TotalNumSgprs: 0
; NumVgprs: 0
; ScratchSize: 0
; MemoryBound: 0
; FloatMode: 240
; IeeeMode: 1
; LDSByteSize: 0 bytes/workgroup (compile time only)
; SGPRBlocks: 0
; VGPRBlocks: 0
; NumSGPRsForWavesPerEU: 1
; NumVGPRsForWavesPerEU: 1
; Occupancy: 16
; WaveLimiterHint : 0
; COMPUTE_PGM_RSRC2:SCRATCH_EN: 0
; COMPUTE_PGM_RSRC2:USER_SGPR: 6
; COMPUTE_PGM_RSRC2:TRAP_HANDLER: 0
; COMPUTE_PGM_RSRC2:TGID_X_EN: 1
; COMPUTE_PGM_RSRC2:TGID_Y_EN: 0
; COMPUTE_PGM_RSRC2:TGID_Z_EN: 0
; COMPUTE_PGM_RSRC2:TIDIG_COMP_CNT: 0
	.section	.text._ZN7rocprim17ROCPRIM_400000_NS6detail17trampoline_kernelINS0_14default_configENS1_32segmented_reduce_config_selectorIfEEZNS1_21segmented_reduce_implIS3_PKfPfPKlfN6hipcub16HIPCUB_304000_NS6detail27convert_result_type_wrapperIS8_S9_N2at6native12_GLOBAL__N_19CustomMinEEEEE10hipError_tPvRmT0_T1_jT2_SQ_T4_T3_P12ihipStream_tbEUlT_E_NS1_11comp_targetILNS1_3genE9ELNS1_11target_archE1100ELNS1_3gpuE3ELNS1_3repE0EEENS1_30default_config_static_selectorELNS0_4arch9wavefront6targetE0EEEvSP_,"axG",@progbits,_ZN7rocprim17ROCPRIM_400000_NS6detail17trampoline_kernelINS0_14default_configENS1_32segmented_reduce_config_selectorIfEEZNS1_21segmented_reduce_implIS3_PKfPfPKlfN6hipcub16HIPCUB_304000_NS6detail27convert_result_type_wrapperIS8_S9_N2at6native12_GLOBAL__N_19CustomMinEEEEE10hipError_tPvRmT0_T1_jT2_SQ_T4_T3_P12ihipStream_tbEUlT_E_NS1_11comp_targetILNS1_3genE9ELNS1_11target_archE1100ELNS1_3gpuE3ELNS1_3repE0EEENS1_30default_config_static_selectorELNS0_4arch9wavefront6targetE0EEEvSP_,comdat
	.globl	_ZN7rocprim17ROCPRIM_400000_NS6detail17trampoline_kernelINS0_14default_configENS1_32segmented_reduce_config_selectorIfEEZNS1_21segmented_reduce_implIS3_PKfPfPKlfN6hipcub16HIPCUB_304000_NS6detail27convert_result_type_wrapperIS8_S9_N2at6native12_GLOBAL__N_19CustomMinEEEEE10hipError_tPvRmT0_T1_jT2_SQ_T4_T3_P12ihipStream_tbEUlT_E_NS1_11comp_targetILNS1_3genE9ELNS1_11target_archE1100ELNS1_3gpuE3ELNS1_3repE0EEENS1_30default_config_static_selectorELNS0_4arch9wavefront6targetE0EEEvSP_ ; -- Begin function _ZN7rocprim17ROCPRIM_400000_NS6detail17trampoline_kernelINS0_14default_configENS1_32segmented_reduce_config_selectorIfEEZNS1_21segmented_reduce_implIS3_PKfPfPKlfN6hipcub16HIPCUB_304000_NS6detail27convert_result_type_wrapperIS8_S9_N2at6native12_GLOBAL__N_19CustomMinEEEEE10hipError_tPvRmT0_T1_jT2_SQ_T4_T3_P12ihipStream_tbEUlT_E_NS1_11comp_targetILNS1_3genE9ELNS1_11target_archE1100ELNS1_3gpuE3ELNS1_3repE0EEENS1_30default_config_static_selectorELNS0_4arch9wavefront6targetE0EEEvSP_
	.p2align	8
	.type	_ZN7rocprim17ROCPRIM_400000_NS6detail17trampoline_kernelINS0_14default_configENS1_32segmented_reduce_config_selectorIfEEZNS1_21segmented_reduce_implIS3_PKfPfPKlfN6hipcub16HIPCUB_304000_NS6detail27convert_result_type_wrapperIS8_S9_N2at6native12_GLOBAL__N_19CustomMinEEEEE10hipError_tPvRmT0_T1_jT2_SQ_T4_T3_P12ihipStream_tbEUlT_E_NS1_11comp_targetILNS1_3genE9ELNS1_11target_archE1100ELNS1_3gpuE3ELNS1_3repE0EEENS1_30default_config_static_selectorELNS0_4arch9wavefront6targetE0EEEvSP_,@function
_ZN7rocprim17ROCPRIM_400000_NS6detail17trampoline_kernelINS0_14default_configENS1_32segmented_reduce_config_selectorIfEEZNS1_21segmented_reduce_implIS3_PKfPfPKlfN6hipcub16HIPCUB_304000_NS6detail27convert_result_type_wrapperIS8_S9_N2at6native12_GLOBAL__N_19CustomMinEEEEE10hipError_tPvRmT0_T1_jT2_SQ_T4_T3_P12ihipStream_tbEUlT_E_NS1_11comp_targetILNS1_3genE9ELNS1_11target_archE1100ELNS1_3gpuE3ELNS1_3repE0EEENS1_30default_config_static_selectorELNS0_4arch9wavefront6targetE0EEEvSP_: ; @_ZN7rocprim17ROCPRIM_400000_NS6detail17trampoline_kernelINS0_14default_configENS1_32segmented_reduce_config_selectorIfEEZNS1_21segmented_reduce_implIS3_PKfPfPKlfN6hipcub16HIPCUB_304000_NS6detail27convert_result_type_wrapperIS8_S9_N2at6native12_GLOBAL__N_19CustomMinEEEEE10hipError_tPvRmT0_T1_jT2_SQ_T4_T3_P12ihipStream_tbEUlT_E_NS1_11comp_targetILNS1_3genE9ELNS1_11target_archE1100ELNS1_3gpuE3ELNS1_3repE0EEENS1_30default_config_static_selectorELNS0_4arch9wavefront6targetE0EEEvSP_
; %bb.0:
	.section	.rodata,"a",@progbits
	.p2align	6, 0x0
	.amdhsa_kernel _ZN7rocprim17ROCPRIM_400000_NS6detail17trampoline_kernelINS0_14default_configENS1_32segmented_reduce_config_selectorIfEEZNS1_21segmented_reduce_implIS3_PKfPfPKlfN6hipcub16HIPCUB_304000_NS6detail27convert_result_type_wrapperIS8_S9_N2at6native12_GLOBAL__N_19CustomMinEEEEE10hipError_tPvRmT0_T1_jT2_SQ_T4_T3_P12ihipStream_tbEUlT_E_NS1_11comp_targetILNS1_3genE9ELNS1_11target_archE1100ELNS1_3gpuE3ELNS1_3repE0EEENS1_30default_config_static_selectorELNS0_4arch9wavefront6targetE0EEEvSP_
		.amdhsa_group_segment_fixed_size 0
		.amdhsa_private_segment_fixed_size 0
		.amdhsa_kernarg_size 48
		.amdhsa_user_sgpr_count 6
		.amdhsa_user_sgpr_private_segment_buffer 1
		.amdhsa_user_sgpr_dispatch_ptr 0
		.amdhsa_user_sgpr_queue_ptr 0
		.amdhsa_user_sgpr_kernarg_segment_ptr 1
		.amdhsa_user_sgpr_dispatch_id 0
		.amdhsa_user_sgpr_flat_scratch_init 0
		.amdhsa_user_sgpr_private_segment_size 0
		.amdhsa_wavefront_size32 1
		.amdhsa_uses_dynamic_stack 0
		.amdhsa_system_sgpr_private_segment_wavefront_offset 0
		.amdhsa_system_sgpr_workgroup_id_x 1
		.amdhsa_system_sgpr_workgroup_id_y 0
		.amdhsa_system_sgpr_workgroup_id_z 0
		.amdhsa_system_sgpr_workgroup_info 0
		.amdhsa_system_vgpr_workitem_id 0
		.amdhsa_next_free_vgpr 1
		.amdhsa_next_free_sgpr 1
		.amdhsa_reserve_vcc 0
		.amdhsa_reserve_flat_scratch 0
		.amdhsa_float_round_mode_32 0
		.amdhsa_float_round_mode_16_64 0
		.amdhsa_float_denorm_mode_32 3
		.amdhsa_float_denorm_mode_16_64 3
		.amdhsa_dx10_clamp 1
		.amdhsa_ieee_mode 1
		.amdhsa_fp16_overflow 0
		.amdhsa_workgroup_processor_mode 1
		.amdhsa_memory_ordered 1
		.amdhsa_forward_progress 1
		.amdhsa_shared_vgpr_count 0
		.amdhsa_exception_fp_ieee_invalid_op 0
		.amdhsa_exception_fp_denorm_src 0
		.amdhsa_exception_fp_ieee_div_zero 0
		.amdhsa_exception_fp_ieee_overflow 0
		.amdhsa_exception_fp_ieee_underflow 0
		.amdhsa_exception_fp_ieee_inexact 0
		.amdhsa_exception_int_div_zero 0
	.end_amdhsa_kernel
	.section	.text._ZN7rocprim17ROCPRIM_400000_NS6detail17trampoline_kernelINS0_14default_configENS1_32segmented_reduce_config_selectorIfEEZNS1_21segmented_reduce_implIS3_PKfPfPKlfN6hipcub16HIPCUB_304000_NS6detail27convert_result_type_wrapperIS8_S9_N2at6native12_GLOBAL__N_19CustomMinEEEEE10hipError_tPvRmT0_T1_jT2_SQ_T4_T3_P12ihipStream_tbEUlT_E_NS1_11comp_targetILNS1_3genE9ELNS1_11target_archE1100ELNS1_3gpuE3ELNS1_3repE0EEENS1_30default_config_static_selectorELNS0_4arch9wavefront6targetE0EEEvSP_,"axG",@progbits,_ZN7rocprim17ROCPRIM_400000_NS6detail17trampoline_kernelINS0_14default_configENS1_32segmented_reduce_config_selectorIfEEZNS1_21segmented_reduce_implIS3_PKfPfPKlfN6hipcub16HIPCUB_304000_NS6detail27convert_result_type_wrapperIS8_S9_N2at6native12_GLOBAL__N_19CustomMinEEEEE10hipError_tPvRmT0_T1_jT2_SQ_T4_T3_P12ihipStream_tbEUlT_E_NS1_11comp_targetILNS1_3genE9ELNS1_11target_archE1100ELNS1_3gpuE3ELNS1_3repE0EEENS1_30default_config_static_selectorELNS0_4arch9wavefront6targetE0EEEvSP_,comdat
.Lfunc_end202:
	.size	_ZN7rocprim17ROCPRIM_400000_NS6detail17trampoline_kernelINS0_14default_configENS1_32segmented_reduce_config_selectorIfEEZNS1_21segmented_reduce_implIS3_PKfPfPKlfN6hipcub16HIPCUB_304000_NS6detail27convert_result_type_wrapperIS8_S9_N2at6native12_GLOBAL__N_19CustomMinEEEEE10hipError_tPvRmT0_T1_jT2_SQ_T4_T3_P12ihipStream_tbEUlT_E_NS1_11comp_targetILNS1_3genE9ELNS1_11target_archE1100ELNS1_3gpuE3ELNS1_3repE0EEENS1_30default_config_static_selectorELNS0_4arch9wavefront6targetE0EEEvSP_, .Lfunc_end202-_ZN7rocprim17ROCPRIM_400000_NS6detail17trampoline_kernelINS0_14default_configENS1_32segmented_reduce_config_selectorIfEEZNS1_21segmented_reduce_implIS3_PKfPfPKlfN6hipcub16HIPCUB_304000_NS6detail27convert_result_type_wrapperIS8_S9_N2at6native12_GLOBAL__N_19CustomMinEEEEE10hipError_tPvRmT0_T1_jT2_SQ_T4_T3_P12ihipStream_tbEUlT_E_NS1_11comp_targetILNS1_3genE9ELNS1_11target_archE1100ELNS1_3gpuE3ELNS1_3repE0EEENS1_30default_config_static_selectorELNS0_4arch9wavefront6targetE0EEEvSP_
                                        ; -- End function
	.set _ZN7rocprim17ROCPRIM_400000_NS6detail17trampoline_kernelINS0_14default_configENS1_32segmented_reduce_config_selectorIfEEZNS1_21segmented_reduce_implIS3_PKfPfPKlfN6hipcub16HIPCUB_304000_NS6detail27convert_result_type_wrapperIS8_S9_N2at6native12_GLOBAL__N_19CustomMinEEEEE10hipError_tPvRmT0_T1_jT2_SQ_T4_T3_P12ihipStream_tbEUlT_E_NS1_11comp_targetILNS1_3genE9ELNS1_11target_archE1100ELNS1_3gpuE3ELNS1_3repE0EEENS1_30default_config_static_selectorELNS0_4arch9wavefront6targetE0EEEvSP_.num_vgpr, 0
	.set _ZN7rocprim17ROCPRIM_400000_NS6detail17trampoline_kernelINS0_14default_configENS1_32segmented_reduce_config_selectorIfEEZNS1_21segmented_reduce_implIS3_PKfPfPKlfN6hipcub16HIPCUB_304000_NS6detail27convert_result_type_wrapperIS8_S9_N2at6native12_GLOBAL__N_19CustomMinEEEEE10hipError_tPvRmT0_T1_jT2_SQ_T4_T3_P12ihipStream_tbEUlT_E_NS1_11comp_targetILNS1_3genE9ELNS1_11target_archE1100ELNS1_3gpuE3ELNS1_3repE0EEENS1_30default_config_static_selectorELNS0_4arch9wavefront6targetE0EEEvSP_.num_agpr, 0
	.set _ZN7rocprim17ROCPRIM_400000_NS6detail17trampoline_kernelINS0_14default_configENS1_32segmented_reduce_config_selectorIfEEZNS1_21segmented_reduce_implIS3_PKfPfPKlfN6hipcub16HIPCUB_304000_NS6detail27convert_result_type_wrapperIS8_S9_N2at6native12_GLOBAL__N_19CustomMinEEEEE10hipError_tPvRmT0_T1_jT2_SQ_T4_T3_P12ihipStream_tbEUlT_E_NS1_11comp_targetILNS1_3genE9ELNS1_11target_archE1100ELNS1_3gpuE3ELNS1_3repE0EEENS1_30default_config_static_selectorELNS0_4arch9wavefront6targetE0EEEvSP_.numbered_sgpr, 0
	.set _ZN7rocprim17ROCPRIM_400000_NS6detail17trampoline_kernelINS0_14default_configENS1_32segmented_reduce_config_selectorIfEEZNS1_21segmented_reduce_implIS3_PKfPfPKlfN6hipcub16HIPCUB_304000_NS6detail27convert_result_type_wrapperIS8_S9_N2at6native12_GLOBAL__N_19CustomMinEEEEE10hipError_tPvRmT0_T1_jT2_SQ_T4_T3_P12ihipStream_tbEUlT_E_NS1_11comp_targetILNS1_3genE9ELNS1_11target_archE1100ELNS1_3gpuE3ELNS1_3repE0EEENS1_30default_config_static_selectorELNS0_4arch9wavefront6targetE0EEEvSP_.num_named_barrier, 0
	.set _ZN7rocprim17ROCPRIM_400000_NS6detail17trampoline_kernelINS0_14default_configENS1_32segmented_reduce_config_selectorIfEEZNS1_21segmented_reduce_implIS3_PKfPfPKlfN6hipcub16HIPCUB_304000_NS6detail27convert_result_type_wrapperIS8_S9_N2at6native12_GLOBAL__N_19CustomMinEEEEE10hipError_tPvRmT0_T1_jT2_SQ_T4_T3_P12ihipStream_tbEUlT_E_NS1_11comp_targetILNS1_3genE9ELNS1_11target_archE1100ELNS1_3gpuE3ELNS1_3repE0EEENS1_30default_config_static_selectorELNS0_4arch9wavefront6targetE0EEEvSP_.private_seg_size, 0
	.set _ZN7rocprim17ROCPRIM_400000_NS6detail17trampoline_kernelINS0_14default_configENS1_32segmented_reduce_config_selectorIfEEZNS1_21segmented_reduce_implIS3_PKfPfPKlfN6hipcub16HIPCUB_304000_NS6detail27convert_result_type_wrapperIS8_S9_N2at6native12_GLOBAL__N_19CustomMinEEEEE10hipError_tPvRmT0_T1_jT2_SQ_T4_T3_P12ihipStream_tbEUlT_E_NS1_11comp_targetILNS1_3genE9ELNS1_11target_archE1100ELNS1_3gpuE3ELNS1_3repE0EEENS1_30default_config_static_selectorELNS0_4arch9wavefront6targetE0EEEvSP_.uses_vcc, 0
	.set _ZN7rocprim17ROCPRIM_400000_NS6detail17trampoline_kernelINS0_14default_configENS1_32segmented_reduce_config_selectorIfEEZNS1_21segmented_reduce_implIS3_PKfPfPKlfN6hipcub16HIPCUB_304000_NS6detail27convert_result_type_wrapperIS8_S9_N2at6native12_GLOBAL__N_19CustomMinEEEEE10hipError_tPvRmT0_T1_jT2_SQ_T4_T3_P12ihipStream_tbEUlT_E_NS1_11comp_targetILNS1_3genE9ELNS1_11target_archE1100ELNS1_3gpuE3ELNS1_3repE0EEENS1_30default_config_static_selectorELNS0_4arch9wavefront6targetE0EEEvSP_.uses_flat_scratch, 0
	.set _ZN7rocprim17ROCPRIM_400000_NS6detail17trampoline_kernelINS0_14default_configENS1_32segmented_reduce_config_selectorIfEEZNS1_21segmented_reduce_implIS3_PKfPfPKlfN6hipcub16HIPCUB_304000_NS6detail27convert_result_type_wrapperIS8_S9_N2at6native12_GLOBAL__N_19CustomMinEEEEE10hipError_tPvRmT0_T1_jT2_SQ_T4_T3_P12ihipStream_tbEUlT_E_NS1_11comp_targetILNS1_3genE9ELNS1_11target_archE1100ELNS1_3gpuE3ELNS1_3repE0EEENS1_30default_config_static_selectorELNS0_4arch9wavefront6targetE0EEEvSP_.has_dyn_sized_stack, 0
	.set _ZN7rocprim17ROCPRIM_400000_NS6detail17trampoline_kernelINS0_14default_configENS1_32segmented_reduce_config_selectorIfEEZNS1_21segmented_reduce_implIS3_PKfPfPKlfN6hipcub16HIPCUB_304000_NS6detail27convert_result_type_wrapperIS8_S9_N2at6native12_GLOBAL__N_19CustomMinEEEEE10hipError_tPvRmT0_T1_jT2_SQ_T4_T3_P12ihipStream_tbEUlT_E_NS1_11comp_targetILNS1_3genE9ELNS1_11target_archE1100ELNS1_3gpuE3ELNS1_3repE0EEENS1_30default_config_static_selectorELNS0_4arch9wavefront6targetE0EEEvSP_.has_recursion, 0
	.set _ZN7rocprim17ROCPRIM_400000_NS6detail17trampoline_kernelINS0_14default_configENS1_32segmented_reduce_config_selectorIfEEZNS1_21segmented_reduce_implIS3_PKfPfPKlfN6hipcub16HIPCUB_304000_NS6detail27convert_result_type_wrapperIS8_S9_N2at6native12_GLOBAL__N_19CustomMinEEEEE10hipError_tPvRmT0_T1_jT2_SQ_T4_T3_P12ihipStream_tbEUlT_E_NS1_11comp_targetILNS1_3genE9ELNS1_11target_archE1100ELNS1_3gpuE3ELNS1_3repE0EEENS1_30default_config_static_selectorELNS0_4arch9wavefront6targetE0EEEvSP_.has_indirect_call, 0
	.section	.AMDGPU.csdata,"",@progbits
; Kernel info:
; codeLenInByte = 0
; TotalNumSgprs: 0
; NumVgprs: 0
; ScratchSize: 0
; MemoryBound: 0
; FloatMode: 240
; IeeeMode: 1
; LDSByteSize: 0 bytes/workgroup (compile time only)
; SGPRBlocks: 0
; VGPRBlocks: 0
; NumSGPRsForWavesPerEU: 1
; NumVGPRsForWavesPerEU: 1
; Occupancy: 16
; WaveLimiterHint : 0
; COMPUTE_PGM_RSRC2:SCRATCH_EN: 0
; COMPUTE_PGM_RSRC2:USER_SGPR: 6
; COMPUTE_PGM_RSRC2:TRAP_HANDLER: 0
; COMPUTE_PGM_RSRC2:TGID_X_EN: 1
; COMPUTE_PGM_RSRC2:TGID_Y_EN: 0
; COMPUTE_PGM_RSRC2:TGID_Z_EN: 0
; COMPUTE_PGM_RSRC2:TIDIG_COMP_CNT: 0
	.section	.text._ZN7rocprim17ROCPRIM_400000_NS6detail17trampoline_kernelINS0_14default_configENS1_32segmented_reduce_config_selectorIfEEZNS1_21segmented_reduce_implIS3_PKfPfPKlfN6hipcub16HIPCUB_304000_NS6detail27convert_result_type_wrapperIS8_S9_N2at6native12_GLOBAL__N_19CustomMinEEEEE10hipError_tPvRmT0_T1_jT2_SQ_T4_T3_P12ihipStream_tbEUlT_E_NS1_11comp_targetILNS1_3genE8ELNS1_11target_archE1030ELNS1_3gpuE2ELNS1_3repE0EEENS1_30default_config_static_selectorELNS0_4arch9wavefront6targetE0EEEvSP_,"axG",@progbits,_ZN7rocprim17ROCPRIM_400000_NS6detail17trampoline_kernelINS0_14default_configENS1_32segmented_reduce_config_selectorIfEEZNS1_21segmented_reduce_implIS3_PKfPfPKlfN6hipcub16HIPCUB_304000_NS6detail27convert_result_type_wrapperIS8_S9_N2at6native12_GLOBAL__N_19CustomMinEEEEE10hipError_tPvRmT0_T1_jT2_SQ_T4_T3_P12ihipStream_tbEUlT_E_NS1_11comp_targetILNS1_3genE8ELNS1_11target_archE1030ELNS1_3gpuE2ELNS1_3repE0EEENS1_30default_config_static_selectorELNS0_4arch9wavefront6targetE0EEEvSP_,comdat
	.globl	_ZN7rocprim17ROCPRIM_400000_NS6detail17trampoline_kernelINS0_14default_configENS1_32segmented_reduce_config_selectorIfEEZNS1_21segmented_reduce_implIS3_PKfPfPKlfN6hipcub16HIPCUB_304000_NS6detail27convert_result_type_wrapperIS8_S9_N2at6native12_GLOBAL__N_19CustomMinEEEEE10hipError_tPvRmT0_T1_jT2_SQ_T4_T3_P12ihipStream_tbEUlT_E_NS1_11comp_targetILNS1_3genE8ELNS1_11target_archE1030ELNS1_3gpuE2ELNS1_3repE0EEENS1_30default_config_static_selectorELNS0_4arch9wavefront6targetE0EEEvSP_ ; -- Begin function _ZN7rocprim17ROCPRIM_400000_NS6detail17trampoline_kernelINS0_14default_configENS1_32segmented_reduce_config_selectorIfEEZNS1_21segmented_reduce_implIS3_PKfPfPKlfN6hipcub16HIPCUB_304000_NS6detail27convert_result_type_wrapperIS8_S9_N2at6native12_GLOBAL__N_19CustomMinEEEEE10hipError_tPvRmT0_T1_jT2_SQ_T4_T3_P12ihipStream_tbEUlT_E_NS1_11comp_targetILNS1_3genE8ELNS1_11target_archE1030ELNS1_3gpuE2ELNS1_3repE0EEENS1_30default_config_static_selectorELNS0_4arch9wavefront6targetE0EEEvSP_
	.p2align	8
	.type	_ZN7rocprim17ROCPRIM_400000_NS6detail17trampoline_kernelINS0_14default_configENS1_32segmented_reduce_config_selectorIfEEZNS1_21segmented_reduce_implIS3_PKfPfPKlfN6hipcub16HIPCUB_304000_NS6detail27convert_result_type_wrapperIS8_S9_N2at6native12_GLOBAL__N_19CustomMinEEEEE10hipError_tPvRmT0_T1_jT2_SQ_T4_T3_P12ihipStream_tbEUlT_E_NS1_11comp_targetILNS1_3genE8ELNS1_11target_archE1030ELNS1_3gpuE2ELNS1_3repE0EEENS1_30default_config_static_selectorELNS0_4arch9wavefront6targetE0EEEvSP_,@function
_ZN7rocprim17ROCPRIM_400000_NS6detail17trampoline_kernelINS0_14default_configENS1_32segmented_reduce_config_selectorIfEEZNS1_21segmented_reduce_implIS3_PKfPfPKlfN6hipcub16HIPCUB_304000_NS6detail27convert_result_type_wrapperIS8_S9_N2at6native12_GLOBAL__N_19CustomMinEEEEE10hipError_tPvRmT0_T1_jT2_SQ_T4_T3_P12ihipStream_tbEUlT_E_NS1_11comp_targetILNS1_3genE8ELNS1_11target_archE1030ELNS1_3gpuE2ELNS1_3repE0EEENS1_30default_config_static_selectorELNS0_4arch9wavefront6targetE0EEEvSP_: ; @_ZN7rocprim17ROCPRIM_400000_NS6detail17trampoline_kernelINS0_14default_configENS1_32segmented_reduce_config_selectorIfEEZNS1_21segmented_reduce_implIS3_PKfPfPKlfN6hipcub16HIPCUB_304000_NS6detail27convert_result_type_wrapperIS8_S9_N2at6native12_GLOBAL__N_19CustomMinEEEEE10hipError_tPvRmT0_T1_jT2_SQ_T4_T3_P12ihipStream_tbEUlT_E_NS1_11comp_targetILNS1_3genE8ELNS1_11target_archE1030ELNS1_3gpuE2ELNS1_3repE0EEENS1_30default_config_static_selectorELNS0_4arch9wavefront6targetE0EEEvSP_
; %bb.0:
	s_clause 0x2
	s_load_dwordx8 s[8:15], s[4:5], 0x0
	s_load_dwordx2 s[0:1], s[4:5], 0x20
	s_load_dword s16, s[4:5], 0x2c
	s_mov_b32 s7, 0
	s_mov_b32 s17, s7
	s_waitcnt lgkmcnt(0)
	s_lshl_b64 s[2:3], s[12:13], 3
	s_add_u32 s4, s14, s2
	s_addc_u32 s5, s15, s3
	s_add_u32 s14, s0, s2
	s_addc_u32 s15, s1, s3
	s_lshl_b64 s[0:1], s[6:7], 3
	s_add_u32 s2, s4, s0
	s_addc_u32 s3, s5, s1
	s_add_u32 s0, s14, s0
	s_addc_u32 s1, s15, s1
	s_load_dwordx2 s[4:5], s[2:3], 0x0
	s_load_dwordx2 s[2:3], s[0:1], 0x0
	s_mov_b32 s1, -1
	s_waitcnt lgkmcnt(0)
	v_cmp_gt_i64_e64 s0, s[2:3], s[4:5]
	s_and_b32 vcc_lo, exec_lo, s0
	v_cmp_eq_u32_e64 s0, 0, v0
	s_cbranch_vccnz .LBB203_2
; %bb.1:
	s_mov_b32 s1, 0
	s_and_b32 s17, s0, exec_lo
.LBB203_2:
	s_andn2_b32 vcc_lo, exec_lo, s1
	s_cbranch_vccnz .LBB203_132
; %bb.3:
	s_add_u32 s0, s4, 0x1000
	s_addc_u32 s1, s5, 0
	v_cmp_le_i64_e64 s14, s[0:1], s[2:3]
	s_and_b32 vcc_lo, exec_lo, s14
	s_cbranch_vccz .LBB203_133
; %bb.4:
	v_lshlrev_b32_e32 v20, 2, v0
	s_lshl_b64 s[14:15], s[4:5], 2
	s_add_u32 s18, s8, s14
	s_addc_u32 s19, s9, s15
	v_add_co_u32 v11, s20, s18, v20
	v_add_co_ci_u32_e64 v13, null, s19, 0, s20
	v_add_co_u32 v1, vcc_lo, 0x800, v11
	v_add_co_ci_u32_e64 v2, null, 0, v13, vcc_lo
	v_add_co_u32 v3, vcc_lo, v11, 0x1000
	v_add_co_ci_u32_e64 v4, null, 0, v13, vcc_lo
	;; [unrolled: 2-line block ×9, first 2 shown]
	s_clause 0x7
	global_load_dword v19, v20, s[18:19]
	global_load_dword v18, v20, s[18:19] offset:1024
	global_load_dword v16, v[1:2], off offset:1024
	global_load_dword v14, v[5:6], off offset:1024
	;; [unrolled: 1-line block ×6, first 2 shown]
	v_add_co_u32 v1, vcc_lo, 0x3800, v11
	v_add_co_ci_u32_e64 v2, null, 0, v13, vcc_lo
	s_clause 0x7
	global_load_dword v17, v[3:4], off offset:-2048
	global_load_dword v15, v[3:4], off
	global_load_dword v13, v[21:22], off offset:-2048
	global_load_dword v11, v[21:22], off
	;; [unrolled: 2-line block ×3, first 2 shown]
	global_load_dword v4, v[1:2], off
	global_load_dword v3, v[1:2], off offset:1024
	s_mov_b32 s18, exec_lo
	s_waitcnt vmcnt(15)
	v_mov_b32_e32 v8, v19
	v_cmpx_o_f32_e32 v19, v19
	s_cbranch_execz .LBB203_8
; %bb.5:
	s_waitcnt vmcnt(14)
	v_mov_b32_e32 v8, v18
	s_mov_b32 s19, exec_lo
	v_cmpx_o_f32_e32 v18, v18
; %bb.6:
	v_cmp_lt_f32_e32 vcc_lo, v18, v19
	v_cndmask_b32_e32 v8, v19, v18, vcc_lo
; %bb.7:
	s_or_b32 exec_lo, exec_lo, s19
.LBB203_8:
	s_or_b32 exec_lo, exec_lo, s18
	s_mov_b32 s18, exec_lo
	v_cmpx_o_f32_e32 v8, v8
	s_cbranch_execz .LBB203_12
; %bb.9:
	s_waitcnt vmcnt(7)
	v_mov_b32_e32 v1, v17
	s_mov_b32 s19, exec_lo
	v_cmpx_o_f32_e32 v17, v17
; %bb.10:
	v_cmp_lt_f32_e32 vcc_lo, v17, v8
	v_cndmask_b32_e32 v1, v8, v17, vcc_lo
; %bb.11:
	s_or_b32 exec_lo, exec_lo, s19
	v_mov_b32_e32 v8, v1
.LBB203_12:
	s_or_b32 exec_lo, exec_lo, s18
	s_mov_b32 s18, exec_lo
	v_cmpx_o_f32_e32 v8, v8
	s_cbranch_execz .LBB203_16
; %bb.13:
	s_waitcnt vmcnt(13)
	v_mov_b32_e32 v1, v16
	s_mov_b32 s19, exec_lo
	v_cmpx_o_f32_e32 v16, v16
; %bb.14:
	v_cmp_lt_f32_e32 vcc_lo, v16, v8
	v_cndmask_b32_e32 v1, v8, v16, vcc_lo
; %bb.15:
	s_or_b32 exec_lo, exec_lo, s19
	v_mov_b32_e32 v8, v1
.LBB203_16:
	;; [unrolled: 16-line block ×14, first 2 shown]
	s_or_b32 exec_lo, exec_lo, s18
	s_add_u32 s18, s4, 0x2000
	s_addc_u32 s19, s5, 0
	v_cmp_ge_i64_e64 s18, s[18:19], s[2:3]
	s_and_b32 vcc_lo, exec_lo, s18
	s_cbranch_vccnz .LBB203_134
; %bb.65:
	s_add_u32 s14, s8, s14
	s_addc_u32 s15, s9, s15
	v_add_co_u32 v1, s14, s14, v20
	v_add_co_ci_u32_e64 v2, null, s15, 0, s14
	v_add_co_u32 v1, vcc_lo, 0x4000, v1
	v_add_co_ci_u32_e64 v2, null, 0, v2, vcc_lo
.LBB203_66:                             ; =>This Inner Loop Header: Depth=1
	s_waitcnt vmcnt(0)
	v_add_co_u32 v3, vcc_lo, 0x800, v1
	v_add_co_ci_u32_e64 v4, null, 0, v2, vcc_lo
	v_add_co_u32 v5, vcc_lo, v1, 0x1000
	v_add_co_ci_u32_e64 v6, null, 0, v2, vcc_lo
	;; [unrolled: 2-line block ×9, first 2 shown]
	s_clause 0x7
	global_load_dword v19, v[1:2], off
	global_load_dword v18, v[1:2], off offset:1024
	global_load_dword v17, v[5:6], off offset:-2048
	global_load_dword v15, v[5:6], off
	global_load_dword v13, v[9:10], off offset:-2048
	global_load_dword v11, v[9:10], off
	;; [unrolled: 2-line block ×3, first 2 shown]
	v_add_co_u32 v29, vcc_lo, 0x3800, v1
	v_add_co_ci_u32_e64 v30, null, 0, v2, vcc_lo
	s_clause 0x7
	global_load_dword v16, v[3:4], off offset:1024
	global_load_dword v14, v[21:22], off offset:1024
	;; [unrolled: 1-line block ×6, first 2 shown]
	global_load_dword v4, v[29:30], off
	global_load_dword v3, v[29:30], off offset:1024
	s_mov_b32 s14, exec_lo
	v_cmpx_o_f32_e32 v8, v8
	s_cbranch_execz .LBB203_70
; %bb.67:                               ;   in Loop: Header=BB203_66 Depth=1
	s_waitcnt vmcnt(15)
	v_mov_b32_e32 v21, v19
	s_mov_b32 s15, exec_lo
	v_cmpx_o_f32_e32 v19, v19
; %bb.68:                               ;   in Loop: Header=BB203_66 Depth=1
	v_cmp_lt_f32_e32 vcc_lo, v19, v8
	v_cndmask_b32_e32 v21, v8, v19, vcc_lo
; %bb.69:                               ;   in Loop: Header=BB203_66 Depth=1
	s_or_b32 exec_lo, exec_lo, s15
	v_mov_b32_e32 v8, v21
.LBB203_70:                             ;   in Loop: Header=BB203_66 Depth=1
	s_or_b32 exec_lo, exec_lo, s14
	s_mov_b32 s14, exec_lo
	v_cmpx_o_f32_e32 v8, v8
	s_cbranch_execz .LBB203_74
; %bb.71:                               ;   in Loop: Header=BB203_66 Depth=1
	s_waitcnt vmcnt(14)
	v_mov_b32_e32 v21, v18
	s_mov_b32 s15, exec_lo
	v_cmpx_o_f32_e32 v18, v18
; %bb.72:                               ;   in Loop: Header=BB203_66 Depth=1
	v_cmp_lt_f32_e32 vcc_lo, v18, v8
	v_cndmask_b32_e32 v21, v8, v18, vcc_lo
; %bb.73:                               ;   in Loop: Header=BB203_66 Depth=1
	s_or_b32 exec_lo, exec_lo, s15
	v_mov_b32_e32 v8, v21
.LBB203_74:                             ;   in Loop: Header=BB203_66 Depth=1
	s_or_b32 exec_lo, exec_lo, s14
	s_mov_b32 s14, exec_lo
	v_cmpx_o_f32_e32 v8, v8
	s_cbranch_execz .LBB203_78
; %bb.75:                               ;   in Loop: Header=BB203_66 Depth=1
	s_waitcnt vmcnt(13)
	v_mov_b32_e32 v21, v17
	s_mov_b32 s15, exec_lo
	v_cmpx_o_f32_e32 v17, v17
; %bb.76:                               ;   in Loop: Header=BB203_66 Depth=1
	v_cmp_lt_f32_e32 vcc_lo, v17, v8
	v_cndmask_b32_e32 v21, v8, v17, vcc_lo
; %bb.77:                               ;   in Loop: Header=BB203_66 Depth=1
	s_or_b32 exec_lo, exec_lo, s15
	v_mov_b32_e32 v8, v21
.LBB203_78:                             ;   in Loop: Header=BB203_66 Depth=1
	s_or_b32 exec_lo, exec_lo, s14
	s_mov_b32 s14, exec_lo
	v_cmpx_o_f32_e32 v8, v8
	s_cbranch_execz .LBB203_82
; %bb.79:                               ;   in Loop: Header=BB203_66 Depth=1
	s_waitcnt vmcnt(7)
	v_mov_b32_e32 v21, v16
	s_mov_b32 s15, exec_lo
	v_cmpx_o_f32_e32 v16, v16
; %bb.80:                               ;   in Loop: Header=BB203_66 Depth=1
	v_cmp_lt_f32_e32 vcc_lo, v16, v8
	v_cndmask_b32_e32 v21, v8, v16, vcc_lo
; %bb.81:                               ;   in Loop: Header=BB203_66 Depth=1
	s_or_b32 exec_lo, exec_lo, s15
	v_mov_b32_e32 v8, v21
.LBB203_82:                             ;   in Loop: Header=BB203_66 Depth=1
	s_or_b32 exec_lo, exec_lo, s14
	s_mov_b32 s14, exec_lo
	v_cmpx_o_f32_e32 v8, v8
	s_cbranch_execz .LBB203_86
; %bb.83:                               ;   in Loop: Header=BB203_66 Depth=1
	s_waitcnt vmcnt(12)
	v_mov_b32_e32 v21, v15
	s_mov_b32 s15, exec_lo
	v_cmpx_o_f32_e32 v15, v15
; %bb.84:                               ;   in Loop: Header=BB203_66 Depth=1
	v_cmp_lt_f32_e32 vcc_lo, v15, v8
	v_cndmask_b32_e32 v21, v8, v15, vcc_lo
; %bb.85:                               ;   in Loop: Header=BB203_66 Depth=1
	s_or_b32 exec_lo, exec_lo, s15
	v_mov_b32_e32 v8, v21
.LBB203_86:                             ;   in Loop: Header=BB203_66 Depth=1
	s_or_b32 exec_lo, exec_lo, s14
	s_mov_b32 s14, exec_lo
	v_cmpx_o_f32_e32 v8, v8
	s_cbranch_execz .LBB203_90
; %bb.87:                               ;   in Loop: Header=BB203_66 Depth=1
	s_waitcnt vmcnt(6)
	v_mov_b32_e32 v21, v14
	s_mov_b32 s15, exec_lo
	v_cmpx_o_f32_e32 v14, v14
; %bb.88:                               ;   in Loop: Header=BB203_66 Depth=1
	v_cmp_lt_f32_e32 vcc_lo, v14, v8
	v_cndmask_b32_e32 v21, v8, v14, vcc_lo
; %bb.89:                               ;   in Loop: Header=BB203_66 Depth=1
	s_or_b32 exec_lo, exec_lo, s15
	v_mov_b32_e32 v8, v21
.LBB203_90:                             ;   in Loop: Header=BB203_66 Depth=1
	s_or_b32 exec_lo, exec_lo, s14
	s_mov_b32 s14, exec_lo
	v_cmpx_o_f32_e32 v8, v8
	s_cbranch_execz .LBB203_94
; %bb.91:                               ;   in Loop: Header=BB203_66 Depth=1
	s_waitcnt vmcnt(11)
	v_mov_b32_e32 v21, v13
	s_mov_b32 s15, exec_lo
	v_cmpx_o_f32_e32 v13, v13
; %bb.92:                               ;   in Loop: Header=BB203_66 Depth=1
	v_cmp_lt_f32_e32 vcc_lo, v13, v8
	v_cndmask_b32_e32 v21, v8, v13, vcc_lo
; %bb.93:                               ;   in Loop: Header=BB203_66 Depth=1
	s_or_b32 exec_lo, exec_lo, s15
	v_mov_b32_e32 v8, v21
.LBB203_94:                             ;   in Loop: Header=BB203_66 Depth=1
	s_or_b32 exec_lo, exec_lo, s14
	s_mov_b32 s14, exec_lo
	v_cmpx_o_f32_e32 v8, v8
	s_cbranch_execz .LBB203_98
; %bb.95:                               ;   in Loop: Header=BB203_66 Depth=1
	s_waitcnt vmcnt(5)
	v_mov_b32_e32 v21, v12
	s_mov_b32 s15, exec_lo
	v_cmpx_o_f32_e32 v12, v12
; %bb.96:                               ;   in Loop: Header=BB203_66 Depth=1
	v_cmp_lt_f32_e32 vcc_lo, v12, v8
	v_cndmask_b32_e32 v21, v8, v12, vcc_lo
; %bb.97:                               ;   in Loop: Header=BB203_66 Depth=1
	s_or_b32 exec_lo, exec_lo, s15
	v_mov_b32_e32 v8, v21
.LBB203_98:                             ;   in Loop: Header=BB203_66 Depth=1
	s_or_b32 exec_lo, exec_lo, s14
	s_mov_b32 s14, exec_lo
	v_cmpx_o_f32_e32 v8, v8
	s_cbranch_execz .LBB203_102
; %bb.99:                               ;   in Loop: Header=BB203_66 Depth=1
	s_waitcnt vmcnt(10)
	v_mov_b32_e32 v21, v11
	s_mov_b32 s15, exec_lo
	v_cmpx_o_f32_e32 v11, v11
; %bb.100:                              ;   in Loop: Header=BB203_66 Depth=1
	v_cmp_lt_f32_e32 vcc_lo, v11, v8
	v_cndmask_b32_e32 v21, v8, v11, vcc_lo
; %bb.101:                              ;   in Loop: Header=BB203_66 Depth=1
	s_or_b32 exec_lo, exec_lo, s15
	v_mov_b32_e32 v8, v21
.LBB203_102:                            ;   in Loop: Header=BB203_66 Depth=1
	s_or_b32 exec_lo, exec_lo, s14
	s_mov_b32 s14, exec_lo
	v_cmpx_o_f32_e32 v8, v8
	s_cbranch_execz .LBB203_106
; %bb.103:                              ;   in Loop: Header=BB203_66 Depth=1
	s_waitcnt vmcnt(4)
	v_mov_b32_e32 v21, v10
	s_mov_b32 s15, exec_lo
	v_cmpx_o_f32_e32 v10, v10
; %bb.104:                              ;   in Loop: Header=BB203_66 Depth=1
	v_cmp_lt_f32_e32 vcc_lo, v10, v8
	v_cndmask_b32_e32 v21, v8, v10, vcc_lo
; %bb.105:                              ;   in Loop: Header=BB203_66 Depth=1
	s_or_b32 exec_lo, exec_lo, s15
	v_mov_b32_e32 v8, v21
.LBB203_106:                            ;   in Loop: Header=BB203_66 Depth=1
	s_or_b32 exec_lo, exec_lo, s14
	s_mov_b32 s14, exec_lo
	v_cmpx_o_f32_e32 v8, v8
	s_cbranch_execz .LBB203_110
; %bb.107:                              ;   in Loop: Header=BB203_66 Depth=1
	s_waitcnt vmcnt(9)
	v_mov_b32_e32 v21, v9
	s_mov_b32 s15, exec_lo
	v_cmpx_o_f32_e32 v9, v9
; %bb.108:                              ;   in Loop: Header=BB203_66 Depth=1
	v_cmp_lt_f32_e32 vcc_lo, v9, v8
	v_cndmask_b32_e32 v21, v8, v9, vcc_lo
; %bb.109:                              ;   in Loop: Header=BB203_66 Depth=1
	s_or_b32 exec_lo, exec_lo, s15
	v_mov_b32_e32 v8, v21
.LBB203_110:                            ;   in Loop: Header=BB203_66 Depth=1
	;; [unrolled: 16-line block ×7, first 2 shown]
	s_or_b32 exec_lo, exec_lo, s14
	s_add_u32 s14, s0, 0x1000
	s_addc_u32 s15, s1, 0
	s_add_u32 s0, s0, 0x2000
	s_addc_u32 s1, s1, 0
	v_add_co_u32 v1, vcc_lo, 0x4000, v1
	v_cmp_lt_i64_e64 s0, s[0:1], s[2:3]
	v_add_co_ci_u32_e64 v2, null, 0, v2, vcc_lo
	s_and_b32 vcc_lo, exec_lo, s0
	s_cbranch_vccz .LBB203_135
; %bb.131:                              ;   in Loop: Header=BB203_66 Depth=1
	s_mov_b64 s[0:1], s[14:15]
	s_branch .LBB203_66
.LBB203_132:
	v_mov_b32_e32 v2, s16
	s_and_saveexec_b32 s0, s17
	s_cbranch_execnz .LBB203_373
	s_branch .LBB203_374
.LBB203_133:
                                        ; implicit-def: $vgpr1
	s_cbranch_execnz .LBB203_268
	s_branch .LBB203_366
.LBB203_134:
	s_mov_b64 s[14:15], s[0:1]
.LBB203_135:
	s_lshl_b64 s[0:1], s[14:15], 2
	s_sub_i32 s18, s2, s14
	s_add_u32 s0, s8, s0
	s_addc_u32 s1, s9, s1
	s_mov_b32 s14, exec_lo
	v_cmpx_gt_u32_e64 s18, v0
	s_cbranch_execz .LBB203_137
; %bb.136:
	global_load_dword v19, v20, s[0:1]
.LBB203_137:
	s_or_b32 exec_lo, exec_lo, s14
	v_or_b32_e32 v32, 0x100, v0
	s_mov_b32 s14, exec_lo
	v_cmpx_gt_u32_e64 s18, v32
	s_cbranch_execz .LBB203_139
; %bb.138:
	global_load_dword v18, v20, s[0:1] offset:1024
.LBB203_139:
	s_or_b32 exec_lo, exec_lo, s14
	v_or_b32_e32 v31, 0x200, v0
	s_mov_b32 s14, exec_lo
	v_cmpx_gt_u32_e64 s18, v31
	s_cbranch_execz .LBB203_141
; %bb.140:
	v_lshlrev_b32_e32 v1, 2, v31
	global_load_dword v17, v1, s[0:1]
.LBB203_141:
	s_or_b32 exec_lo, exec_lo, s14
	v_or_b32_e32 v30, 0x300, v0
	s_mov_b32 s14, exec_lo
	v_cmpx_gt_u32_e64 s18, v30
	s_cbranch_execz .LBB203_143
; %bb.142:
	v_lshlrev_b32_e32 v1, 2, v30
	global_load_dword v16, v1, s[0:1]
.LBB203_143:
	;; [unrolled: 9-line block ×13, first 2 shown]
	s_or_b32 exec_lo, exec_lo, s14
	v_or_b32_e32 v1, 0xf00, v0
	s_mov_b32 s14, exec_lo
	v_cmpx_gt_u32_e64 s18, v1
	s_cbranch_execz .LBB203_167
; %bb.166:
	s_waitcnt vmcnt(0)
	v_lshlrev_b32_e32 v3, 2, v1
	global_load_dword v3, v3, s[0:1]
.LBB203_167:
	s_or_b32 exec_lo, exec_lo, s14
	v_cmp_gt_u32_e32 vcc_lo, s18, v0
	v_cmp_o_f32_e64 s0, v8, v8
	s_and_b32 s1, vcc_lo, s0
	s_and_saveexec_b32 s0, s1
	s_cbranch_execz .LBB203_171
; %bb.168:
	s_mov_b32 s1, exec_lo
	s_waitcnt vmcnt(0)
	v_cmpx_o_f32_e32 v19, v19
; %bb.169:
	v_cmp_lt_f32_e32 vcc_lo, v19, v8
	v_cndmask_b32_e32 v19, v8, v19, vcc_lo
; %bb.170:
	s_or_b32 exec_lo, exec_lo, s1
	v_mov_b32_e32 v8, v19
.LBB203_171:
	s_or_b32 exec_lo, exec_lo, s0
	v_cmp_gt_u32_e32 vcc_lo, s18, v32
	v_cmp_o_f32_e64 s0, v8, v8
	s_and_b32 s1, vcc_lo, s0
	s_and_saveexec_b32 s0, s1
	s_cbranch_execz .LBB203_175
; %bb.172:
	s_mov_b32 s1, exec_lo
	s_waitcnt vmcnt(0)
	v_cmpx_o_f32_e32 v18, v18
; %bb.173:
	v_cmp_lt_f32_e32 vcc_lo, v18, v8
	v_cndmask_b32_e32 v18, v8, v18, vcc_lo
; %bb.174:
	s_or_b32 exec_lo, exec_lo, s1
	v_mov_b32_e32 v8, v18
.LBB203_175:
	;; [unrolled: 17-line block ×16, first 2 shown]
	s_or_b32 exec_lo, exec_lo, s0
	v_mov_b32_dpp v1, v8 quad_perm:[1,0,3,2] row_mask:0xf bank_mask:0xf
	s_mov_b32 s0, exec_lo
	v_cmpx_o_f32_e32 v1, v1
	s_xor_b32 s0, exec_lo, s0
	s_cbranch_execz .LBB203_235
; %bb.232:
	s_mov_b32 s1, exec_lo
	v_cmpx_o_f32_e32 v8, v8
; %bb.233:
	v_cmp_lt_f32_e32 vcc_lo, v8, v1
	v_cndmask_b32_e32 v8, v1, v8, vcc_lo
; %bb.234:
	s_or_b32 exec_lo, exec_lo, s1
	v_mov_b32_e32 v1, v8
.LBB203_235:
	s_or_b32 exec_lo, exec_lo, s0
	v_mov_b32_dpp v2, v1 quad_perm:[2,3,0,1] row_mask:0xf bank_mask:0xf
	s_mov_b32 s0, exec_lo
	v_cmpx_o_f32_e32 v2, v2
	s_cbranch_execz .LBB203_239
; %bb.236:
	s_mov_b32 s1, exec_lo
	v_cmpx_o_f32_e32 v1, v1
; %bb.237:
	v_cmp_lt_f32_e32 vcc_lo, v1, v2
	v_cndmask_b32_e32 v1, v2, v1, vcc_lo
; %bb.238:
	s_or_b32 exec_lo, exec_lo, s1
	v_mov_b32_e32 v2, v1
.LBB203_239:
	s_or_b32 exec_lo, exec_lo, s0
	v_mov_b32_dpp v1, v2 row_ror:4 row_mask:0xf bank_mask:0xf
	s_mov_b32 s0, exec_lo
	v_cmpx_o_f32_e32 v1, v1
	s_cbranch_execz .LBB203_243
; %bb.240:
	s_mov_b32 s1, exec_lo
	v_cmpx_o_f32_e32 v2, v2
; %bb.241:
	v_cmp_lt_f32_e32 vcc_lo, v2, v1
	v_cndmask_b32_e32 v2, v1, v2, vcc_lo
; %bb.242:
	s_or_b32 exec_lo, exec_lo, s1
	v_mov_b32_e32 v1, v2
.LBB203_243:
	s_or_b32 exec_lo, exec_lo, s0
	v_mov_b32_dpp v2, v1 row_ror:8 row_mask:0xf bank_mask:0xf
	s_mov_b32 s0, exec_lo
	v_cmpx_o_f32_e32 v2, v2
	s_cbranch_execz .LBB203_247
; %bb.244:
	s_mov_b32 s1, exec_lo
	v_cmpx_o_f32_e32 v1, v1
; %bb.245:
	v_cmp_lt_f32_e32 vcc_lo, v1, v2
	v_cndmask_b32_e32 v1, v2, v1, vcc_lo
; %bb.246:
	s_or_b32 exec_lo, exec_lo, s1
	v_mov_b32_e32 v2, v1
.LBB203_247:
	s_or_b32 exec_lo, exec_lo, s0
	ds_swizzle_b32 v1, v2 offset:swizzle(BROADCAST,32,15)
	s_mov_b32 s0, exec_lo
	s_waitcnt lgkmcnt(0)
	v_cmpx_o_f32_e32 v1, v1
	s_cbranch_execz .LBB203_251
; %bb.248:
	s_mov_b32 s1, exec_lo
	v_cmpx_o_f32_e32 v2, v2
; %bb.249:
	v_cmp_lt_f32_e32 vcc_lo, v2, v1
	v_cndmask_b32_e32 v2, v1, v2, vcc_lo
; %bb.250:
	s_or_b32 exec_lo, exec_lo, s1
	v_mov_b32_e32 v1, v2
.LBB203_251:
	s_or_b32 exec_lo, exec_lo, s0
	v_mov_b32_e32 v2, 0
	s_mov_b32 s0, exec_lo
	ds_bpermute_b32 v1, v2, v1 offset:124
	v_mbcnt_lo_u32_b32 v2, -1, 0
	v_cmpx_eq_u32_e32 0, v2
	s_cbranch_execz .LBB203_253
; %bb.252:
	s_waitcnt vmcnt(0)
	v_lshrrev_b32_e32 v3, 3, v0
	v_and_b32_e32 v3, 28, v3
	s_waitcnt lgkmcnt(0)
	ds_write_b32 v3, v1
.LBB203_253:
	s_or_b32 exec_lo, exec_lo, s0
	s_mov_b32 s0, exec_lo
	s_waitcnt vmcnt(0) lgkmcnt(0)
	s_barrier
	buffer_gl0_inv
	v_cmpx_gt_u32_e32 32, v0
	s_cbranch_execz .LBB203_267
; %bb.254:
	v_and_b32_e32 v3, 7, v2
	s_mov_b32 s1, exec_lo
	v_lshlrev_b32_e32 v1, 2, v3
	v_cmp_ne_u32_e32 vcc_lo, 7, v3
	ds_read_b32 v1, v1
	v_add_co_ci_u32_e64 v4, null, 0, v2, vcc_lo
	v_lshlrev_b32_e32 v4, 2, v4
	s_waitcnt lgkmcnt(0)
	ds_bpermute_b32 v4, v4, v1
	v_cmpx_o_f32_e32 v1, v1
	s_cbranch_execz .LBB203_258
; %bb.255:
	s_mov_b32 s14, exec_lo
	s_waitcnt lgkmcnt(0)
	v_cmpx_o_f32_e32 v4, v4
; %bb.256:
	v_cmp_gt_f32_e32 vcc_lo, v1, v4
	v_cndmask_b32_e32 v4, v1, v4, vcc_lo
; %bb.257:
	s_or_b32 exec_lo, exec_lo, s14
	v_mov_b32_e32 v1, v4
.LBB203_258:
	s_or_b32 exec_lo, exec_lo, s1
	v_cmp_gt_u32_e32 vcc_lo, 6, v3
	s_mov_b32 s1, exec_lo
	v_cndmask_b32_e64 v3, 0, 2, vcc_lo
	v_add_lshl_u32 v3, v3, v2, 2
	v_lshlrev_b32_e32 v2, 2, v2
	ds_bpermute_b32 v3, v3, v1
	v_cmpx_o_f32_e32 v1, v1
	s_cbranch_execz .LBB203_262
; %bb.259:
	s_mov_b32 s14, exec_lo
	s_waitcnt lgkmcnt(0)
	v_cmpx_o_f32_e32 v3, v3
; %bb.260:
	v_cmp_gt_f32_e32 vcc_lo, v1, v3
	v_cndmask_b32_e32 v3, v1, v3, vcc_lo
; %bb.261:
	s_or_b32 exec_lo, exec_lo, s14
	v_mov_b32_e32 v1, v3
.LBB203_262:
	s_or_b32 exec_lo, exec_lo, s1
	v_or_b32_e32 v2, 16, v2
	s_mov_b32 s1, exec_lo
	ds_bpermute_b32 v2, v2, v1
	v_cmpx_o_f32_e32 v1, v1
	s_cbranch_execz .LBB203_266
; %bb.263:
	s_mov_b32 s14, exec_lo
	s_waitcnt lgkmcnt(0)
	v_cmpx_o_f32_e32 v2, v2
; %bb.264:
	v_cmp_gt_f32_e32 vcc_lo, v1, v2
	v_cndmask_b32_e32 v2, v1, v2, vcc_lo
; %bb.265:
	s_or_b32 exec_lo, exec_lo, s14
	v_mov_b32_e32 v1, v2
.LBB203_266:
	s_or_b32 exec_lo, exec_lo, s1
.LBB203_267:
	s_or_b32 exec_lo, exec_lo, s0
	s_branch .LBB203_366
.LBB203_268:
	s_sub_i32 s1, s2, s4
	s_mov_b32 s14, exec_lo
                                        ; implicit-def: $vgpr5
	v_cmpx_gt_u32_e64 s1, v0
	s_cbranch_execz .LBB203_278
; %bb.269:
	v_add_co_u32 v1, s0, s4, v0
	s_waitcnt lgkmcnt(0)
	v_add_co_ci_u32_e64 v2, null, s5, 0, s0
	s_mov_b32 s4, exec_lo
	v_lshlrev_b64 v[3:4], 2, v[1:2]
	v_add_co_u32 v3, vcc_lo, s8, v3
	v_add_co_ci_u32_e64 v4, null, s9, v4, vcc_lo
	v_add_co_u32 v1, vcc_lo, 0x100, v1
	v_add_co_ci_u32_e64 v2, null, 0, v2, vcc_lo
	global_load_dword v5, v[3:4], off
	v_cmpx_gt_i64_e64 s[2:3], v[1:2]
	s_cbranch_execz .LBB203_277
; %bb.270:
	v_add_co_u32 v3, vcc_lo, 0x400, v3
	v_add_co_ci_u32_e64 v4, null, 0, v4, vcc_lo
	s_mov_b32 s5, 0
	s_inst_prefetch 0x1
	s_branch .LBB203_273
	.p2align	6
.LBB203_271:                            ;   in Loop: Header=BB203_273 Depth=1
	s_or_b32 exec_lo, exec_lo, s8
	v_mov_b32_e32 v5, v6
.LBB203_272:                            ;   in Loop: Header=BB203_273 Depth=1
	s_or_b32 exec_lo, exec_lo, s0
	v_add_co_u32 v1, vcc_lo, 0x100, v1
	v_add_co_ci_u32_e64 v2, null, 0, v2, vcc_lo
	v_add_co_u32 v3, s0, 0x400, v3
	v_add_co_ci_u32_e64 v4, null, 0, v4, s0
	v_cmp_le_i64_e32 vcc_lo, s[2:3], v[1:2]
	s_or_b32 s5, vcc_lo, s5
	s_andn2_b32 exec_lo, exec_lo, s5
	s_cbranch_execz .LBB203_276
.LBB203_273:                            ; =>This Inner Loop Header: Depth=1
	s_mov_b32 s0, exec_lo
	s_waitcnt vmcnt(0)
	v_cmpx_o_f32_e32 v5, v5
	s_cbranch_execz .LBB203_272
; %bb.274:                              ;   in Loop: Header=BB203_273 Depth=1
	global_load_dword v6, v[3:4], off
	s_mov_b32 s8, exec_lo
	s_waitcnt vmcnt(0)
	v_cmpx_o_f32_e32 v6, v6
	s_cbranch_execz .LBB203_271
; %bb.275:                              ;   in Loop: Header=BB203_273 Depth=1
	v_cmp_lt_f32_e32 vcc_lo, v6, v5
	v_cndmask_b32_e32 v6, v5, v6, vcc_lo
	s_branch .LBB203_271
.LBB203_276:
	s_inst_prefetch 0x2
	s_or_b32 exec_lo, exec_lo, s5
.LBB203_277:
	s_or_b32 exec_lo, exec_lo, s4
.LBB203_278:
	s_or_b32 exec_lo, exec_lo, s14
	s_waitcnt lgkmcnt(1)
	v_lshrrev_b32_e32 v3, 5, v0
	s_waitcnt lgkmcnt(0)
	v_mbcnt_lo_u32_b32 v2, -1, 0
	s_cmpk_lt_u32 s1, 0x100
	s_mov_b32 s0, -1
                                        ; implicit-def: $vgpr1
	s_cbranch_scc0 .LBB203_328
; %bb.279:
	v_cmp_ne_u32_e32 vcc_lo, 31, v2
	v_add_co_ci_u32_e64 v1, null, 0, v2, vcc_lo
	v_lshlrev_b32_e32 v1, 2, v1
	s_waitcnt vmcnt(0)
	ds_bpermute_b32 v6, v1, v5
	v_and_b32_e32 v1, 0xe0, v0
	v_sub_nc_u32_e64 v4, s1, v1 clamp
	v_add_nc_u32_e32 v1, 1, v2
	v_cmp_lt_u32_e32 vcc_lo, v1, v4
	v_mov_b32_e32 v1, v5
	s_and_saveexec_b32 s0, vcc_lo
	s_cbranch_execz .LBB203_285
; %bb.280:
	v_mov_b32_e32 v1, v5
	s_mov_b32 s2, exec_lo
	v_cmpx_o_f32_e32 v5, v5
	s_cbranch_execz .LBB203_284
; %bb.281:
	s_mov_b32 s3, exec_lo
	s_waitcnt lgkmcnt(0)
	v_cmpx_o_f32_e32 v6, v6
; %bb.282:
	v_cmp_gt_f32_e32 vcc_lo, v5, v6
	v_cndmask_b32_e32 v6, v5, v6, vcc_lo
; %bb.283:
	s_or_b32 exec_lo, exec_lo, s3
	v_mov_b32_e32 v1, v6
.LBB203_284:
	s_or_b32 exec_lo, exec_lo, s2
.LBB203_285:
	s_or_b32 exec_lo, exec_lo, s0
	v_cmp_gt_u32_e32 vcc_lo, 30, v2
	v_add_nc_u32_e32 v7, 2, v2
	s_mov_b32 s0, exec_lo
	s_waitcnt lgkmcnt(0)
	v_cndmask_b32_e64 v6, 0, 2, vcc_lo
	v_add_lshl_u32 v6, v6, v2, 2
	ds_bpermute_b32 v6, v6, v1
	v_cmpx_lt_u32_e64 v7, v4
	s_cbranch_execz .LBB203_291
; %bb.286:
	s_mov_b32 s2, exec_lo
	v_cmpx_o_f32_e32 v1, v1
	s_cbranch_execz .LBB203_290
; %bb.287:
	s_mov_b32 s3, exec_lo
	s_waitcnt lgkmcnt(0)
	v_cmpx_o_f32_e32 v6, v6
; %bb.288:
	v_cmp_gt_f32_e32 vcc_lo, v1, v6
	v_cndmask_b32_e32 v6, v1, v6, vcc_lo
; %bb.289:
	s_or_b32 exec_lo, exec_lo, s3
	v_mov_b32_e32 v1, v6
.LBB203_290:
	s_or_b32 exec_lo, exec_lo, s2
.LBB203_291:
	s_or_b32 exec_lo, exec_lo, s0
	v_cmp_gt_u32_e32 vcc_lo, 28, v2
	v_add_nc_u32_e32 v7, 4, v2
	s_mov_b32 s0, exec_lo
	s_waitcnt lgkmcnt(0)
	v_cndmask_b32_e64 v6, 0, 4, vcc_lo
	v_add_lshl_u32 v6, v6, v2, 2
	ds_bpermute_b32 v6, v6, v1
	v_cmpx_lt_u32_e64 v7, v4
	s_cbranch_execz .LBB203_297
; %bb.292:
	s_mov_b32 s2, exec_lo
	v_cmpx_o_f32_e32 v1, v1
	s_cbranch_execz .LBB203_296
; %bb.293:
	s_mov_b32 s3, exec_lo
	s_waitcnt lgkmcnt(0)
	v_cmpx_o_f32_e32 v6, v6
; %bb.294:
	v_cmp_gt_f32_e32 vcc_lo, v1, v6
	v_cndmask_b32_e32 v6, v1, v6, vcc_lo
; %bb.295:
	s_or_b32 exec_lo, exec_lo, s3
	v_mov_b32_e32 v1, v6
.LBB203_296:
	s_or_b32 exec_lo, exec_lo, s2
.LBB203_297:
	;; [unrolled: 27-line block ×3, first 2 shown]
	s_or_b32 exec_lo, exec_lo, s0
	s_waitcnt lgkmcnt(0)
	v_lshlrev_b32_e32 v6, 2, v2
	v_add_nc_u32_e32 v8, 16, v2
	v_cmp_o_f32_e64 s0, v1, v1
	v_or_b32_e32 v7, 64, v6
	v_cmp_lt_u32_e32 vcc_lo, v8, v4
	ds_bpermute_b32 v7, v7, v1
	s_and_b32 s2, vcc_lo, s0
	s_and_saveexec_b32 s0, s2
	s_cbranch_execz .LBB203_307
; %bb.304:
	s_mov_b32 s2, exec_lo
	s_waitcnt lgkmcnt(0)
	v_cmpx_o_f32_e32 v7, v7
; %bb.305:
	v_cmp_gt_f32_e32 vcc_lo, v1, v7
	v_cndmask_b32_e32 v7, v1, v7, vcc_lo
; %bb.306:
	s_or_b32 exec_lo, exec_lo, s2
	v_mov_b32_e32 v1, v7
.LBB203_307:
	s_or_b32 exec_lo, exec_lo, s0
	s_mov_b32 s0, exec_lo
	v_cmpx_eq_u32_e32 0, v2
; %bb.308:
	v_lshlrev_b32_e32 v4, 2, v3
	ds_write_b32 v4, v1
; %bb.309:
	s_or_b32 exec_lo, exec_lo, s0
	s_mov_b32 s2, exec_lo
	s_waitcnt lgkmcnt(0)
	s_barrier
	buffer_gl0_inv
	v_cmpx_gt_u32_e32 8, v0
	s_cbranch_execz .LBB203_327
; %bb.310:
	ds_read_b32 v1, v6
	v_and_b32_e32 v4, 7, v2
	s_add_i32 s1, s1, 31
	s_lshr_b32 s0, s1, 5
	s_mov_b32 s1, exec_lo
	v_cmp_ne_u32_e32 vcc_lo, 7, v4
	v_add_nc_u32_e32 v8, 1, v4
	v_add_co_ci_u32_e64 v7, null, 0, v2, vcc_lo
	v_lshlrev_b32_e32 v7, 2, v7
	s_waitcnt lgkmcnt(0)
	ds_bpermute_b32 v7, v7, v1
	v_cmpx_gt_u32_e64 s0, v8
	s_cbranch_execz .LBB203_316
; %bb.311:
	s_mov_b32 s3, exec_lo
	v_cmpx_o_f32_e32 v1, v1
	s_cbranch_execz .LBB203_315
; %bb.312:
	s_mov_b32 s4, exec_lo
	s_waitcnt lgkmcnt(0)
	v_cmpx_o_f32_e32 v7, v7
; %bb.313:
	v_cmp_gt_f32_e32 vcc_lo, v1, v7
	v_cndmask_b32_e32 v7, v1, v7, vcc_lo
; %bb.314:
	s_or_b32 exec_lo, exec_lo, s4
	v_mov_b32_e32 v1, v7
.LBB203_315:
	s_or_b32 exec_lo, exec_lo, s3
.LBB203_316:
	s_or_b32 exec_lo, exec_lo, s1
	v_cmp_gt_u32_e32 vcc_lo, 6, v4
	v_add_nc_u32_e32 v8, 2, v4
	s_mov_b32 s1, exec_lo
	s_waitcnt lgkmcnt(0)
	v_cndmask_b32_e64 v7, 0, 2, vcc_lo
	v_add_lshl_u32 v7, v7, v2, 2
	ds_bpermute_b32 v7, v7, v1
	v_cmpx_gt_u32_e64 s0, v8
	s_cbranch_execz .LBB203_322
; %bb.317:
	s_mov_b32 s3, exec_lo
	v_cmpx_o_f32_e32 v1, v1
	s_cbranch_execz .LBB203_321
; %bb.318:
	s_mov_b32 s4, exec_lo
	s_waitcnt lgkmcnt(0)
	v_cmpx_o_f32_e32 v7, v7
; %bb.319:
	v_cmp_gt_f32_e32 vcc_lo, v1, v7
	v_cndmask_b32_e32 v7, v1, v7, vcc_lo
; %bb.320:
	s_or_b32 exec_lo, exec_lo, s4
	v_mov_b32_e32 v1, v7
.LBB203_321:
	s_or_b32 exec_lo, exec_lo, s3
.LBB203_322:
	s_or_b32 exec_lo, exec_lo, s1
	v_or_b32_e32 v6, 16, v6
	v_add_nc_u32_e32 v4, 4, v4
	ds_bpermute_b32 v6, v6, v1
	v_cmp_gt_u32_e32 vcc_lo, s0, v4
	v_cmp_o_f32_e64 s0, v1, v1
	s_and_b32 s1, vcc_lo, s0
	s_and_saveexec_b32 s0, s1
	s_cbranch_execz .LBB203_326
; %bb.323:
	s_mov_b32 s1, exec_lo
	s_waitcnt lgkmcnt(0)
	v_cmpx_o_f32_e32 v6, v6
; %bb.324:
	v_cmp_gt_f32_e32 vcc_lo, v1, v6
	v_cndmask_b32_e32 v6, v1, v6, vcc_lo
; %bb.325:
	s_or_b32 exec_lo, exec_lo, s1
	v_mov_b32_e32 v1, v6
.LBB203_326:
	s_or_b32 exec_lo, exec_lo, s0
.LBB203_327:
	s_or_b32 exec_lo, exec_lo, s2
	s_mov_b32 s0, 0
.LBB203_328:
	s_and_b32 vcc_lo, exec_lo, s0
	s_cbranch_vccz .LBB203_366
; %bb.329:
	s_waitcnt vmcnt(0)
	v_mov_b32_dpp v1, v5 quad_perm:[1,0,3,2] row_mask:0xf bank_mask:0xf
	s_mov_b32 s0, exec_lo
	v_cmpx_o_f32_e32 v1, v1
	s_cbranch_execz .LBB203_333
; %bb.330:
	s_mov_b32 s1, exec_lo
	v_cmpx_o_f32_e32 v5, v5
; %bb.331:
	v_cmp_lt_f32_e32 vcc_lo, v5, v1
	v_cndmask_b32_e32 v5, v1, v5, vcc_lo
; %bb.332:
	s_or_b32 exec_lo, exec_lo, s1
	v_mov_b32_e32 v1, v5
.LBB203_333:
	s_or_b32 exec_lo, exec_lo, s0
	v_mov_b32_dpp v4, v1 quad_perm:[2,3,0,1] row_mask:0xf bank_mask:0xf
	s_mov_b32 s0, exec_lo
	v_cmpx_o_f32_e32 v4, v4
	s_cbranch_execz .LBB203_337
; %bb.334:
	s_mov_b32 s1, exec_lo
	v_cmpx_o_f32_e32 v1, v1
; %bb.335:
	v_cmp_lt_f32_e32 vcc_lo, v1, v4
	v_cndmask_b32_e32 v1, v4, v1, vcc_lo
; %bb.336:
	s_or_b32 exec_lo, exec_lo, s1
	v_mov_b32_e32 v4, v1
.LBB203_337:
	s_or_b32 exec_lo, exec_lo, s0
	v_mov_b32_dpp v1, v4 row_ror:4 row_mask:0xf bank_mask:0xf
	s_mov_b32 s0, exec_lo
	v_cmpx_o_f32_e32 v1, v1
	s_cbranch_execz .LBB203_341
; %bb.338:
	s_mov_b32 s1, exec_lo
	v_cmpx_o_f32_e32 v4, v4
; %bb.339:
	v_cmp_lt_f32_e32 vcc_lo, v4, v1
	v_cndmask_b32_e32 v4, v1, v4, vcc_lo
; %bb.340:
	s_or_b32 exec_lo, exec_lo, s1
	v_mov_b32_e32 v1, v4
.LBB203_341:
	s_or_b32 exec_lo, exec_lo, s0
	v_mov_b32_dpp v4, v1 row_ror:8 row_mask:0xf bank_mask:0xf
	s_mov_b32 s0, exec_lo
	v_cmpx_o_f32_e32 v4, v4
	s_cbranch_execz .LBB203_345
; %bb.342:
	s_mov_b32 s1, exec_lo
	v_cmpx_o_f32_e32 v1, v1
; %bb.343:
	v_cmp_lt_f32_e32 vcc_lo, v1, v4
	v_cndmask_b32_e32 v1, v4, v1, vcc_lo
; %bb.344:
	s_or_b32 exec_lo, exec_lo, s1
	v_mov_b32_e32 v4, v1
.LBB203_345:
	s_or_b32 exec_lo, exec_lo, s0
	ds_swizzle_b32 v1, v4 offset:swizzle(BROADCAST,32,15)
	s_mov_b32 s0, exec_lo
	s_waitcnt lgkmcnt(0)
	v_cmpx_o_f32_e32 v1, v1
	s_cbranch_execz .LBB203_349
; %bb.346:
	s_mov_b32 s1, exec_lo
	v_cmpx_o_f32_e32 v4, v4
; %bb.347:
	v_cmp_lt_f32_e32 vcc_lo, v4, v1
	v_cndmask_b32_e32 v4, v1, v4, vcc_lo
; %bb.348:
	s_or_b32 exec_lo, exec_lo, s1
	v_mov_b32_e32 v1, v4
.LBB203_349:
	s_or_b32 exec_lo, exec_lo, s0
	v_mov_b32_e32 v4, 0
	s_mov_b32 s0, exec_lo
	ds_bpermute_b32 v1, v4, v1 offset:124
	v_cmpx_eq_u32_e32 0, v2
	s_cbranch_execz .LBB203_351
; %bb.350:
	v_lshlrev_b32_e32 v3, 2, v3
	s_waitcnt lgkmcnt(0)
	ds_write_b32 v3, v1
.LBB203_351:
	s_or_b32 exec_lo, exec_lo, s0
	s_mov_b32 s0, exec_lo
	s_waitcnt lgkmcnt(0)
	s_barrier
	buffer_gl0_inv
	v_cmpx_gt_u32_e32 32, v0
	s_cbranch_execz .LBB203_365
; %bb.352:
	v_and_b32_e32 v3, 7, v2
	s_mov_b32 s1, exec_lo
	v_lshlrev_b32_e32 v1, 2, v3
	v_cmp_ne_u32_e32 vcc_lo, 7, v3
	ds_read_b32 v1, v1
	v_add_co_ci_u32_e64 v4, null, 0, v2, vcc_lo
	v_lshlrev_b32_e32 v4, 2, v4
	s_waitcnt lgkmcnt(0)
	ds_bpermute_b32 v4, v4, v1
	v_cmpx_o_f32_e32 v1, v1
	s_cbranch_execz .LBB203_356
; %bb.353:
	s_mov_b32 s2, exec_lo
	s_waitcnt lgkmcnt(0)
	v_cmpx_o_f32_e32 v4, v4
; %bb.354:
	v_cmp_gt_f32_e32 vcc_lo, v1, v4
	v_cndmask_b32_e32 v4, v1, v4, vcc_lo
; %bb.355:
	s_or_b32 exec_lo, exec_lo, s2
	v_mov_b32_e32 v1, v4
.LBB203_356:
	s_or_b32 exec_lo, exec_lo, s1
	v_cmp_gt_u32_e32 vcc_lo, 6, v3
	s_mov_b32 s1, exec_lo
	v_cndmask_b32_e64 v3, 0, 2, vcc_lo
	v_add_lshl_u32 v3, v3, v2, 2
	v_lshlrev_b32_e32 v2, 2, v2
	ds_bpermute_b32 v3, v3, v1
	v_cmpx_o_f32_e32 v1, v1
	s_cbranch_execz .LBB203_360
; %bb.357:
	s_mov_b32 s2, exec_lo
	s_waitcnt lgkmcnt(0)
	v_cmpx_o_f32_e32 v3, v3
; %bb.358:
	v_cmp_gt_f32_e32 vcc_lo, v1, v3
	v_cndmask_b32_e32 v3, v1, v3, vcc_lo
; %bb.359:
	s_or_b32 exec_lo, exec_lo, s2
	v_mov_b32_e32 v1, v3
.LBB203_360:
	s_or_b32 exec_lo, exec_lo, s1
	v_or_b32_e32 v2, 16, v2
	s_mov_b32 s1, exec_lo
	ds_bpermute_b32 v2, v2, v1
	v_cmpx_o_f32_e32 v1, v1
	s_cbranch_execz .LBB203_364
; %bb.361:
	s_mov_b32 s2, exec_lo
	s_waitcnt lgkmcnt(0)
	v_cmpx_o_f32_e32 v2, v2
; %bb.362:
	v_cmp_gt_f32_e32 vcc_lo, v1, v2
	v_cndmask_b32_e32 v2, v1, v2, vcc_lo
; %bb.363:
	s_or_b32 exec_lo, exec_lo, s2
	v_mov_b32_e32 v1, v2
.LBB203_364:
	s_or_b32 exec_lo, exec_lo, s1
.LBB203_365:
	s_or_b32 exec_lo, exec_lo, s0
.LBB203_366:
	s_mov_b32 s0, exec_lo
                                        ; implicit-def: $vgpr2
	v_cmpx_eq_u32_e32 0, v0
	s_cbranch_execz .LBB203_372
; %bb.367:
	v_cmp_u_f32_e64 s1, s16, s16
	s_waitcnt lgkmcnt(0)
	v_mov_b32_e32 v2, s16
	s_and_b32 vcc_lo, exec_lo, s1
	s_cbranch_vccnz .LBB203_371
; %bb.368:
	s_mov_b32 s1, exec_lo
	v_cmpx_o_f32_e32 v1, v1
; %bb.369:
	v_cmp_gt_f32_e32 vcc_lo, s16, v1
	v_cndmask_b32_e32 v1, s16, v1, vcc_lo
; %bb.370:
	s_or_b32 exec_lo, exec_lo, s1
	v_mov_b32_e32 v2, v1
.LBB203_371:
	s_or_b32 s17, s17, exec_lo
.LBB203_372:
	s_or_b32 exec_lo, exec_lo, s0
	s_and_saveexec_b32 s0, s17
	s_cbranch_execz .LBB203_374
.LBB203_373:
	s_lshl_b64 s[0:1], s[12:13], 2
	v_mov_b32_e32 v0, 0
	s_add_u32 s2, s10, s0
	s_addc_u32 s3, s11, s1
	s_lshl_b64 s[0:1], s[6:7], 2
	s_add_u32 s0, s2, s0
	s_addc_u32 s1, s3, s1
	s_waitcnt lgkmcnt(0)
	global_store_dword v0, v2, s[0:1]
.LBB203_374:
	s_endpgm
	.section	.rodata,"a",@progbits
	.p2align	6, 0x0
	.amdhsa_kernel _ZN7rocprim17ROCPRIM_400000_NS6detail17trampoline_kernelINS0_14default_configENS1_32segmented_reduce_config_selectorIfEEZNS1_21segmented_reduce_implIS3_PKfPfPKlfN6hipcub16HIPCUB_304000_NS6detail27convert_result_type_wrapperIS8_S9_N2at6native12_GLOBAL__N_19CustomMinEEEEE10hipError_tPvRmT0_T1_jT2_SQ_T4_T3_P12ihipStream_tbEUlT_E_NS1_11comp_targetILNS1_3genE8ELNS1_11target_archE1030ELNS1_3gpuE2ELNS1_3repE0EEENS1_30default_config_static_selectorELNS0_4arch9wavefront6targetE0EEEvSP_
		.amdhsa_group_segment_fixed_size 32
		.amdhsa_private_segment_fixed_size 0
		.amdhsa_kernarg_size 48
		.amdhsa_user_sgpr_count 6
		.amdhsa_user_sgpr_private_segment_buffer 1
		.amdhsa_user_sgpr_dispatch_ptr 0
		.amdhsa_user_sgpr_queue_ptr 0
		.amdhsa_user_sgpr_kernarg_segment_ptr 1
		.amdhsa_user_sgpr_dispatch_id 0
		.amdhsa_user_sgpr_flat_scratch_init 0
		.amdhsa_user_sgpr_private_segment_size 0
		.amdhsa_wavefront_size32 1
		.amdhsa_uses_dynamic_stack 0
		.amdhsa_system_sgpr_private_segment_wavefront_offset 0
		.amdhsa_system_sgpr_workgroup_id_x 1
		.amdhsa_system_sgpr_workgroup_id_y 0
		.amdhsa_system_sgpr_workgroup_id_z 0
		.amdhsa_system_sgpr_workgroup_info 0
		.amdhsa_system_vgpr_workitem_id 0
		.amdhsa_next_free_vgpr 33
		.amdhsa_next_free_sgpr 21
		.amdhsa_reserve_vcc 1
		.amdhsa_reserve_flat_scratch 0
		.amdhsa_float_round_mode_32 0
		.amdhsa_float_round_mode_16_64 0
		.amdhsa_float_denorm_mode_32 3
		.amdhsa_float_denorm_mode_16_64 3
		.amdhsa_dx10_clamp 1
		.amdhsa_ieee_mode 1
		.amdhsa_fp16_overflow 0
		.amdhsa_workgroup_processor_mode 1
		.amdhsa_memory_ordered 1
		.amdhsa_forward_progress 1
		.amdhsa_shared_vgpr_count 0
		.amdhsa_exception_fp_ieee_invalid_op 0
		.amdhsa_exception_fp_denorm_src 0
		.amdhsa_exception_fp_ieee_div_zero 0
		.amdhsa_exception_fp_ieee_overflow 0
		.amdhsa_exception_fp_ieee_underflow 0
		.amdhsa_exception_fp_ieee_inexact 0
		.amdhsa_exception_int_div_zero 0
	.end_amdhsa_kernel
	.section	.text._ZN7rocprim17ROCPRIM_400000_NS6detail17trampoline_kernelINS0_14default_configENS1_32segmented_reduce_config_selectorIfEEZNS1_21segmented_reduce_implIS3_PKfPfPKlfN6hipcub16HIPCUB_304000_NS6detail27convert_result_type_wrapperIS8_S9_N2at6native12_GLOBAL__N_19CustomMinEEEEE10hipError_tPvRmT0_T1_jT2_SQ_T4_T3_P12ihipStream_tbEUlT_E_NS1_11comp_targetILNS1_3genE8ELNS1_11target_archE1030ELNS1_3gpuE2ELNS1_3repE0EEENS1_30default_config_static_selectorELNS0_4arch9wavefront6targetE0EEEvSP_,"axG",@progbits,_ZN7rocprim17ROCPRIM_400000_NS6detail17trampoline_kernelINS0_14default_configENS1_32segmented_reduce_config_selectorIfEEZNS1_21segmented_reduce_implIS3_PKfPfPKlfN6hipcub16HIPCUB_304000_NS6detail27convert_result_type_wrapperIS8_S9_N2at6native12_GLOBAL__N_19CustomMinEEEEE10hipError_tPvRmT0_T1_jT2_SQ_T4_T3_P12ihipStream_tbEUlT_E_NS1_11comp_targetILNS1_3genE8ELNS1_11target_archE1030ELNS1_3gpuE2ELNS1_3repE0EEENS1_30default_config_static_selectorELNS0_4arch9wavefront6targetE0EEEvSP_,comdat
.Lfunc_end203:
	.size	_ZN7rocprim17ROCPRIM_400000_NS6detail17trampoline_kernelINS0_14default_configENS1_32segmented_reduce_config_selectorIfEEZNS1_21segmented_reduce_implIS3_PKfPfPKlfN6hipcub16HIPCUB_304000_NS6detail27convert_result_type_wrapperIS8_S9_N2at6native12_GLOBAL__N_19CustomMinEEEEE10hipError_tPvRmT0_T1_jT2_SQ_T4_T3_P12ihipStream_tbEUlT_E_NS1_11comp_targetILNS1_3genE8ELNS1_11target_archE1030ELNS1_3gpuE2ELNS1_3repE0EEENS1_30default_config_static_selectorELNS0_4arch9wavefront6targetE0EEEvSP_, .Lfunc_end203-_ZN7rocprim17ROCPRIM_400000_NS6detail17trampoline_kernelINS0_14default_configENS1_32segmented_reduce_config_selectorIfEEZNS1_21segmented_reduce_implIS3_PKfPfPKlfN6hipcub16HIPCUB_304000_NS6detail27convert_result_type_wrapperIS8_S9_N2at6native12_GLOBAL__N_19CustomMinEEEEE10hipError_tPvRmT0_T1_jT2_SQ_T4_T3_P12ihipStream_tbEUlT_E_NS1_11comp_targetILNS1_3genE8ELNS1_11target_archE1030ELNS1_3gpuE2ELNS1_3repE0EEENS1_30default_config_static_selectorELNS0_4arch9wavefront6targetE0EEEvSP_
                                        ; -- End function
	.set _ZN7rocprim17ROCPRIM_400000_NS6detail17trampoline_kernelINS0_14default_configENS1_32segmented_reduce_config_selectorIfEEZNS1_21segmented_reduce_implIS3_PKfPfPKlfN6hipcub16HIPCUB_304000_NS6detail27convert_result_type_wrapperIS8_S9_N2at6native12_GLOBAL__N_19CustomMinEEEEE10hipError_tPvRmT0_T1_jT2_SQ_T4_T3_P12ihipStream_tbEUlT_E_NS1_11comp_targetILNS1_3genE8ELNS1_11target_archE1030ELNS1_3gpuE2ELNS1_3repE0EEENS1_30default_config_static_selectorELNS0_4arch9wavefront6targetE0EEEvSP_.num_vgpr, 33
	.set _ZN7rocprim17ROCPRIM_400000_NS6detail17trampoline_kernelINS0_14default_configENS1_32segmented_reduce_config_selectorIfEEZNS1_21segmented_reduce_implIS3_PKfPfPKlfN6hipcub16HIPCUB_304000_NS6detail27convert_result_type_wrapperIS8_S9_N2at6native12_GLOBAL__N_19CustomMinEEEEE10hipError_tPvRmT0_T1_jT2_SQ_T4_T3_P12ihipStream_tbEUlT_E_NS1_11comp_targetILNS1_3genE8ELNS1_11target_archE1030ELNS1_3gpuE2ELNS1_3repE0EEENS1_30default_config_static_selectorELNS0_4arch9wavefront6targetE0EEEvSP_.num_agpr, 0
	.set _ZN7rocprim17ROCPRIM_400000_NS6detail17trampoline_kernelINS0_14default_configENS1_32segmented_reduce_config_selectorIfEEZNS1_21segmented_reduce_implIS3_PKfPfPKlfN6hipcub16HIPCUB_304000_NS6detail27convert_result_type_wrapperIS8_S9_N2at6native12_GLOBAL__N_19CustomMinEEEEE10hipError_tPvRmT0_T1_jT2_SQ_T4_T3_P12ihipStream_tbEUlT_E_NS1_11comp_targetILNS1_3genE8ELNS1_11target_archE1030ELNS1_3gpuE2ELNS1_3repE0EEENS1_30default_config_static_selectorELNS0_4arch9wavefront6targetE0EEEvSP_.numbered_sgpr, 21
	.set _ZN7rocprim17ROCPRIM_400000_NS6detail17trampoline_kernelINS0_14default_configENS1_32segmented_reduce_config_selectorIfEEZNS1_21segmented_reduce_implIS3_PKfPfPKlfN6hipcub16HIPCUB_304000_NS6detail27convert_result_type_wrapperIS8_S9_N2at6native12_GLOBAL__N_19CustomMinEEEEE10hipError_tPvRmT0_T1_jT2_SQ_T4_T3_P12ihipStream_tbEUlT_E_NS1_11comp_targetILNS1_3genE8ELNS1_11target_archE1030ELNS1_3gpuE2ELNS1_3repE0EEENS1_30default_config_static_selectorELNS0_4arch9wavefront6targetE0EEEvSP_.num_named_barrier, 0
	.set _ZN7rocprim17ROCPRIM_400000_NS6detail17trampoline_kernelINS0_14default_configENS1_32segmented_reduce_config_selectorIfEEZNS1_21segmented_reduce_implIS3_PKfPfPKlfN6hipcub16HIPCUB_304000_NS6detail27convert_result_type_wrapperIS8_S9_N2at6native12_GLOBAL__N_19CustomMinEEEEE10hipError_tPvRmT0_T1_jT2_SQ_T4_T3_P12ihipStream_tbEUlT_E_NS1_11comp_targetILNS1_3genE8ELNS1_11target_archE1030ELNS1_3gpuE2ELNS1_3repE0EEENS1_30default_config_static_selectorELNS0_4arch9wavefront6targetE0EEEvSP_.private_seg_size, 0
	.set _ZN7rocprim17ROCPRIM_400000_NS6detail17trampoline_kernelINS0_14default_configENS1_32segmented_reduce_config_selectorIfEEZNS1_21segmented_reduce_implIS3_PKfPfPKlfN6hipcub16HIPCUB_304000_NS6detail27convert_result_type_wrapperIS8_S9_N2at6native12_GLOBAL__N_19CustomMinEEEEE10hipError_tPvRmT0_T1_jT2_SQ_T4_T3_P12ihipStream_tbEUlT_E_NS1_11comp_targetILNS1_3genE8ELNS1_11target_archE1030ELNS1_3gpuE2ELNS1_3repE0EEENS1_30default_config_static_selectorELNS0_4arch9wavefront6targetE0EEEvSP_.uses_vcc, 1
	.set _ZN7rocprim17ROCPRIM_400000_NS6detail17trampoline_kernelINS0_14default_configENS1_32segmented_reduce_config_selectorIfEEZNS1_21segmented_reduce_implIS3_PKfPfPKlfN6hipcub16HIPCUB_304000_NS6detail27convert_result_type_wrapperIS8_S9_N2at6native12_GLOBAL__N_19CustomMinEEEEE10hipError_tPvRmT0_T1_jT2_SQ_T4_T3_P12ihipStream_tbEUlT_E_NS1_11comp_targetILNS1_3genE8ELNS1_11target_archE1030ELNS1_3gpuE2ELNS1_3repE0EEENS1_30default_config_static_selectorELNS0_4arch9wavefront6targetE0EEEvSP_.uses_flat_scratch, 0
	.set _ZN7rocprim17ROCPRIM_400000_NS6detail17trampoline_kernelINS0_14default_configENS1_32segmented_reduce_config_selectorIfEEZNS1_21segmented_reduce_implIS3_PKfPfPKlfN6hipcub16HIPCUB_304000_NS6detail27convert_result_type_wrapperIS8_S9_N2at6native12_GLOBAL__N_19CustomMinEEEEE10hipError_tPvRmT0_T1_jT2_SQ_T4_T3_P12ihipStream_tbEUlT_E_NS1_11comp_targetILNS1_3genE8ELNS1_11target_archE1030ELNS1_3gpuE2ELNS1_3repE0EEENS1_30default_config_static_selectorELNS0_4arch9wavefront6targetE0EEEvSP_.has_dyn_sized_stack, 0
	.set _ZN7rocprim17ROCPRIM_400000_NS6detail17trampoline_kernelINS0_14default_configENS1_32segmented_reduce_config_selectorIfEEZNS1_21segmented_reduce_implIS3_PKfPfPKlfN6hipcub16HIPCUB_304000_NS6detail27convert_result_type_wrapperIS8_S9_N2at6native12_GLOBAL__N_19CustomMinEEEEE10hipError_tPvRmT0_T1_jT2_SQ_T4_T3_P12ihipStream_tbEUlT_E_NS1_11comp_targetILNS1_3genE8ELNS1_11target_archE1030ELNS1_3gpuE2ELNS1_3repE0EEENS1_30default_config_static_selectorELNS0_4arch9wavefront6targetE0EEEvSP_.has_recursion, 0
	.set _ZN7rocprim17ROCPRIM_400000_NS6detail17trampoline_kernelINS0_14default_configENS1_32segmented_reduce_config_selectorIfEEZNS1_21segmented_reduce_implIS3_PKfPfPKlfN6hipcub16HIPCUB_304000_NS6detail27convert_result_type_wrapperIS8_S9_N2at6native12_GLOBAL__N_19CustomMinEEEEE10hipError_tPvRmT0_T1_jT2_SQ_T4_T3_P12ihipStream_tbEUlT_E_NS1_11comp_targetILNS1_3genE8ELNS1_11target_archE1030ELNS1_3gpuE2ELNS1_3repE0EEENS1_30default_config_static_selectorELNS0_4arch9wavefront6targetE0EEEvSP_.has_indirect_call, 0
	.section	.AMDGPU.csdata,"",@progbits
; Kernel info:
; codeLenInByte = 6484
; TotalNumSgprs: 23
; NumVgprs: 33
; ScratchSize: 0
; MemoryBound: 0
; FloatMode: 240
; IeeeMode: 1
; LDSByteSize: 32 bytes/workgroup (compile time only)
; SGPRBlocks: 0
; VGPRBlocks: 4
; NumSGPRsForWavesPerEU: 23
; NumVGPRsForWavesPerEU: 33
; Occupancy: 16
; WaveLimiterHint : 1
; COMPUTE_PGM_RSRC2:SCRATCH_EN: 0
; COMPUTE_PGM_RSRC2:USER_SGPR: 6
; COMPUTE_PGM_RSRC2:TRAP_HANDLER: 0
; COMPUTE_PGM_RSRC2:TGID_X_EN: 1
; COMPUTE_PGM_RSRC2:TGID_Y_EN: 0
; COMPUTE_PGM_RSRC2:TGID_Z_EN: 0
; COMPUTE_PGM_RSRC2:TIDIG_COMP_CNT: 0
	.section	.text._ZN7rocprim17ROCPRIM_400000_NS6detail17trampoline_kernelINS0_14default_configENS1_32segmented_reduce_config_selectorIfEEZNS1_21segmented_reduce_implIS3_PKfPfPKlfN6hipcub16HIPCUB_304000_NS6detail27convert_result_type_wrapperIS8_S9_N2at6native12_GLOBAL__N_110CustomProdEEEEE10hipError_tPvRmT0_T1_jT2_SQ_T4_T3_P12ihipStream_tbEUlT_E_NS1_11comp_targetILNS1_3genE0ELNS1_11target_archE4294967295ELNS1_3gpuE0ELNS1_3repE0EEENS1_30default_config_static_selectorELNS0_4arch9wavefront6targetE0EEEvSP_,"axG",@progbits,_ZN7rocprim17ROCPRIM_400000_NS6detail17trampoline_kernelINS0_14default_configENS1_32segmented_reduce_config_selectorIfEEZNS1_21segmented_reduce_implIS3_PKfPfPKlfN6hipcub16HIPCUB_304000_NS6detail27convert_result_type_wrapperIS8_S9_N2at6native12_GLOBAL__N_110CustomProdEEEEE10hipError_tPvRmT0_T1_jT2_SQ_T4_T3_P12ihipStream_tbEUlT_E_NS1_11comp_targetILNS1_3genE0ELNS1_11target_archE4294967295ELNS1_3gpuE0ELNS1_3repE0EEENS1_30default_config_static_selectorELNS0_4arch9wavefront6targetE0EEEvSP_,comdat
	.globl	_ZN7rocprim17ROCPRIM_400000_NS6detail17trampoline_kernelINS0_14default_configENS1_32segmented_reduce_config_selectorIfEEZNS1_21segmented_reduce_implIS3_PKfPfPKlfN6hipcub16HIPCUB_304000_NS6detail27convert_result_type_wrapperIS8_S9_N2at6native12_GLOBAL__N_110CustomProdEEEEE10hipError_tPvRmT0_T1_jT2_SQ_T4_T3_P12ihipStream_tbEUlT_E_NS1_11comp_targetILNS1_3genE0ELNS1_11target_archE4294967295ELNS1_3gpuE0ELNS1_3repE0EEENS1_30default_config_static_selectorELNS0_4arch9wavefront6targetE0EEEvSP_ ; -- Begin function _ZN7rocprim17ROCPRIM_400000_NS6detail17trampoline_kernelINS0_14default_configENS1_32segmented_reduce_config_selectorIfEEZNS1_21segmented_reduce_implIS3_PKfPfPKlfN6hipcub16HIPCUB_304000_NS6detail27convert_result_type_wrapperIS8_S9_N2at6native12_GLOBAL__N_110CustomProdEEEEE10hipError_tPvRmT0_T1_jT2_SQ_T4_T3_P12ihipStream_tbEUlT_E_NS1_11comp_targetILNS1_3genE0ELNS1_11target_archE4294967295ELNS1_3gpuE0ELNS1_3repE0EEENS1_30default_config_static_selectorELNS0_4arch9wavefront6targetE0EEEvSP_
	.p2align	8
	.type	_ZN7rocprim17ROCPRIM_400000_NS6detail17trampoline_kernelINS0_14default_configENS1_32segmented_reduce_config_selectorIfEEZNS1_21segmented_reduce_implIS3_PKfPfPKlfN6hipcub16HIPCUB_304000_NS6detail27convert_result_type_wrapperIS8_S9_N2at6native12_GLOBAL__N_110CustomProdEEEEE10hipError_tPvRmT0_T1_jT2_SQ_T4_T3_P12ihipStream_tbEUlT_E_NS1_11comp_targetILNS1_3genE0ELNS1_11target_archE4294967295ELNS1_3gpuE0ELNS1_3repE0EEENS1_30default_config_static_selectorELNS0_4arch9wavefront6targetE0EEEvSP_,@function
_ZN7rocprim17ROCPRIM_400000_NS6detail17trampoline_kernelINS0_14default_configENS1_32segmented_reduce_config_selectorIfEEZNS1_21segmented_reduce_implIS3_PKfPfPKlfN6hipcub16HIPCUB_304000_NS6detail27convert_result_type_wrapperIS8_S9_N2at6native12_GLOBAL__N_110CustomProdEEEEE10hipError_tPvRmT0_T1_jT2_SQ_T4_T3_P12ihipStream_tbEUlT_E_NS1_11comp_targetILNS1_3genE0ELNS1_11target_archE4294967295ELNS1_3gpuE0ELNS1_3repE0EEENS1_30default_config_static_selectorELNS0_4arch9wavefront6targetE0EEEvSP_: ; @_ZN7rocprim17ROCPRIM_400000_NS6detail17trampoline_kernelINS0_14default_configENS1_32segmented_reduce_config_selectorIfEEZNS1_21segmented_reduce_implIS3_PKfPfPKlfN6hipcub16HIPCUB_304000_NS6detail27convert_result_type_wrapperIS8_S9_N2at6native12_GLOBAL__N_110CustomProdEEEEE10hipError_tPvRmT0_T1_jT2_SQ_T4_T3_P12ihipStream_tbEUlT_E_NS1_11comp_targetILNS1_3genE0ELNS1_11target_archE4294967295ELNS1_3gpuE0ELNS1_3repE0EEENS1_30default_config_static_selectorELNS0_4arch9wavefront6targetE0EEEvSP_
; %bb.0:
	.section	.rodata,"a",@progbits
	.p2align	6, 0x0
	.amdhsa_kernel _ZN7rocprim17ROCPRIM_400000_NS6detail17trampoline_kernelINS0_14default_configENS1_32segmented_reduce_config_selectorIfEEZNS1_21segmented_reduce_implIS3_PKfPfPKlfN6hipcub16HIPCUB_304000_NS6detail27convert_result_type_wrapperIS8_S9_N2at6native12_GLOBAL__N_110CustomProdEEEEE10hipError_tPvRmT0_T1_jT2_SQ_T4_T3_P12ihipStream_tbEUlT_E_NS1_11comp_targetILNS1_3genE0ELNS1_11target_archE4294967295ELNS1_3gpuE0ELNS1_3repE0EEENS1_30default_config_static_selectorELNS0_4arch9wavefront6targetE0EEEvSP_
		.amdhsa_group_segment_fixed_size 0
		.amdhsa_private_segment_fixed_size 0
		.amdhsa_kernarg_size 48
		.amdhsa_user_sgpr_count 6
		.amdhsa_user_sgpr_private_segment_buffer 1
		.amdhsa_user_sgpr_dispatch_ptr 0
		.amdhsa_user_sgpr_queue_ptr 0
		.amdhsa_user_sgpr_kernarg_segment_ptr 1
		.amdhsa_user_sgpr_dispatch_id 0
		.amdhsa_user_sgpr_flat_scratch_init 0
		.amdhsa_user_sgpr_private_segment_size 0
		.amdhsa_wavefront_size32 1
		.amdhsa_uses_dynamic_stack 0
		.amdhsa_system_sgpr_private_segment_wavefront_offset 0
		.amdhsa_system_sgpr_workgroup_id_x 1
		.amdhsa_system_sgpr_workgroup_id_y 0
		.amdhsa_system_sgpr_workgroup_id_z 0
		.amdhsa_system_sgpr_workgroup_info 0
		.amdhsa_system_vgpr_workitem_id 0
		.amdhsa_next_free_vgpr 1
		.amdhsa_next_free_sgpr 1
		.amdhsa_reserve_vcc 0
		.amdhsa_reserve_flat_scratch 0
		.amdhsa_float_round_mode_32 0
		.amdhsa_float_round_mode_16_64 0
		.amdhsa_float_denorm_mode_32 3
		.amdhsa_float_denorm_mode_16_64 3
		.amdhsa_dx10_clamp 1
		.amdhsa_ieee_mode 1
		.amdhsa_fp16_overflow 0
		.amdhsa_workgroup_processor_mode 1
		.amdhsa_memory_ordered 1
		.amdhsa_forward_progress 1
		.amdhsa_shared_vgpr_count 0
		.amdhsa_exception_fp_ieee_invalid_op 0
		.amdhsa_exception_fp_denorm_src 0
		.amdhsa_exception_fp_ieee_div_zero 0
		.amdhsa_exception_fp_ieee_overflow 0
		.amdhsa_exception_fp_ieee_underflow 0
		.amdhsa_exception_fp_ieee_inexact 0
		.amdhsa_exception_int_div_zero 0
	.end_amdhsa_kernel
	.section	.text._ZN7rocprim17ROCPRIM_400000_NS6detail17trampoline_kernelINS0_14default_configENS1_32segmented_reduce_config_selectorIfEEZNS1_21segmented_reduce_implIS3_PKfPfPKlfN6hipcub16HIPCUB_304000_NS6detail27convert_result_type_wrapperIS8_S9_N2at6native12_GLOBAL__N_110CustomProdEEEEE10hipError_tPvRmT0_T1_jT2_SQ_T4_T3_P12ihipStream_tbEUlT_E_NS1_11comp_targetILNS1_3genE0ELNS1_11target_archE4294967295ELNS1_3gpuE0ELNS1_3repE0EEENS1_30default_config_static_selectorELNS0_4arch9wavefront6targetE0EEEvSP_,"axG",@progbits,_ZN7rocprim17ROCPRIM_400000_NS6detail17trampoline_kernelINS0_14default_configENS1_32segmented_reduce_config_selectorIfEEZNS1_21segmented_reduce_implIS3_PKfPfPKlfN6hipcub16HIPCUB_304000_NS6detail27convert_result_type_wrapperIS8_S9_N2at6native12_GLOBAL__N_110CustomProdEEEEE10hipError_tPvRmT0_T1_jT2_SQ_T4_T3_P12ihipStream_tbEUlT_E_NS1_11comp_targetILNS1_3genE0ELNS1_11target_archE4294967295ELNS1_3gpuE0ELNS1_3repE0EEENS1_30default_config_static_selectorELNS0_4arch9wavefront6targetE0EEEvSP_,comdat
.Lfunc_end204:
	.size	_ZN7rocprim17ROCPRIM_400000_NS6detail17trampoline_kernelINS0_14default_configENS1_32segmented_reduce_config_selectorIfEEZNS1_21segmented_reduce_implIS3_PKfPfPKlfN6hipcub16HIPCUB_304000_NS6detail27convert_result_type_wrapperIS8_S9_N2at6native12_GLOBAL__N_110CustomProdEEEEE10hipError_tPvRmT0_T1_jT2_SQ_T4_T3_P12ihipStream_tbEUlT_E_NS1_11comp_targetILNS1_3genE0ELNS1_11target_archE4294967295ELNS1_3gpuE0ELNS1_3repE0EEENS1_30default_config_static_selectorELNS0_4arch9wavefront6targetE0EEEvSP_, .Lfunc_end204-_ZN7rocprim17ROCPRIM_400000_NS6detail17trampoline_kernelINS0_14default_configENS1_32segmented_reduce_config_selectorIfEEZNS1_21segmented_reduce_implIS3_PKfPfPKlfN6hipcub16HIPCUB_304000_NS6detail27convert_result_type_wrapperIS8_S9_N2at6native12_GLOBAL__N_110CustomProdEEEEE10hipError_tPvRmT0_T1_jT2_SQ_T4_T3_P12ihipStream_tbEUlT_E_NS1_11comp_targetILNS1_3genE0ELNS1_11target_archE4294967295ELNS1_3gpuE0ELNS1_3repE0EEENS1_30default_config_static_selectorELNS0_4arch9wavefront6targetE0EEEvSP_
                                        ; -- End function
	.set _ZN7rocprim17ROCPRIM_400000_NS6detail17trampoline_kernelINS0_14default_configENS1_32segmented_reduce_config_selectorIfEEZNS1_21segmented_reduce_implIS3_PKfPfPKlfN6hipcub16HIPCUB_304000_NS6detail27convert_result_type_wrapperIS8_S9_N2at6native12_GLOBAL__N_110CustomProdEEEEE10hipError_tPvRmT0_T1_jT2_SQ_T4_T3_P12ihipStream_tbEUlT_E_NS1_11comp_targetILNS1_3genE0ELNS1_11target_archE4294967295ELNS1_3gpuE0ELNS1_3repE0EEENS1_30default_config_static_selectorELNS0_4arch9wavefront6targetE0EEEvSP_.num_vgpr, 0
	.set _ZN7rocprim17ROCPRIM_400000_NS6detail17trampoline_kernelINS0_14default_configENS1_32segmented_reduce_config_selectorIfEEZNS1_21segmented_reduce_implIS3_PKfPfPKlfN6hipcub16HIPCUB_304000_NS6detail27convert_result_type_wrapperIS8_S9_N2at6native12_GLOBAL__N_110CustomProdEEEEE10hipError_tPvRmT0_T1_jT2_SQ_T4_T3_P12ihipStream_tbEUlT_E_NS1_11comp_targetILNS1_3genE0ELNS1_11target_archE4294967295ELNS1_3gpuE0ELNS1_3repE0EEENS1_30default_config_static_selectorELNS0_4arch9wavefront6targetE0EEEvSP_.num_agpr, 0
	.set _ZN7rocprim17ROCPRIM_400000_NS6detail17trampoline_kernelINS0_14default_configENS1_32segmented_reduce_config_selectorIfEEZNS1_21segmented_reduce_implIS3_PKfPfPKlfN6hipcub16HIPCUB_304000_NS6detail27convert_result_type_wrapperIS8_S9_N2at6native12_GLOBAL__N_110CustomProdEEEEE10hipError_tPvRmT0_T1_jT2_SQ_T4_T3_P12ihipStream_tbEUlT_E_NS1_11comp_targetILNS1_3genE0ELNS1_11target_archE4294967295ELNS1_3gpuE0ELNS1_3repE0EEENS1_30default_config_static_selectorELNS0_4arch9wavefront6targetE0EEEvSP_.numbered_sgpr, 0
	.set _ZN7rocprim17ROCPRIM_400000_NS6detail17trampoline_kernelINS0_14default_configENS1_32segmented_reduce_config_selectorIfEEZNS1_21segmented_reduce_implIS3_PKfPfPKlfN6hipcub16HIPCUB_304000_NS6detail27convert_result_type_wrapperIS8_S9_N2at6native12_GLOBAL__N_110CustomProdEEEEE10hipError_tPvRmT0_T1_jT2_SQ_T4_T3_P12ihipStream_tbEUlT_E_NS1_11comp_targetILNS1_3genE0ELNS1_11target_archE4294967295ELNS1_3gpuE0ELNS1_3repE0EEENS1_30default_config_static_selectorELNS0_4arch9wavefront6targetE0EEEvSP_.num_named_barrier, 0
	.set _ZN7rocprim17ROCPRIM_400000_NS6detail17trampoline_kernelINS0_14default_configENS1_32segmented_reduce_config_selectorIfEEZNS1_21segmented_reduce_implIS3_PKfPfPKlfN6hipcub16HIPCUB_304000_NS6detail27convert_result_type_wrapperIS8_S9_N2at6native12_GLOBAL__N_110CustomProdEEEEE10hipError_tPvRmT0_T1_jT2_SQ_T4_T3_P12ihipStream_tbEUlT_E_NS1_11comp_targetILNS1_3genE0ELNS1_11target_archE4294967295ELNS1_3gpuE0ELNS1_3repE0EEENS1_30default_config_static_selectorELNS0_4arch9wavefront6targetE0EEEvSP_.private_seg_size, 0
	.set _ZN7rocprim17ROCPRIM_400000_NS6detail17trampoline_kernelINS0_14default_configENS1_32segmented_reduce_config_selectorIfEEZNS1_21segmented_reduce_implIS3_PKfPfPKlfN6hipcub16HIPCUB_304000_NS6detail27convert_result_type_wrapperIS8_S9_N2at6native12_GLOBAL__N_110CustomProdEEEEE10hipError_tPvRmT0_T1_jT2_SQ_T4_T3_P12ihipStream_tbEUlT_E_NS1_11comp_targetILNS1_3genE0ELNS1_11target_archE4294967295ELNS1_3gpuE0ELNS1_3repE0EEENS1_30default_config_static_selectorELNS0_4arch9wavefront6targetE0EEEvSP_.uses_vcc, 0
	.set _ZN7rocprim17ROCPRIM_400000_NS6detail17trampoline_kernelINS0_14default_configENS1_32segmented_reduce_config_selectorIfEEZNS1_21segmented_reduce_implIS3_PKfPfPKlfN6hipcub16HIPCUB_304000_NS6detail27convert_result_type_wrapperIS8_S9_N2at6native12_GLOBAL__N_110CustomProdEEEEE10hipError_tPvRmT0_T1_jT2_SQ_T4_T3_P12ihipStream_tbEUlT_E_NS1_11comp_targetILNS1_3genE0ELNS1_11target_archE4294967295ELNS1_3gpuE0ELNS1_3repE0EEENS1_30default_config_static_selectorELNS0_4arch9wavefront6targetE0EEEvSP_.uses_flat_scratch, 0
	.set _ZN7rocprim17ROCPRIM_400000_NS6detail17trampoline_kernelINS0_14default_configENS1_32segmented_reduce_config_selectorIfEEZNS1_21segmented_reduce_implIS3_PKfPfPKlfN6hipcub16HIPCUB_304000_NS6detail27convert_result_type_wrapperIS8_S9_N2at6native12_GLOBAL__N_110CustomProdEEEEE10hipError_tPvRmT0_T1_jT2_SQ_T4_T3_P12ihipStream_tbEUlT_E_NS1_11comp_targetILNS1_3genE0ELNS1_11target_archE4294967295ELNS1_3gpuE0ELNS1_3repE0EEENS1_30default_config_static_selectorELNS0_4arch9wavefront6targetE0EEEvSP_.has_dyn_sized_stack, 0
	.set _ZN7rocprim17ROCPRIM_400000_NS6detail17trampoline_kernelINS0_14default_configENS1_32segmented_reduce_config_selectorIfEEZNS1_21segmented_reduce_implIS3_PKfPfPKlfN6hipcub16HIPCUB_304000_NS6detail27convert_result_type_wrapperIS8_S9_N2at6native12_GLOBAL__N_110CustomProdEEEEE10hipError_tPvRmT0_T1_jT2_SQ_T4_T3_P12ihipStream_tbEUlT_E_NS1_11comp_targetILNS1_3genE0ELNS1_11target_archE4294967295ELNS1_3gpuE0ELNS1_3repE0EEENS1_30default_config_static_selectorELNS0_4arch9wavefront6targetE0EEEvSP_.has_recursion, 0
	.set _ZN7rocprim17ROCPRIM_400000_NS6detail17trampoline_kernelINS0_14default_configENS1_32segmented_reduce_config_selectorIfEEZNS1_21segmented_reduce_implIS3_PKfPfPKlfN6hipcub16HIPCUB_304000_NS6detail27convert_result_type_wrapperIS8_S9_N2at6native12_GLOBAL__N_110CustomProdEEEEE10hipError_tPvRmT0_T1_jT2_SQ_T4_T3_P12ihipStream_tbEUlT_E_NS1_11comp_targetILNS1_3genE0ELNS1_11target_archE4294967295ELNS1_3gpuE0ELNS1_3repE0EEENS1_30default_config_static_selectorELNS0_4arch9wavefront6targetE0EEEvSP_.has_indirect_call, 0
	.section	.AMDGPU.csdata,"",@progbits
; Kernel info:
; codeLenInByte = 0
; TotalNumSgprs: 0
; NumVgprs: 0
; ScratchSize: 0
; MemoryBound: 0
; FloatMode: 240
; IeeeMode: 1
; LDSByteSize: 0 bytes/workgroup (compile time only)
; SGPRBlocks: 0
; VGPRBlocks: 0
; NumSGPRsForWavesPerEU: 1
; NumVGPRsForWavesPerEU: 1
; Occupancy: 16
; WaveLimiterHint : 0
; COMPUTE_PGM_RSRC2:SCRATCH_EN: 0
; COMPUTE_PGM_RSRC2:USER_SGPR: 6
; COMPUTE_PGM_RSRC2:TRAP_HANDLER: 0
; COMPUTE_PGM_RSRC2:TGID_X_EN: 1
; COMPUTE_PGM_RSRC2:TGID_Y_EN: 0
; COMPUTE_PGM_RSRC2:TGID_Z_EN: 0
; COMPUTE_PGM_RSRC2:TIDIG_COMP_CNT: 0
	.section	.text._ZN7rocprim17ROCPRIM_400000_NS6detail17trampoline_kernelINS0_14default_configENS1_32segmented_reduce_config_selectorIfEEZNS1_21segmented_reduce_implIS3_PKfPfPKlfN6hipcub16HIPCUB_304000_NS6detail27convert_result_type_wrapperIS8_S9_N2at6native12_GLOBAL__N_110CustomProdEEEEE10hipError_tPvRmT0_T1_jT2_SQ_T4_T3_P12ihipStream_tbEUlT_E_NS1_11comp_targetILNS1_3genE5ELNS1_11target_archE942ELNS1_3gpuE9ELNS1_3repE0EEENS1_30default_config_static_selectorELNS0_4arch9wavefront6targetE0EEEvSP_,"axG",@progbits,_ZN7rocprim17ROCPRIM_400000_NS6detail17trampoline_kernelINS0_14default_configENS1_32segmented_reduce_config_selectorIfEEZNS1_21segmented_reduce_implIS3_PKfPfPKlfN6hipcub16HIPCUB_304000_NS6detail27convert_result_type_wrapperIS8_S9_N2at6native12_GLOBAL__N_110CustomProdEEEEE10hipError_tPvRmT0_T1_jT2_SQ_T4_T3_P12ihipStream_tbEUlT_E_NS1_11comp_targetILNS1_3genE5ELNS1_11target_archE942ELNS1_3gpuE9ELNS1_3repE0EEENS1_30default_config_static_selectorELNS0_4arch9wavefront6targetE0EEEvSP_,comdat
	.globl	_ZN7rocprim17ROCPRIM_400000_NS6detail17trampoline_kernelINS0_14default_configENS1_32segmented_reduce_config_selectorIfEEZNS1_21segmented_reduce_implIS3_PKfPfPKlfN6hipcub16HIPCUB_304000_NS6detail27convert_result_type_wrapperIS8_S9_N2at6native12_GLOBAL__N_110CustomProdEEEEE10hipError_tPvRmT0_T1_jT2_SQ_T4_T3_P12ihipStream_tbEUlT_E_NS1_11comp_targetILNS1_3genE5ELNS1_11target_archE942ELNS1_3gpuE9ELNS1_3repE0EEENS1_30default_config_static_selectorELNS0_4arch9wavefront6targetE0EEEvSP_ ; -- Begin function _ZN7rocprim17ROCPRIM_400000_NS6detail17trampoline_kernelINS0_14default_configENS1_32segmented_reduce_config_selectorIfEEZNS1_21segmented_reduce_implIS3_PKfPfPKlfN6hipcub16HIPCUB_304000_NS6detail27convert_result_type_wrapperIS8_S9_N2at6native12_GLOBAL__N_110CustomProdEEEEE10hipError_tPvRmT0_T1_jT2_SQ_T4_T3_P12ihipStream_tbEUlT_E_NS1_11comp_targetILNS1_3genE5ELNS1_11target_archE942ELNS1_3gpuE9ELNS1_3repE0EEENS1_30default_config_static_selectorELNS0_4arch9wavefront6targetE0EEEvSP_
	.p2align	8
	.type	_ZN7rocprim17ROCPRIM_400000_NS6detail17trampoline_kernelINS0_14default_configENS1_32segmented_reduce_config_selectorIfEEZNS1_21segmented_reduce_implIS3_PKfPfPKlfN6hipcub16HIPCUB_304000_NS6detail27convert_result_type_wrapperIS8_S9_N2at6native12_GLOBAL__N_110CustomProdEEEEE10hipError_tPvRmT0_T1_jT2_SQ_T4_T3_P12ihipStream_tbEUlT_E_NS1_11comp_targetILNS1_3genE5ELNS1_11target_archE942ELNS1_3gpuE9ELNS1_3repE0EEENS1_30default_config_static_selectorELNS0_4arch9wavefront6targetE0EEEvSP_,@function
_ZN7rocprim17ROCPRIM_400000_NS6detail17trampoline_kernelINS0_14default_configENS1_32segmented_reduce_config_selectorIfEEZNS1_21segmented_reduce_implIS3_PKfPfPKlfN6hipcub16HIPCUB_304000_NS6detail27convert_result_type_wrapperIS8_S9_N2at6native12_GLOBAL__N_110CustomProdEEEEE10hipError_tPvRmT0_T1_jT2_SQ_T4_T3_P12ihipStream_tbEUlT_E_NS1_11comp_targetILNS1_3genE5ELNS1_11target_archE942ELNS1_3gpuE9ELNS1_3repE0EEENS1_30default_config_static_selectorELNS0_4arch9wavefront6targetE0EEEvSP_: ; @_ZN7rocprim17ROCPRIM_400000_NS6detail17trampoline_kernelINS0_14default_configENS1_32segmented_reduce_config_selectorIfEEZNS1_21segmented_reduce_implIS3_PKfPfPKlfN6hipcub16HIPCUB_304000_NS6detail27convert_result_type_wrapperIS8_S9_N2at6native12_GLOBAL__N_110CustomProdEEEEE10hipError_tPvRmT0_T1_jT2_SQ_T4_T3_P12ihipStream_tbEUlT_E_NS1_11comp_targetILNS1_3genE5ELNS1_11target_archE942ELNS1_3gpuE9ELNS1_3repE0EEENS1_30default_config_static_selectorELNS0_4arch9wavefront6targetE0EEEvSP_
; %bb.0:
	.section	.rodata,"a",@progbits
	.p2align	6, 0x0
	.amdhsa_kernel _ZN7rocprim17ROCPRIM_400000_NS6detail17trampoline_kernelINS0_14default_configENS1_32segmented_reduce_config_selectorIfEEZNS1_21segmented_reduce_implIS3_PKfPfPKlfN6hipcub16HIPCUB_304000_NS6detail27convert_result_type_wrapperIS8_S9_N2at6native12_GLOBAL__N_110CustomProdEEEEE10hipError_tPvRmT0_T1_jT2_SQ_T4_T3_P12ihipStream_tbEUlT_E_NS1_11comp_targetILNS1_3genE5ELNS1_11target_archE942ELNS1_3gpuE9ELNS1_3repE0EEENS1_30default_config_static_selectorELNS0_4arch9wavefront6targetE0EEEvSP_
		.amdhsa_group_segment_fixed_size 0
		.amdhsa_private_segment_fixed_size 0
		.amdhsa_kernarg_size 48
		.amdhsa_user_sgpr_count 6
		.amdhsa_user_sgpr_private_segment_buffer 1
		.amdhsa_user_sgpr_dispatch_ptr 0
		.amdhsa_user_sgpr_queue_ptr 0
		.amdhsa_user_sgpr_kernarg_segment_ptr 1
		.amdhsa_user_sgpr_dispatch_id 0
		.amdhsa_user_sgpr_flat_scratch_init 0
		.amdhsa_user_sgpr_private_segment_size 0
		.amdhsa_wavefront_size32 1
		.amdhsa_uses_dynamic_stack 0
		.amdhsa_system_sgpr_private_segment_wavefront_offset 0
		.amdhsa_system_sgpr_workgroup_id_x 1
		.amdhsa_system_sgpr_workgroup_id_y 0
		.amdhsa_system_sgpr_workgroup_id_z 0
		.amdhsa_system_sgpr_workgroup_info 0
		.amdhsa_system_vgpr_workitem_id 0
		.amdhsa_next_free_vgpr 1
		.amdhsa_next_free_sgpr 1
		.amdhsa_reserve_vcc 0
		.amdhsa_reserve_flat_scratch 0
		.amdhsa_float_round_mode_32 0
		.amdhsa_float_round_mode_16_64 0
		.amdhsa_float_denorm_mode_32 3
		.amdhsa_float_denorm_mode_16_64 3
		.amdhsa_dx10_clamp 1
		.amdhsa_ieee_mode 1
		.amdhsa_fp16_overflow 0
		.amdhsa_workgroup_processor_mode 1
		.amdhsa_memory_ordered 1
		.amdhsa_forward_progress 1
		.amdhsa_shared_vgpr_count 0
		.amdhsa_exception_fp_ieee_invalid_op 0
		.amdhsa_exception_fp_denorm_src 0
		.amdhsa_exception_fp_ieee_div_zero 0
		.amdhsa_exception_fp_ieee_overflow 0
		.amdhsa_exception_fp_ieee_underflow 0
		.amdhsa_exception_fp_ieee_inexact 0
		.amdhsa_exception_int_div_zero 0
	.end_amdhsa_kernel
	.section	.text._ZN7rocprim17ROCPRIM_400000_NS6detail17trampoline_kernelINS0_14default_configENS1_32segmented_reduce_config_selectorIfEEZNS1_21segmented_reduce_implIS3_PKfPfPKlfN6hipcub16HIPCUB_304000_NS6detail27convert_result_type_wrapperIS8_S9_N2at6native12_GLOBAL__N_110CustomProdEEEEE10hipError_tPvRmT0_T1_jT2_SQ_T4_T3_P12ihipStream_tbEUlT_E_NS1_11comp_targetILNS1_3genE5ELNS1_11target_archE942ELNS1_3gpuE9ELNS1_3repE0EEENS1_30default_config_static_selectorELNS0_4arch9wavefront6targetE0EEEvSP_,"axG",@progbits,_ZN7rocprim17ROCPRIM_400000_NS6detail17trampoline_kernelINS0_14default_configENS1_32segmented_reduce_config_selectorIfEEZNS1_21segmented_reduce_implIS3_PKfPfPKlfN6hipcub16HIPCUB_304000_NS6detail27convert_result_type_wrapperIS8_S9_N2at6native12_GLOBAL__N_110CustomProdEEEEE10hipError_tPvRmT0_T1_jT2_SQ_T4_T3_P12ihipStream_tbEUlT_E_NS1_11comp_targetILNS1_3genE5ELNS1_11target_archE942ELNS1_3gpuE9ELNS1_3repE0EEENS1_30default_config_static_selectorELNS0_4arch9wavefront6targetE0EEEvSP_,comdat
.Lfunc_end205:
	.size	_ZN7rocprim17ROCPRIM_400000_NS6detail17trampoline_kernelINS0_14default_configENS1_32segmented_reduce_config_selectorIfEEZNS1_21segmented_reduce_implIS3_PKfPfPKlfN6hipcub16HIPCUB_304000_NS6detail27convert_result_type_wrapperIS8_S9_N2at6native12_GLOBAL__N_110CustomProdEEEEE10hipError_tPvRmT0_T1_jT2_SQ_T4_T3_P12ihipStream_tbEUlT_E_NS1_11comp_targetILNS1_3genE5ELNS1_11target_archE942ELNS1_3gpuE9ELNS1_3repE0EEENS1_30default_config_static_selectorELNS0_4arch9wavefront6targetE0EEEvSP_, .Lfunc_end205-_ZN7rocprim17ROCPRIM_400000_NS6detail17trampoline_kernelINS0_14default_configENS1_32segmented_reduce_config_selectorIfEEZNS1_21segmented_reduce_implIS3_PKfPfPKlfN6hipcub16HIPCUB_304000_NS6detail27convert_result_type_wrapperIS8_S9_N2at6native12_GLOBAL__N_110CustomProdEEEEE10hipError_tPvRmT0_T1_jT2_SQ_T4_T3_P12ihipStream_tbEUlT_E_NS1_11comp_targetILNS1_3genE5ELNS1_11target_archE942ELNS1_3gpuE9ELNS1_3repE0EEENS1_30default_config_static_selectorELNS0_4arch9wavefront6targetE0EEEvSP_
                                        ; -- End function
	.set _ZN7rocprim17ROCPRIM_400000_NS6detail17trampoline_kernelINS0_14default_configENS1_32segmented_reduce_config_selectorIfEEZNS1_21segmented_reduce_implIS3_PKfPfPKlfN6hipcub16HIPCUB_304000_NS6detail27convert_result_type_wrapperIS8_S9_N2at6native12_GLOBAL__N_110CustomProdEEEEE10hipError_tPvRmT0_T1_jT2_SQ_T4_T3_P12ihipStream_tbEUlT_E_NS1_11comp_targetILNS1_3genE5ELNS1_11target_archE942ELNS1_3gpuE9ELNS1_3repE0EEENS1_30default_config_static_selectorELNS0_4arch9wavefront6targetE0EEEvSP_.num_vgpr, 0
	.set _ZN7rocprim17ROCPRIM_400000_NS6detail17trampoline_kernelINS0_14default_configENS1_32segmented_reduce_config_selectorIfEEZNS1_21segmented_reduce_implIS3_PKfPfPKlfN6hipcub16HIPCUB_304000_NS6detail27convert_result_type_wrapperIS8_S9_N2at6native12_GLOBAL__N_110CustomProdEEEEE10hipError_tPvRmT0_T1_jT2_SQ_T4_T3_P12ihipStream_tbEUlT_E_NS1_11comp_targetILNS1_3genE5ELNS1_11target_archE942ELNS1_3gpuE9ELNS1_3repE0EEENS1_30default_config_static_selectorELNS0_4arch9wavefront6targetE0EEEvSP_.num_agpr, 0
	.set _ZN7rocprim17ROCPRIM_400000_NS6detail17trampoline_kernelINS0_14default_configENS1_32segmented_reduce_config_selectorIfEEZNS1_21segmented_reduce_implIS3_PKfPfPKlfN6hipcub16HIPCUB_304000_NS6detail27convert_result_type_wrapperIS8_S9_N2at6native12_GLOBAL__N_110CustomProdEEEEE10hipError_tPvRmT0_T1_jT2_SQ_T4_T3_P12ihipStream_tbEUlT_E_NS1_11comp_targetILNS1_3genE5ELNS1_11target_archE942ELNS1_3gpuE9ELNS1_3repE0EEENS1_30default_config_static_selectorELNS0_4arch9wavefront6targetE0EEEvSP_.numbered_sgpr, 0
	.set _ZN7rocprim17ROCPRIM_400000_NS6detail17trampoline_kernelINS0_14default_configENS1_32segmented_reduce_config_selectorIfEEZNS1_21segmented_reduce_implIS3_PKfPfPKlfN6hipcub16HIPCUB_304000_NS6detail27convert_result_type_wrapperIS8_S9_N2at6native12_GLOBAL__N_110CustomProdEEEEE10hipError_tPvRmT0_T1_jT2_SQ_T4_T3_P12ihipStream_tbEUlT_E_NS1_11comp_targetILNS1_3genE5ELNS1_11target_archE942ELNS1_3gpuE9ELNS1_3repE0EEENS1_30default_config_static_selectorELNS0_4arch9wavefront6targetE0EEEvSP_.num_named_barrier, 0
	.set _ZN7rocprim17ROCPRIM_400000_NS6detail17trampoline_kernelINS0_14default_configENS1_32segmented_reduce_config_selectorIfEEZNS1_21segmented_reduce_implIS3_PKfPfPKlfN6hipcub16HIPCUB_304000_NS6detail27convert_result_type_wrapperIS8_S9_N2at6native12_GLOBAL__N_110CustomProdEEEEE10hipError_tPvRmT0_T1_jT2_SQ_T4_T3_P12ihipStream_tbEUlT_E_NS1_11comp_targetILNS1_3genE5ELNS1_11target_archE942ELNS1_3gpuE9ELNS1_3repE0EEENS1_30default_config_static_selectorELNS0_4arch9wavefront6targetE0EEEvSP_.private_seg_size, 0
	.set _ZN7rocprim17ROCPRIM_400000_NS6detail17trampoline_kernelINS0_14default_configENS1_32segmented_reduce_config_selectorIfEEZNS1_21segmented_reduce_implIS3_PKfPfPKlfN6hipcub16HIPCUB_304000_NS6detail27convert_result_type_wrapperIS8_S9_N2at6native12_GLOBAL__N_110CustomProdEEEEE10hipError_tPvRmT0_T1_jT2_SQ_T4_T3_P12ihipStream_tbEUlT_E_NS1_11comp_targetILNS1_3genE5ELNS1_11target_archE942ELNS1_3gpuE9ELNS1_3repE0EEENS1_30default_config_static_selectorELNS0_4arch9wavefront6targetE0EEEvSP_.uses_vcc, 0
	.set _ZN7rocprim17ROCPRIM_400000_NS6detail17trampoline_kernelINS0_14default_configENS1_32segmented_reduce_config_selectorIfEEZNS1_21segmented_reduce_implIS3_PKfPfPKlfN6hipcub16HIPCUB_304000_NS6detail27convert_result_type_wrapperIS8_S9_N2at6native12_GLOBAL__N_110CustomProdEEEEE10hipError_tPvRmT0_T1_jT2_SQ_T4_T3_P12ihipStream_tbEUlT_E_NS1_11comp_targetILNS1_3genE5ELNS1_11target_archE942ELNS1_3gpuE9ELNS1_3repE0EEENS1_30default_config_static_selectorELNS0_4arch9wavefront6targetE0EEEvSP_.uses_flat_scratch, 0
	.set _ZN7rocprim17ROCPRIM_400000_NS6detail17trampoline_kernelINS0_14default_configENS1_32segmented_reduce_config_selectorIfEEZNS1_21segmented_reduce_implIS3_PKfPfPKlfN6hipcub16HIPCUB_304000_NS6detail27convert_result_type_wrapperIS8_S9_N2at6native12_GLOBAL__N_110CustomProdEEEEE10hipError_tPvRmT0_T1_jT2_SQ_T4_T3_P12ihipStream_tbEUlT_E_NS1_11comp_targetILNS1_3genE5ELNS1_11target_archE942ELNS1_3gpuE9ELNS1_3repE0EEENS1_30default_config_static_selectorELNS0_4arch9wavefront6targetE0EEEvSP_.has_dyn_sized_stack, 0
	.set _ZN7rocprim17ROCPRIM_400000_NS6detail17trampoline_kernelINS0_14default_configENS1_32segmented_reduce_config_selectorIfEEZNS1_21segmented_reduce_implIS3_PKfPfPKlfN6hipcub16HIPCUB_304000_NS6detail27convert_result_type_wrapperIS8_S9_N2at6native12_GLOBAL__N_110CustomProdEEEEE10hipError_tPvRmT0_T1_jT2_SQ_T4_T3_P12ihipStream_tbEUlT_E_NS1_11comp_targetILNS1_3genE5ELNS1_11target_archE942ELNS1_3gpuE9ELNS1_3repE0EEENS1_30default_config_static_selectorELNS0_4arch9wavefront6targetE0EEEvSP_.has_recursion, 0
	.set _ZN7rocprim17ROCPRIM_400000_NS6detail17trampoline_kernelINS0_14default_configENS1_32segmented_reduce_config_selectorIfEEZNS1_21segmented_reduce_implIS3_PKfPfPKlfN6hipcub16HIPCUB_304000_NS6detail27convert_result_type_wrapperIS8_S9_N2at6native12_GLOBAL__N_110CustomProdEEEEE10hipError_tPvRmT0_T1_jT2_SQ_T4_T3_P12ihipStream_tbEUlT_E_NS1_11comp_targetILNS1_3genE5ELNS1_11target_archE942ELNS1_3gpuE9ELNS1_3repE0EEENS1_30default_config_static_selectorELNS0_4arch9wavefront6targetE0EEEvSP_.has_indirect_call, 0
	.section	.AMDGPU.csdata,"",@progbits
; Kernel info:
; codeLenInByte = 0
; TotalNumSgprs: 0
; NumVgprs: 0
; ScratchSize: 0
; MemoryBound: 0
; FloatMode: 240
; IeeeMode: 1
; LDSByteSize: 0 bytes/workgroup (compile time only)
; SGPRBlocks: 0
; VGPRBlocks: 0
; NumSGPRsForWavesPerEU: 1
; NumVGPRsForWavesPerEU: 1
; Occupancy: 16
; WaveLimiterHint : 0
; COMPUTE_PGM_RSRC2:SCRATCH_EN: 0
; COMPUTE_PGM_RSRC2:USER_SGPR: 6
; COMPUTE_PGM_RSRC2:TRAP_HANDLER: 0
; COMPUTE_PGM_RSRC2:TGID_X_EN: 1
; COMPUTE_PGM_RSRC2:TGID_Y_EN: 0
; COMPUTE_PGM_RSRC2:TGID_Z_EN: 0
; COMPUTE_PGM_RSRC2:TIDIG_COMP_CNT: 0
	.section	.text._ZN7rocprim17ROCPRIM_400000_NS6detail17trampoline_kernelINS0_14default_configENS1_32segmented_reduce_config_selectorIfEEZNS1_21segmented_reduce_implIS3_PKfPfPKlfN6hipcub16HIPCUB_304000_NS6detail27convert_result_type_wrapperIS8_S9_N2at6native12_GLOBAL__N_110CustomProdEEEEE10hipError_tPvRmT0_T1_jT2_SQ_T4_T3_P12ihipStream_tbEUlT_E_NS1_11comp_targetILNS1_3genE10ELNS1_11target_archE1201ELNS1_3gpuE5ELNS1_3repE0EEENS1_30default_config_static_selectorELNS0_4arch9wavefront6targetE0EEEvSP_,"axG",@progbits,_ZN7rocprim17ROCPRIM_400000_NS6detail17trampoline_kernelINS0_14default_configENS1_32segmented_reduce_config_selectorIfEEZNS1_21segmented_reduce_implIS3_PKfPfPKlfN6hipcub16HIPCUB_304000_NS6detail27convert_result_type_wrapperIS8_S9_N2at6native12_GLOBAL__N_110CustomProdEEEEE10hipError_tPvRmT0_T1_jT2_SQ_T4_T3_P12ihipStream_tbEUlT_E_NS1_11comp_targetILNS1_3genE10ELNS1_11target_archE1201ELNS1_3gpuE5ELNS1_3repE0EEENS1_30default_config_static_selectorELNS0_4arch9wavefront6targetE0EEEvSP_,comdat
	.globl	_ZN7rocprim17ROCPRIM_400000_NS6detail17trampoline_kernelINS0_14default_configENS1_32segmented_reduce_config_selectorIfEEZNS1_21segmented_reduce_implIS3_PKfPfPKlfN6hipcub16HIPCUB_304000_NS6detail27convert_result_type_wrapperIS8_S9_N2at6native12_GLOBAL__N_110CustomProdEEEEE10hipError_tPvRmT0_T1_jT2_SQ_T4_T3_P12ihipStream_tbEUlT_E_NS1_11comp_targetILNS1_3genE10ELNS1_11target_archE1201ELNS1_3gpuE5ELNS1_3repE0EEENS1_30default_config_static_selectorELNS0_4arch9wavefront6targetE0EEEvSP_ ; -- Begin function _ZN7rocprim17ROCPRIM_400000_NS6detail17trampoline_kernelINS0_14default_configENS1_32segmented_reduce_config_selectorIfEEZNS1_21segmented_reduce_implIS3_PKfPfPKlfN6hipcub16HIPCUB_304000_NS6detail27convert_result_type_wrapperIS8_S9_N2at6native12_GLOBAL__N_110CustomProdEEEEE10hipError_tPvRmT0_T1_jT2_SQ_T4_T3_P12ihipStream_tbEUlT_E_NS1_11comp_targetILNS1_3genE10ELNS1_11target_archE1201ELNS1_3gpuE5ELNS1_3repE0EEENS1_30default_config_static_selectorELNS0_4arch9wavefront6targetE0EEEvSP_
	.p2align	8
	.type	_ZN7rocprim17ROCPRIM_400000_NS6detail17trampoline_kernelINS0_14default_configENS1_32segmented_reduce_config_selectorIfEEZNS1_21segmented_reduce_implIS3_PKfPfPKlfN6hipcub16HIPCUB_304000_NS6detail27convert_result_type_wrapperIS8_S9_N2at6native12_GLOBAL__N_110CustomProdEEEEE10hipError_tPvRmT0_T1_jT2_SQ_T4_T3_P12ihipStream_tbEUlT_E_NS1_11comp_targetILNS1_3genE10ELNS1_11target_archE1201ELNS1_3gpuE5ELNS1_3repE0EEENS1_30default_config_static_selectorELNS0_4arch9wavefront6targetE0EEEvSP_,@function
_ZN7rocprim17ROCPRIM_400000_NS6detail17trampoline_kernelINS0_14default_configENS1_32segmented_reduce_config_selectorIfEEZNS1_21segmented_reduce_implIS3_PKfPfPKlfN6hipcub16HIPCUB_304000_NS6detail27convert_result_type_wrapperIS8_S9_N2at6native12_GLOBAL__N_110CustomProdEEEEE10hipError_tPvRmT0_T1_jT2_SQ_T4_T3_P12ihipStream_tbEUlT_E_NS1_11comp_targetILNS1_3genE10ELNS1_11target_archE1201ELNS1_3gpuE5ELNS1_3repE0EEENS1_30default_config_static_selectorELNS0_4arch9wavefront6targetE0EEEvSP_: ; @_ZN7rocprim17ROCPRIM_400000_NS6detail17trampoline_kernelINS0_14default_configENS1_32segmented_reduce_config_selectorIfEEZNS1_21segmented_reduce_implIS3_PKfPfPKlfN6hipcub16HIPCUB_304000_NS6detail27convert_result_type_wrapperIS8_S9_N2at6native12_GLOBAL__N_110CustomProdEEEEE10hipError_tPvRmT0_T1_jT2_SQ_T4_T3_P12ihipStream_tbEUlT_E_NS1_11comp_targetILNS1_3genE10ELNS1_11target_archE1201ELNS1_3gpuE5ELNS1_3repE0EEENS1_30default_config_static_selectorELNS0_4arch9wavefront6targetE0EEEvSP_
; %bb.0:
	.section	.rodata,"a",@progbits
	.p2align	6, 0x0
	.amdhsa_kernel _ZN7rocprim17ROCPRIM_400000_NS6detail17trampoline_kernelINS0_14default_configENS1_32segmented_reduce_config_selectorIfEEZNS1_21segmented_reduce_implIS3_PKfPfPKlfN6hipcub16HIPCUB_304000_NS6detail27convert_result_type_wrapperIS8_S9_N2at6native12_GLOBAL__N_110CustomProdEEEEE10hipError_tPvRmT0_T1_jT2_SQ_T4_T3_P12ihipStream_tbEUlT_E_NS1_11comp_targetILNS1_3genE10ELNS1_11target_archE1201ELNS1_3gpuE5ELNS1_3repE0EEENS1_30default_config_static_selectorELNS0_4arch9wavefront6targetE0EEEvSP_
		.amdhsa_group_segment_fixed_size 0
		.amdhsa_private_segment_fixed_size 0
		.amdhsa_kernarg_size 48
		.amdhsa_user_sgpr_count 6
		.amdhsa_user_sgpr_private_segment_buffer 1
		.amdhsa_user_sgpr_dispatch_ptr 0
		.amdhsa_user_sgpr_queue_ptr 0
		.amdhsa_user_sgpr_kernarg_segment_ptr 1
		.amdhsa_user_sgpr_dispatch_id 0
		.amdhsa_user_sgpr_flat_scratch_init 0
		.amdhsa_user_sgpr_private_segment_size 0
		.amdhsa_wavefront_size32 1
		.amdhsa_uses_dynamic_stack 0
		.amdhsa_system_sgpr_private_segment_wavefront_offset 0
		.amdhsa_system_sgpr_workgroup_id_x 1
		.amdhsa_system_sgpr_workgroup_id_y 0
		.amdhsa_system_sgpr_workgroup_id_z 0
		.amdhsa_system_sgpr_workgroup_info 0
		.amdhsa_system_vgpr_workitem_id 0
		.amdhsa_next_free_vgpr 1
		.amdhsa_next_free_sgpr 1
		.amdhsa_reserve_vcc 0
		.amdhsa_reserve_flat_scratch 0
		.amdhsa_float_round_mode_32 0
		.amdhsa_float_round_mode_16_64 0
		.amdhsa_float_denorm_mode_32 3
		.amdhsa_float_denorm_mode_16_64 3
		.amdhsa_dx10_clamp 1
		.amdhsa_ieee_mode 1
		.amdhsa_fp16_overflow 0
		.amdhsa_workgroup_processor_mode 1
		.amdhsa_memory_ordered 1
		.amdhsa_forward_progress 1
		.amdhsa_shared_vgpr_count 0
		.amdhsa_exception_fp_ieee_invalid_op 0
		.amdhsa_exception_fp_denorm_src 0
		.amdhsa_exception_fp_ieee_div_zero 0
		.amdhsa_exception_fp_ieee_overflow 0
		.amdhsa_exception_fp_ieee_underflow 0
		.amdhsa_exception_fp_ieee_inexact 0
		.amdhsa_exception_int_div_zero 0
	.end_amdhsa_kernel
	.section	.text._ZN7rocprim17ROCPRIM_400000_NS6detail17trampoline_kernelINS0_14default_configENS1_32segmented_reduce_config_selectorIfEEZNS1_21segmented_reduce_implIS3_PKfPfPKlfN6hipcub16HIPCUB_304000_NS6detail27convert_result_type_wrapperIS8_S9_N2at6native12_GLOBAL__N_110CustomProdEEEEE10hipError_tPvRmT0_T1_jT2_SQ_T4_T3_P12ihipStream_tbEUlT_E_NS1_11comp_targetILNS1_3genE10ELNS1_11target_archE1201ELNS1_3gpuE5ELNS1_3repE0EEENS1_30default_config_static_selectorELNS0_4arch9wavefront6targetE0EEEvSP_,"axG",@progbits,_ZN7rocprim17ROCPRIM_400000_NS6detail17trampoline_kernelINS0_14default_configENS1_32segmented_reduce_config_selectorIfEEZNS1_21segmented_reduce_implIS3_PKfPfPKlfN6hipcub16HIPCUB_304000_NS6detail27convert_result_type_wrapperIS8_S9_N2at6native12_GLOBAL__N_110CustomProdEEEEE10hipError_tPvRmT0_T1_jT2_SQ_T4_T3_P12ihipStream_tbEUlT_E_NS1_11comp_targetILNS1_3genE10ELNS1_11target_archE1201ELNS1_3gpuE5ELNS1_3repE0EEENS1_30default_config_static_selectorELNS0_4arch9wavefront6targetE0EEEvSP_,comdat
.Lfunc_end206:
	.size	_ZN7rocprim17ROCPRIM_400000_NS6detail17trampoline_kernelINS0_14default_configENS1_32segmented_reduce_config_selectorIfEEZNS1_21segmented_reduce_implIS3_PKfPfPKlfN6hipcub16HIPCUB_304000_NS6detail27convert_result_type_wrapperIS8_S9_N2at6native12_GLOBAL__N_110CustomProdEEEEE10hipError_tPvRmT0_T1_jT2_SQ_T4_T3_P12ihipStream_tbEUlT_E_NS1_11comp_targetILNS1_3genE10ELNS1_11target_archE1201ELNS1_3gpuE5ELNS1_3repE0EEENS1_30default_config_static_selectorELNS0_4arch9wavefront6targetE0EEEvSP_, .Lfunc_end206-_ZN7rocprim17ROCPRIM_400000_NS6detail17trampoline_kernelINS0_14default_configENS1_32segmented_reduce_config_selectorIfEEZNS1_21segmented_reduce_implIS3_PKfPfPKlfN6hipcub16HIPCUB_304000_NS6detail27convert_result_type_wrapperIS8_S9_N2at6native12_GLOBAL__N_110CustomProdEEEEE10hipError_tPvRmT0_T1_jT2_SQ_T4_T3_P12ihipStream_tbEUlT_E_NS1_11comp_targetILNS1_3genE10ELNS1_11target_archE1201ELNS1_3gpuE5ELNS1_3repE0EEENS1_30default_config_static_selectorELNS0_4arch9wavefront6targetE0EEEvSP_
                                        ; -- End function
	.set _ZN7rocprim17ROCPRIM_400000_NS6detail17trampoline_kernelINS0_14default_configENS1_32segmented_reduce_config_selectorIfEEZNS1_21segmented_reduce_implIS3_PKfPfPKlfN6hipcub16HIPCUB_304000_NS6detail27convert_result_type_wrapperIS8_S9_N2at6native12_GLOBAL__N_110CustomProdEEEEE10hipError_tPvRmT0_T1_jT2_SQ_T4_T3_P12ihipStream_tbEUlT_E_NS1_11comp_targetILNS1_3genE10ELNS1_11target_archE1201ELNS1_3gpuE5ELNS1_3repE0EEENS1_30default_config_static_selectorELNS0_4arch9wavefront6targetE0EEEvSP_.num_vgpr, 0
	.set _ZN7rocprim17ROCPRIM_400000_NS6detail17trampoline_kernelINS0_14default_configENS1_32segmented_reduce_config_selectorIfEEZNS1_21segmented_reduce_implIS3_PKfPfPKlfN6hipcub16HIPCUB_304000_NS6detail27convert_result_type_wrapperIS8_S9_N2at6native12_GLOBAL__N_110CustomProdEEEEE10hipError_tPvRmT0_T1_jT2_SQ_T4_T3_P12ihipStream_tbEUlT_E_NS1_11comp_targetILNS1_3genE10ELNS1_11target_archE1201ELNS1_3gpuE5ELNS1_3repE0EEENS1_30default_config_static_selectorELNS0_4arch9wavefront6targetE0EEEvSP_.num_agpr, 0
	.set _ZN7rocprim17ROCPRIM_400000_NS6detail17trampoline_kernelINS0_14default_configENS1_32segmented_reduce_config_selectorIfEEZNS1_21segmented_reduce_implIS3_PKfPfPKlfN6hipcub16HIPCUB_304000_NS6detail27convert_result_type_wrapperIS8_S9_N2at6native12_GLOBAL__N_110CustomProdEEEEE10hipError_tPvRmT0_T1_jT2_SQ_T4_T3_P12ihipStream_tbEUlT_E_NS1_11comp_targetILNS1_3genE10ELNS1_11target_archE1201ELNS1_3gpuE5ELNS1_3repE0EEENS1_30default_config_static_selectorELNS0_4arch9wavefront6targetE0EEEvSP_.numbered_sgpr, 0
	.set _ZN7rocprim17ROCPRIM_400000_NS6detail17trampoline_kernelINS0_14default_configENS1_32segmented_reduce_config_selectorIfEEZNS1_21segmented_reduce_implIS3_PKfPfPKlfN6hipcub16HIPCUB_304000_NS6detail27convert_result_type_wrapperIS8_S9_N2at6native12_GLOBAL__N_110CustomProdEEEEE10hipError_tPvRmT0_T1_jT2_SQ_T4_T3_P12ihipStream_tbEUlT_E_NS1_11comp_targetILNS1_3genE10ELNS1_11target_archE1201ELNS1_3gpuE5ELNS1_3repE0EEENS1_30default_config_static_selectorELNS0_4arch9wavefront6targetE0EEEvSP_.num_named_barrier, 0
	.set _ZN7rocprim17ROCPRIM_400000_NS6detail17trampoline_kernelINS0_14default_configENS1_32segmented_reduce_config_selectorIfEEZNS1_21segmented_reduce_implIS3_PKfPfPKlfN6hipcub16HIPCUB_304000_NS6detail27convert_result_type_wrapperIS8_S9_N2at6native12_GLOBAL__N_110CustomProdEEEEE10hipError_tPvRmT0_T1_jT2_SQ_T4_T3_P12ihipStream_tbEUlT_E_NS1_11comp_targetILNS1_3genE10ELNS1_11target_archE1201ELNS1_3gpuE5ELNS1_3repE0EEENS1_30default_config_static_selectorELNS0_4arch9wavefront6targetE0EEEvSP_.private_seg_size, 0
	.set _ZN7rocprim17ROCPRIM_400000_NS6detail17trampoline_kernelINS0_14default_configENS1_32segmented_reduce_config_selectorIfEEZNS1_21segmented_reduce_implIS3_PKfPfPKlfN6hipcub16HIPCUB_304000_NS6detail27convert_result_type_wrapperIS8_S9_N2at6native12_GLOBAL__N_110CustomProdEEEEE10hipError_tPvRmT0_T1_jT2_SQ_T4_T3_P12ihipStream_tbEUlT_E_NS1_11comp_targetILNS1_3genE10ELNS1_11target_archE1201ELNS1_3gpuE5ELNS1_3repE0EEENS1_30default_config_static_selectorELNS0_4arch9wavefront6targetE0EEEvSP_.uses_vcc, 0
	.set _ZN7rocprim17ROCPRIM_400000_NS6detail17trampoline_kernelINS0_14default_configENS1_32segmented_reduce_config_selectorIfEEZNS1_21segmented_reduce_implIS3_PKfPfPKlfN6hipcub16HIPCUB_304000_NS6detail27convert_result_type_wrapperIS8_S9_N2at6native12_GLOBAL__N_110CustomProdEEEEE10hipError_tPvRmT0_T1_jT2_SQ_T4_T3_P12ihipStream_tbEUlT_E_NS1_11comp_targetILNS1_3genE10ELNS1_11target_archE1201ELNS1_3gpuE5ELNS1_3repE0EEENS1_30default_config_static_selectorELNS0_4arch9wavefront6targetE0EEEvSP_.uses_flat_scratch, 0
	.set _ZN7rocprim17ROCPRIM_400000_NS6detail17trampoline_kernelINS0_14default_configENS1_32segmented_reduce_config_selectorIfEEZNS1_21segmented_reduce_implIS3_PKfPfPKlfN6hipcub16HIPCUB_304000_NS6detail27convert_result_type_wrapperIS8_S9_N2at6native12_GLOBAL__N_110CustomProdEEEEE10hipError_tPvRmT0_T1_jT2_SQ_T4_T3_P12ihipStream_tbEUlT_E_NS1_11comp_targetILNS1_3genE10ELNS1_11target_archE1201ELNS1_3gpuE5ELNS1_3repE0EEENS1_30default_config_static_selectorELNS0_4arch9wavefront6targetE0EEEvSP_.has_dyn_sized_stack, 0
	.set _ZN7rocprim17ROCPRIM_400000_NS6detail17trampoline_kernelINS0_14default_configENS1_32segmented_reduce_config_selectorIfEEZNS1_21segmented_reduce_implIS3_PKfPfPKlfN6hipcub16HIPCUB_304000_NS6detail27convert_result_type_wrapperIS8_S9_N2at6native12_GLOBAL__N_110CustomProdEEEEE10hipError_tPvRmT0_T1_jT2_SQ_T4_T3_P12ihipStream_tbEUlT_E_NS1_11comp_targetILNS1_3genE10ELNS1_11target_archE1201ELNS1_3gpuE5ELNS1_3repE0EEENS1_30default_config_static_selectorELNS0_4arch9wavefront6targetE0EEEvSP_.has_recursion, 0
	.set _ZN7rocprim17ROCPRIM_400000_NS6detail17trampoline_kernelINS0_14default_configENS1_32segmented_reduce_config_selectorIfEEZNS1_21segmented_reduce_implIS3_PKfPfPKlfN6hipcub16HIPCUB_304000_NS6detail27convert_result_type_wrapperIS8_S9_N2at6native12_GLOBAL__N_110CustomProdEEEEE10hipError_tPvRmT0_T1_jT2_SQ_T4_T3_P12ihipStream_tbEUlT_E_NS1_11comp_targetILNS1_3genE10ELNS1_11target_archE1201ELNS1_3gpuE5ELNS1_3repE0EEENS1_30default_config_static_selectorELNS0_4arch9wavefront6targetE0EEEvSP_.has_indirect_call, 0
	.section	.AMDGPU.csdata,"",@progbits
; Kernel info:
; codeLenInByte = 0
; TotalNumSgprs: 0
; NumVgprs: 0
; ScratchSize: 0
; MemoryBound: 0
; FloatMode: 240
; IeeeMode: 1
; LDSByteSize: 0 bytes/workgroup (compile time only)
; SGPRBlocks: 0
; VGPRBlocks: 0
; NumSGPRsForWavesPerEU: 1
; NumVGPRsForWavesPerEU: 1
; Occupancy: 16
; WaveLimiterHint : 0
; COMPUTE_PGM_RSRC2:SCRATCH_EN: 0
; COMPUTE_PGM_RSRC2:USER_SGPR: 6
; COMPUTE_PGM_RSRC2:TRAP_HANDLER: 0
; COMPUTE_PGM_RSRC2:TGID_X_EN: 1
; COMPUTE_PGM_RSRC2:TGID_Y_EN: 0
; COMPUTE_PGM_RSRC2:TGID_Z_EN: 0
; COMPUTE_PGM_RSRC2:TIDIG_COMP_CNT: 0
	.section	.text._ZN7rocprim17ROCPRIM_400000_NS6detail17trampoline_kernelINS0_14default_configENS1_32segmented_reduce_config_selectorIfEEZNS1_21segmented_reduce_implIS3_PKfPfPKlfN6hipcub16HIPCUB_304000_NS6detail27convert_result_type_wrapperIS8_S9_N2at6native12_GLOBAL__N_110CustomProdEEEEE10hipError_tPvRmT0_T1_jT2_SQ_T4_T3_P12ihipStream_tbEUlT_E_NS1_11comp_targetILNS1_3genE4ELNS1_11target_archE910ELNS1_3gpuE8ELNS1_3repE0EEENS1_30default_config_static_selectorELNS0_4arch9wavefront6targetE0EEEvSP_,"axG",@progbits,_ZN7rocprim17ROCPRIM_400000_NS6detail17trampoline_kernelINS0_14default_configENS1_32segmented_reduce_config_selectorIfEEZNS1_21segmented_reduce_implIS3_PKfPfPKlfN6hipcub16HIPCUB_304000_NS6detail27convert_result_type_wrapperIS8_S9_N2at6native12_GLOBAL__N_110CustomProdEEEEE10hipError_tPvRmT0_T1_jT2_SQ_T4_T3_P12ihipStream_tbEUlT_E_NS1_11comp_targetILNS1_3genE4ELNS1_11target_archE910ELNS1_3gpuE8ELNS1_3repE0EEENS1_30default_config_static_selectorELNS0_4arch9wavefront6targetE0EEEvSP_,comdat
	.globl	_ZN7rocprim17ROCPRIM_400000_NS6detail17trampoline_kernelINS0_14default_configENS1_32segmented_reduce_config_selectorIfEEZNS1_21segmented_reduce_implIS3_PKfPfPKlfN6hipcub16HIPCUB_304000_NS6detail27convert_result_type_wrapperIS8_S9_N2at6native12_GLOBAL__N_110CustomProdEEEEE10hipError_tPvRmT0_T1_jT2_SQ_T4_T3_P12ihipStream_tbEUlT_E_NS1_11comp_targetILNS1_3genE4ELNS1_11target_archE910ELNS1_3gpuE8ELNS1_3repE0EEENS1_30default_config_static_selectorELNS0_4arch9wavefront6targetE0EEEvSP_ ; -- Begin function _ZN7rocprim17ROCPRIM_400000_NS6detail17trampoline_kernelINS0_14default_configENS1_32segmented_reduce_config_selectorIfEEZNS1_21segmented_reduce_implIS3_PKfPfPKlfN6hipcub16HIPCUB_304000_NS6detail27convert_result_type_wrapperIS8_S9_N2at6native12_GLOBAL__N_110CustomProdEEEEE10hipError_tPvRmT0_T1_jT2_SQ_T4_T3_P12ihipStream_tbEUlT_E_NS1_11comp_targetILNS1_3genE4ELNS1_11target_archE910ELNS1_3gpuE8ELNS1_3repE0EEENS1_30default_config_static_selectorELNS0_4arch9wavefront6targetE0EEEvSP_
	.p2align	8
	.type	_ZN7rocprim17ROCPRIM_400000_NS6detail17trampoline_kernelINS0_14default_configENS1_32segmented_reduce_config_selectorIfEEZNS1_21segmented_reduce_implIS3_PKfPfPKlfN6hipcub16HIPCUB_304000_NS6detail27convert_result_type_wrapperIS8_S9_N2at6native12_GLOBAL__N_110CustomProdEEEEE10hipError_tPvRmT0_T1_jT2_SQ_T4_T3_P12ihipStream_tbEUlT_E_NS1_11comp_targetILNS1_3genE4ELNS1_11target_archE910ELNS1_3gpuE8ELNS1_3repE0EEENS1_30default_config_static_selectorELNS0_4arch9wavefront6targetE0EEEvSP_,@function
_ZN7rocprim17ROCPRIM_400000_NS6detail17trampoline_kernelINS0_14default_configENS1_32segmented_reduce_config_selectorIfEEZNS1_21segmented_reduce_implIS3_PKfPfPKlfN6hipcub16HIPCUB_304000_NS6detail27convert_result_type_wrapperIS8_S9_N2at6native12_GLOBAL__N_110CustomProdEEEEE10hipError_tPvRmT0_T1_jT2_SQ_T4_T3_P12ihipStream_tbEUlT_E_NS1_11comp_targetILNS1_3genE4ELNS1_11target_archE910ELNS1_3gpuE8ELNS1_3repE0EEENS1_30default_config_static_selectorELNS0_4arch9wavefront6targetE0EEEvSP_: ; @_ZN7rocprim17ROCPRIM_400000_NS6detail17trampoline_kernelINS0_14default_configENS1_32segmented_reduce_config_selectorIfEEZNS1_21segmented_reduce_implIS3_PKfPfPKlfN6hipcub16HIPCUB_304000_NS6detail27convert_result_type_wrapperIS8_S9_N2at6native12_GLOBAL__N_110CustomProdEEEEE10hipError_tPvRmT0_T1_jT2_SQ_T4_T3_P12ihipStream_tbEUlT_E_NS1_11comp_targetILNS1_3genE4ELNS1_11target_archE910ELNS1_3gpuE8ELNS1_3repE0EEENS1_30default_config_static_selectorELNS0_4arch9wavefront6targetE0EEEvSP_
; %bb.0:
	.section	.rodata,"a",@progbits
	.p2align	6, 0x0
	.amdhsa_kernel _ZN7rocprim17ROCPRIM_400000_NS6detail17trampoline_kernelINS0_14default_configENS1_32segmented_reduce_config_selectorIfEEZNS1_21segmented_reduce_implIS3_PKfPfPKlfN6hipcub16HIPCUB_304000_NS6detail27convert_result_type_wrapperIS8_S9_N2at6native12_GLOBAL__N_110CustomProdEEEEE10hipError_tPvRmT0_T1_jT2_SQ_T4_T3_P12ihipStream_tbEUlT_E_NS1_11comp_targetILNS1_3genE4ELNS1_11target_archE910ELNS1_3gpuE8ELNS1_3repE0EEENS1_30default_config_static_selectorELNS0_4arch9wavefront6targetE0EEEvSP_
		.amdhsa_group_segment_fixed_size 0
		.amdhsa_private_segment_fixed_size 0
		.amdhsa_kernarg_size 48
		.amdhsa_user_sgpr_count 6
		.amdhsa_user_sgpr_private_segment_buffer 1
		.amdhsa_user_sgpr_dispatch_ptr 0
		.amdhsa_user_sgpr_queue_ptr 0
		.amdhsa_user_sgpr_kernarg_segment_ptr 1
		.amdhsa_user_sgpr_dispatch_id 0
		.amdhsa_user_sgpr_flat_scratch_init 0
		.amdhsa_user_sgpr_private_segment_size 0
		.amdhsa_wavefront_size32 1
		.amdhsa_uses_dynamic_stack 0
		.amdhsa_system_sgpr_private_segment_wavefront_offset 0
		.amdhsa_system_sgpr_workgroup_id_x 1
		.amdhsa_system_sgpr_workgroup_id_y 0
		.amdhsa_system_sgpr_workgroup_id_z 0
		.amdhsa_system_sgpr_workgroup_info 0
		.amdhsa_system_vgpr_workitem_id 0
		.amdhsa_next_free_vgpr 1
		.amdhsa_next_free_sgpr 1
		.amdhsa_reserve_vcc 0
		.amdhsa_reserve_flat_scratch 0
		.amdhsa_float_round_mode_32 0
		.amdhsa_float_round_mode_16_64 0
		.amdhsa_float_denorm_mode_32 3
		.amdhsa_float_denorm_mode_16_64 3
		.amdhsa_dx10_clamp 1
		.amdhsa_ieee_mode 1
		.amdhsa_fp16_overflow 0
		.amdhsa_workgroup_processor_mode 1
		.amdhsa_memory_ordered 1
		.amdhsa_forward_progress 1
		.amdhsa_shared_vgpr_count 0
		.amdhsa_exception_fp_ieee_invalid_op 0
		.amdhsa_exception_fp_denorm_src 0
		.amdhsa_exception_fp_ieee_div_zero 0
		.amdhsa_exception_fp_ieee_overflow 0
		.amdhsa_exception_fp_ieee_underflow 0
		.amdhsa_exception_fp_ieee_inexact 0
		.amdhsa_exception_int_div_zero 0
	.end_amdhsa_kernel
	.section	.text._ZN7rocprim17ROCPRIM_400000_NS6detail17trampoline_kernelINS0_14default_configENS1_32segmented_reduce_config_selectorIfEEZNS1_21segmented_reduce_implIS3_PKfPfPKlfN6hipcub16HIPCUB_304000_NS6detail27convert_result_type_wrapperIS8_S9_N2at6native12_GLOBAL__N_110CustomProdEEEEE10hipError_tPvRmT0_T1_jT2_SQ_T4_T3_P12ihipStream_tbEUlT_E_NS1_11comp_targetILNS1_3genE4ELNS1_11target_archE910ELNS1_3gpuE8ELNS1_3repE0EEENS1_30default_config_static_selectorELNS0_4arch9wavefront6targetE0EEEvSP_,"axG",@progbits,_ZN7rocprim17ROCPRIM_400000_NS6detail17trampoline_kernelINS0_14default_configENS1_32segmented_reduce_config_selectorIfEEZNS1_21segmented_reduce_implIS3_PKfPfPKlfN6hipcub16HIPCUB_304000_NS6detail27convert_result_type_wrapperIS8_S9_N2at6native12_GLOBAL__N_110CustomProdEEEEE10hipError_tPvRmT0_T1_jT2_SQ_T4_T3_P12ihipStream_tbEUlT_E_NS1_11comp_targetILNS1_3genE4ELNS1_11target_archE910ELNS1_3gpuE8ELNS1_3repE0EEENS1_30default_config_static_selectorELNS0_4arch9wavefront6targetE0EEEvSP_,comdat
.Lfunc_end207:
	.size	_ZN7rocprim17ROCPRIM_400000_NS6detail17trampoline_kernelINS0_14default_configENS1_32segmented_reduce_config_selectorIfEEZNS1_21segmented_reduce_implIS3_PKfPfPKlfN6hipcub16HIPCUB_304000_NS6detail27convert_result_type_wrapperIS8_S9_N2at6native12_GLOBAL__N_110CustomProdEEEEE10hipError_tPvRmT0_T1_jT2_SQ_T4_T3_P12ihipStream_tbEUlT_E_NS1_11comp_targetILNS1_3genE4ELNS1_11target_archE910ELNS1_3gpuE8ELNS1_3repE0EEENS1_30default_config_static_selectorELNS0_4arch9wavefront6targetE0EEEvSP_, .Lfunc_end207-_ZN7rocprim17ROCPRIM_400000_NS6detail17trampoline_kernelINS0_14default_configENS1_32segmented_reduce_config_selectorIfEEZNS1_21segmented_reduce_implIS3_PKfPfPKlfN6hipcub16HIPCUB_304000_NS6detail27convert_result_type_wrapperIS8_S9_N2at6native12_GLOBAL__N_110CustomProdEEEEE10hipError_tPvRmT0_T1_jT2_SQ_T4_T3_P12ihipStream_tbEUlT_E_NS1_11comp_targetILNS1_3genE4ELNS1_11target_archE910ELNS1_3gpuE8ELNS1_3repE0EEENS1_30default_config_static_selectorELNS0_4arch9wavefront6targetE0EEEvSP_
                                        ; -- End function
	.set _ZN7rocprim17ROCPRIM_400000_NS6detail17trampoline_kernelINS0_14default_configENS1_32segmented_reduce_config_selectorIfEEZNS1_21segmented_reduce_implIS3_PKfPfPKlfN6hipcub16HIPCUB_304000_NS6detail27convert_result_type_wrapperIS8_S9_N2at6native12_GLOBAL__N_110CustomProdEEEEE10hipError_tPvRmT0_T1_jT2_SQ_T4_T3_P12ihipStream_tbEUlT_E_NS1_11comp_targetILNS1_3genE4ELNS1_11target_archE910ELNS1_3gpuE8ELNS1_3repE0EEENS1_30default_config_static_selectorELNS0_4arch9wavefront6targetE0EEEvSP_.num_vgpr, 0
	.set _ZN7rocprim17ROCPRIM_400000_NS6detail17trampoline_kernelINS0_14default_configENS1_32segmented_reduce_config_selectorIfEEZNS1_21segmented_reduce_implIS3_PKfPfPKlfN6hipcub16HIPCUB_304000_NS6detail27convert_result_type_wrapperIS8_S9_N2at6native12_GLOBAL__N_110CustomProdEEEEE10hipError_tPvRmT0_T1_jT2_SQ_T4_T3_P12ihipStream_tbEUlT_E_NS1_11comp_targetILNS1_3genE4ELNS1_11target_archE910ELNS1_3gpuE8ELNS1_3repE0EEENS1_30default_config_static_selectorELNS0_4arch9wavefront6targetE0EEEvSP_.num_agpr, 0
	.set _ZN7rocprim17ROCPRIM_400000_NS6detail17trampoline_kernelINS0_14default_configENS1_32segmented_reduce_config_selectorIfEEZNS1_21segmented_reduce_implIS3_PKfPfPKlfN6hipcub16HIPCUB_304000_NS6detail27convert_result_type_wrapperIS8_S9_N2at6native12_GLOBAL__N_110CustomProdEEEEE10hipError_tPvRmT0_T1_jT2_SQ_T4_T3_P12ihipStream_tbEUlT_E_NS1_11comp_targetILNS1_3genE4ELNS1_11target_archE910ELNS1_3gpuE8ELNS1_3repE0EEENS1_30default_config_static_selectorELNS0_4arch9wavefront6targetE0EEEvSP_.numbered_sgpr, 0
	.set _ZN7rocprim17ROCPRIM_400000_NS6detail17trampoline_kernelINS0_14default_configENS1_32segmented_reduce_config_selectorIfEEZNS1_21segmented_reduce_implIS3_PKfPfPKlfN6hipcub16HIPCUB_304000_NS6detail27convert_result_type_wrapperIS8_S9_N2at6native12_GLOBAL__N_110CustomProdEEEEE10hipError_tPvRmT0_T1_jT2_SQ_T4_T3_P12ihipStream_tbEUlT_E_NS1_11comp_targetILNS1_3genE4ELNS1_11target_archE910ELNS1_3gpuE8ELNS1_3repE0EEENS1_30default_config_static_selectorELNS0_4arch9wavefront6targetE0EEEvSP_.num_named_barrier, 0
	.set _ZN7rocprim17ROCPRIM_400000_NS6detail17trampoline_kernelINS0_14default_configENS1_32segmented_reduce_config_selectorIfEEZNS1_21segmented_reduce_implIS3_PKfPfPKlfN6hipcub16HIPCUB_304000_NS6detail27convert_result_type_wrapperIS8_S9_N2at6native12_GLOBAL__N_110CustomProdEEEEE10hipError_tPvRmT0_T1_jT2_SQ_T4_T3_P12ihipStream_tbEUlT_E_NS1_11comp_targetILNS1_3genE4ELNS1_11target_archE910ELNS1_3gpuE8ELNS1_3repE0EEENS1_30default_config_static_selectorELNS0_4arch9wavefront6targetE0EEEvSP_.private_seg_size, 0
	.set _ZN7rocprim17ROCPRIM_400000_NS6detail17trampoline_kernelINS0_14default_configENS1_32segmented_reduce_config_selectorIfEEZNS1_21segmented_reduce_implIS3_PKfPfPKlfN6hipcub16HIPCUB_304000_NS6detail27convert_result_type_wrapperIS8_S9_N2at6native12_GLOBAL__N_110CustomProdEEEEE10hipError_tPvRmT0_T1_jT2_SQ_T4_T3_P12ihipStream_tbEUlT_E_NS1_11comp_targetILNS1_3genE4ELNS1_11target_archE910ELNS1_3gpuE8ELNS1_3repE0EEENS1_30default_config_static_selectorELNS0_4arch9wavefront6targetE0EEEvSP_.uses_vcc, 0
	.set _ZN7rocprim17ROCPRIM_400000_NS6detail17trampoline_kernelINS0_14default_configENS1_32segmented_reduce_config_selectorIfEEZNS1_21segmented_reduce_implIS3_PKfPfPKlfN6hipcub16HIPCUB_304000_NS6detail27convert_result_type_wrapperIS8_S9_N2at6native12_GLOBAL__N_110CustomProdEEEEE10hipError_tPvRmT0_T1_jT2_SQ_T4_T3_P12ihipStream_tbEUlT_E_NS1_11comp_targetILNS1_3genE4ELNS1_11target_archE910ELNS1_3gpuE8ELNS1_3repE0EEENS1_30default_config_static_selectorELNS0_4arch9wavefront6targetE0EEEvSP_.uses_flat_scratch, 0
	.set _ZN7rocprim17ROCPRIM_400000_NS6detail17trampoline_kernelINS0_14default_configENS1_32segmented_reduce_config_selectorIfEEZNS1_21segmented_reduce_implIS3_PKfPfPKlfN6hipcub16HIPCUB_304000_NS6detail27convert_result_type_wrapperIS8_S9_N2at6native12_GLOBAL__N_110CustomProdEEEEE10hipError_tPvRmT0_T1_jT2_SQ_T4_T3_P12ihipStream_tbEUlT_E_NS1_11comp_targetILNS1_3genE4ELNS1_11target_archE910ELNS1_3gpuE8ELNS1_3repE0EEENS1_30default_config_static_selectorELNS0_4arch9wavefront6targetE0EEEvSP_.has_dyn_sized_stack, 0
	.set _ZN7rocprim17ROCPRIM_400000_NS6detail17trampoline_kernelINS0_14default_configENS1_32segmented_reduce_config_selectorIfEEZNS1_21segmented_reduce_implIS3_PKfPfPKlfN6hipcub16HIPCUB_304000_NS6detail27convert_result_type_wrapperIS8_S9_N2at6native12_GLOBAL__N_110CustomProdEEEEE10hipError_tPvRmT0_T1_jT2_SQ_T4_T3_P12ihipStream_tbEUlT_E_NS1_11comp_targetILNS1_3genE4ELNS1_11target_archE910ELNS1_3gpuE8ELNS1_3repE0EEENS1_30default_config_static_selectorELNS0_4arch9wavefront6targetE0EEEvSP_.has_recursion, 0
	.set _ZN7rocprim17ROCPRIM_400000_NS6detail17trampoline_kernelINS0_14default_configENS1_32segmented_reduce_config_selectorIfEEZNS1_21segmented_reduce_implIS3_PKfPfPKlfN6hipcub16HIPCUB_304000_NS6detail27convert_result_type_wrapperIS8_S9_N2at6native12_GLOBAL__N_110CustomProdEEEEE10hipError_tPvRmT0_T1_jT2_SQ_T4_T3_P12ihipStream_tbEUlT_E_NS1_11comp_targetILNS1_3genE4ELNS1_11target_archE910ELNS1_3gpuE8ELNS1_3repE0EEENS1_30default_config_static_selectorELNS0_4arch9wavefront6targetE0EEEvSP_.has_indirect_call, 0
	.section	.AMDGPU.csdata,"",@progbits
; Kernel info:
; codeLenInByte = 0
; TotalNumSgprs: 0
; NumVgprs: 0
; ScratchSize: 0
; MemoryBound: 0
; FloatMode: 240
; IeeeMode: 1
; LDSByteSize: 0 bytes/workgroup (compile time only)
; SGPRBlocks: 0
; VGPRBlocks: 0
; NumSGPRsForWavesPerEU: 1
; NumVGPRsForWavesPerEU: 1
; Occupancy: 16
; WaveLimiterHint : 0
; COMPUTE_PGM_RSRC2:SCRATCH_EN: 0
; COMPUTE_PGM_RSRC2:USER_SGPR: 6
; COMPUTE_PGM_RSRC2:TRAP_HANDLER: 0
; COMPUTE_PGM_RSRC2:TGID_X_EN: 1
; COMPUTE_PGM_RSRC2:TGID_Y_EN: 0
; COMPUTE_PGM_RSRC2:TGID_Z_EN: 0
; COMPUTE_PGM_RSRC2:TIDIG_COMP_CNT: 0
	.section	.text._ZN7rocprim17ROCPRIM_400000_NS6detail17trampoline_kernelINS0_14default_configENS1_32segmented_reduce_config_selectorIfEEZNS1_21segmented_reduce_implIS3_PKfPfPKlfN6hipcub16HIPCUB_304000_NS6detail27convert_result_type_wrapperIS8_S9_N2at6native12_GLOBAL__N_110CustomProdEEEEE10hipError_tPvRmT0_T1_jT2_SQ_T4_T3_P12ihipStream_tbEUlT_E_NS1_11comp_targetILNS1_3genE3ELNS1_11target_archE908ELNS1_3gpuE7ELNS1_3repE0EEENS1_30default_config_static_selectorELNS0_4arch9wavefront6targetE0EEEvSP_,"axG",@progbits,_ZN7rocprim17ROCPRIM_400000_NS6detail17trampoline_kernelINS0_14default_configENS1_32segmented_reduce_config_selectorIfEEZNS1_21segmented_reduce_implIS3_PKfPfPKlfN6hipcub16HIPCUB_304000_NS6detail27convert_result_type_wrapperIS8_S9_N2at6native12_GLOBAL__N_110CustomProdEEEEE10hipError_tPvRmT0_T1_jT2_SQ_T4_T3_P12ihipStream_tbEUlT_E_NS1_11comp_targetILNS1_3genE3ELNS1_11target_archE908ELNS1_3gpuE7ELNS1_3repE0EEENS1_30default_config_static_selectorELNS0_4arch9wavefront6targetE0EEEvSP_,comdat
	.globl	_ZN7rocprim17ROCPRIM_400000_NS6detail17trampoline_kernelINS0_14default_configENS1_32segmented_reduce_config_selectorIfEEZNS1_21segmented_reduce_implIS3_PKfPfPKlfN6hipcub16HIPCUB_304000_NS6detail27convert_result_type_wrapperIS8_S9_N2at6native12_GLOBAL__N_110CustomProdEEEEE10hipError_tPvRmT0_T1_jT2_SQ_T4_T3_P12ihipStream_tbEUlT_E_NS1_11comp_targetILNS1_3genE3ELNS1_11target_archE908ELNS1_3gpuE7ELNS1_3repE0EEENS1_30default_config_static_selectorELNS0_4arch9wavefront6targetE0EEEvSP_ ; -- Begin function _ZN7rocprim17ROCPRIM_400000_NS6detail17trampoline_kernelINS0_14default_configENS1_32segmented_reduce_config_selectorIfEEZNS1_21segmented_reduce_implIS3_PKfPfPKlfN6hipcub16HIPCUB_304000_NS6detail27convert_result_type_wrapperIS8_S9_N2at6native12_GLOBAL__N_110CustomProdEEEEE10hipError_tPvRmT0_T1_jT2_SQ_T4_T3_P12ihipStream_tbEUlT_E_NS1_11comp_targetILNS1_3genE3ELNS1_11target_archE908ELNS1_3gpuE7ELNS1_3repE0EEENS1_30default_config_static_selectorELNS0_4arch9wavefront6targetE0EEEvSP_
	.p2align	8
	.type	_ZN7rocprim17ROCPRIM_400000_NS6detail17trampoline_kernelINS0_14default_configENS1_32segmented_reduce_config_selectorIfEEZNS1_21segmented_reduce_implIS3_PKfPfPKlfN6hipcub16HIPCUB_304000_NS6detail27convert_result_type_wrapperIS8_S9_N2at6native12_GLOBAL__N_110CustomProdEEEEE10hipError_tPvRmT0_T1_jT2_SQ_T4_T3_P12ihipStream_tbEUlT_E_NS1_11comp_targetILNS1_3genE3ELNS1_11target_archE908ELNS1_3gpuE7ELNS1_3repE0EEENS1_30default_config_static_selectorELNS0_4arch9wavefront6targetE0EEEvSP_,@function
_ZN7rocprim17ROCPRIM_400000_NS6detail17trampoline_kernelINS0_14default_configENS1_32segmented_reduce_config_selectorIfEEZNS1_21segmented_reduce_implIS3_PKfPfPKlfN6hipcub16HIPCUB_304000_NS6detail27convert_result_type_wrapperIS8_S9_N2at6native12_GLOBAL__N_110CustomProdEEEEE10hipError_tPvRmT0_T1_jT2_SQ_T4_T3_P12ihipStream_tbEUlT_E_NS1_11comp_targetILNS1_3genE3ELNS1_11target_archE908ELNS1_3gpuE7ELNS1_3repE0EEENS1_30default_config_static_selectorELNS0_4arch9wavefront6targetE0EEEvSP_: ; @_ZN7rocprim17ROCPRIM_400000_NS6detail17trampoline_kernelINS0_14default_configENS1_32segmented_reduce_config_selectorIfEEZNS1_21segmented_reduce_implIS3_PKfPfPKlfN6hipcub16HIPCUB_304000_NS6detail27convert_result_type_wrapperIS8_S9_N2at6native12_GLOBAL__N_110CustomProdEEEEE10hipError_tPvRmT0_T1_jT2_SQ_T4_T3_P12ihipStream_tbEUlT_E_NS1_11comp_targetILNS1_3genE3ELNS1_11target_archE908ELNS1_3gpuE7ELNS1_3repE0EEENS1_30default_config_static_selectorELNS0_4arch9wavefront6targetE0EEEvSP_
; %bb.0:
	.section	.rodata,"a",@progbits
	.p2align	6, 0x0
	.amdhsa_kernel _ZN7rocprim17ROCPRIM_400000_NS6detail17trampoline_kernelINS0_14default_configENS1_32segmented_reduce_config_selectorIfEEZNS1_21segmented_reduce_implIS3_PKfPfPKlfN6hipcub16HIPCUB_304000_NS6detail27convert_result_type_wrapperIS8_S9_N2at6native12_GLOBAL__N_110CustomProdEEEEE10hipError_tPvRmT0_T1_jT2_SQ_T4_T3_P12ihipStream_tbEUlT_E_NS1_11comp_targetILNS1_3genE3ELNS1_11target_archE908ELNS1_3gpuE7ELNS1_3repE0EEENS1_30default_config_static_selectorELNS0_4arch9wavefront6targetE0EEEvSP_
		.amdhsa_group_segment_fixed_size 0
		.amdhsa_private_segment_fixed_size 0
		.amdhsa_kernarg_size 48
		.amdhsa_user_sgpr_count 6
		.amdhsa_user_sgpr_private_segment_buffer 1
		.amdhsa_user_sgpr_dispatch_ptr 0
		.amdhsa_user_sgpr_queue_ptr 0
		.amdhsa_user_sgpr_kernarg_segment_ptr 1
		.amdhsa_user_sgpr_dispatch_id 0
		.amdhsa_user_sgpr_flat_scratch_init 0
		.amdhsa_user_sgpr_private_segment_size 0
		.amdhsa_wavefront_size32 1
		.amdhsa_uses_dynamic_stack 0
		.amdhsa_system_sgpr_private_segment_wavefront_offset 0
		.amdhsa_system_sgpr_workgroup_id_x 1
		.amdhsa_system_sgpr_workgroup_id_y 0
		.amdhsa_system_sgpr_workgroup_id_z 0
		.amdhsa_system_sgpr_workgroup_info 0
		.amdhsa_system_vgpr_workitem_id 0
		.amdhsa_next_free_vgpr 1
		.amdhsa_next_free_sgpr 1
		.amdhsa_reserve_vcc 0
		.amdhsa_reserve_flat_scratch 0
		.amdhsa_float_round_mode_32 0
		.amdhsa_float_round_mode_16_64 0
		.amdhsa_float_denorm_mode_32 3
		.amdhsa_float_denorm_mode_16_64 3
		.amdhsa_dx10_clamp 1
		.amdhsa_ieee_mode 1
		.amdhsa_fp16_overflow 0
		.amdhsa_workgroup_processor_mode 1
		.amdhsa_memory_ordered 1
		.amdhsa_forward_progress 1
		.amdhsa_shared_vgpr_count 0
		.amdhsa_exception_fp_ieee_invalid_op 0
		.amdhsa_exception_fp_denorm_src 0
		.amdhsa_exception_fp_ieee_div_zero 0
		.amdhsa_exception_fp_ieee_overflow 0
		.amdhsa_exception_fp_ieee_underflow 0
		.amdhsa_exception_fp_ieee_inexact 0
		.amdhsa_exception_int_div_zero 0
	.end_amdhsa_kernel
	.section	.text._ZN7rocprim17ROCPRIM_400000_NS6detail17trampoline_kernelINS0_14default_configENS1_32segmented_reduce_config_selectorIfEEZNS1_21segmented_reduce_implIS3_PKfPfPKlfN6hipcub16HIPCUB_304000_NS6detail27convert_result_type_wrapperIS8_S9_N2at6native12_GLOBAL__N_110CustomProdEEEEE10hipError_tPvRmT0_T1_jT2_SQ_T4_T3_P12ihipStream_tbEUlT_E_NS1_11comp_targetILNS1_3genE3ELNS1_11target_archE908ELNS1_3gpuE7ELNS1_3repE0EEENS1_30default_config_static_selectorELNS0_4arch9wavefront6targetE0EEEvSP_,"axG",@progbits,_ZN7rocprim17ROCPRIM_400000_NS6detail17trampoline_kernelINS0_14default_configENS1_32segmented_reduce_config_selectorIfEEZNS1_21segmented_reduce_implIS3_PKfPfPKlfN6hipcub16HIPCUB_304000_NS6detail27convert_result_type_wrapperIS8_S9_N2at6native12_GLOBAL__N_110CustomProdEEEEE10hipError_tPvRmT0_T1_jT2_SQ_T4_T3_P12ihipStream_tbEUlT_E_NS1_11comp_targetILNS1_3genE3ELNS1_11target_archE908ELNS1_3gpuE7ELNS1_3repE0EEENS1_30default_config_static_selectorELNS0_4arch9wavefront6targetE0EEEvSP_,comdat
.Lfunc_end208:
	.size	_ZN7rocprim17ROCPRIM_400000_NS6detail17trampoline_kernelINS0_14default_configENS1_32segmented_reduce_config_selectorIfEEZNS1_21segmented_reduce_implIS3_PKfPfPKlfN6hipcub16HIPCUB_304000_NS6detail27convert_result_type_wrapperIS8_S9_N2at6native12_GLOBAL__N_110CustomProdEEEEE10hipError_tPvRmT0_T1_jT2_SQ_T4_T3_P12ihipStream_tbEUlT_E_NS1_11comp_targetILNS1_3genE3ELNS1_11target_archE908ELNS1_3gpuE7ELNS1_3repE0EEENS1_30default_config_static_selectorELNS0_4arch9wavefront6targetE0EEEvSP_, .Lfunc_end208-_ZN7rocprim17ROCPRIM_400000_NS6detail17trampoline_kernelINS0_14default_configENS1_32segmented_reduce_config_selectorIfEEZNS1_21segmented_reduce_implIS3_PKfPfPKlfN6hipcub16HIPCUB_304000_NS6detail27convert_result_type_wrapperIS8_S9_N2at6native12_GLOBAL__N_110CustomProdEEEEE10hipError_tPvRmT0_T1_jT2_SQ_T4_T3_P12ihipStream_tbEUlT_E_NS1_11comp_targetILNS1_3genE3ELNS1_11target_archE908ELNS1_3gpuE7ELNS1_3repE0EEENS1_30default_config_static_selectorELNS0_4arch9wavefront6targetE0EEEvSP_
                                        ; -- End function
	.set _ZN7rocprim17ROCPRIM_400000_NS6detail17trampoline_kernelINS0_14default_configENS1_32segmented_reduce_config_selectorIfEEZNS1_21segmented_reduce_implIS3_PKfPfPKlfN6hipcub16HIPCUB_304000_NS6detail27convert_result_type_wrapperIS8_S9_N2at6native12_GLOBAL__N_110CustomProdEEEEE10hipError_tPvRmT0_T1_jT2_SQ_T4_T3_P12ihipStream_tbEUlT_E_NS1_11comp_targetILNS1_3genE3ELNS1_11target_archE908ELNS1_3gpuE7ELNS1_3repE0EEENS1_30default_config_static_selectorELNS0_4arch9wavefront6targetE0EEEvSP_.num_vgpr, 0
	.set _ZN7rocprim17ROCPRIM_400000_NS6detail17trampoline_kernelINS0_14default_configENS1_32segmented_reduce_config_selectorIfEEZNS1_21segmented_reduce_implIS3_PKfPfPKlfN6hipcub16HIPCUB_304000_NS6detail27convert_result_type_wrapperIS8_S9_N2at6native12_GLOBAL__N_110CustomProdEEEEE10hipError_tPvRmT0_T1_jT2_SQ_T4_T3_P12ihipStream_tbEUlT_E_NS1_11comp_targetILNS1_3genE3ELNS1_11target_archE908ELNS1_3gpuE7ELNS1_3repE0EEENS1_30default_config_static_selectorELNS0_4arch9wavefront6targetE0EEEvSP_.num_agpr, 0
	.set _ZN7rocprim17ROCPRIM_400000_NS6detail17trampoline_kernelINS0_14default_configENS1_32segmented_reduce_config_selectorIfEEZNS1_21segmented_reduce_implIS3_PKfPfPKlfN6hipcub16HIPCUB_304000_NS6detail27convert_result_type_wrapperIS8_S9_N2at6native12_GLOBAL__N_110CustomProdEEEEE10hipError_tPvRmT0_T1_jT2_SQ_T4_T3_P12ihipStream_tbEUlT_E_NS1_11comp_targetILNS1_3genE3ELNS1_11target_archE908ELNS1_3gpuE7ELNS1_3repE0EEENS1_30default_config_static_selectorELNS0_4arch9wavefront6targetE0EEEvSP_.numbered_sgpr, 0
	.set _ZN7rocprim17ROCPRIM_400000_NS6detail17trampoline_kernelINS0_14default_configENS1_32segmented_reduce_config_selectorIfEEZNS1_21segmented_reduce_implIS3_PKfPfPKlfN6hipcub16HIPCUB_304000_NS6detail27convert_result_type_wrapperIS8_S9_N2at6native12_GLOBAL__N_110CustomProdEEEEE10hipError_tPvRmT0_T1_jT2_SQ_T4_T3_P12ihipStream_tbEUlT_E_NS1_11comp_targetILNS1_3genE3ELNS1_11target_archE908ELNS1_3gpuE7ELNS1_3repE0EEENS1_30default_config_static_selectorELNS0_4arch9wavefront6targetE0EEEvSP_.num_named_barrier, 0
	.set _ZN7rocprim17ROCPRIM_400000_NS6detail17trampoline_kernelINS0_14default_configENS1_32segmented_reduce_config_selectorIfEEZNS1_21segmented_reduce_implIS3_PKfPfPKlfN6hipcub16HIPCUB_304000_NS6detail27convert_result_type_wrapperIS8_S9_N2at6native12_GLOBAL__N_110CustomProdEEEEE10hipError_tPvRmT0_T1_jT2_SQ_T4_T3_P12ihipStream_tbEUlT_E_NS1_11comp_targetILNS1_3genE3ELNS1_11target_archE908ELNS1_3gpuE7ELNS1_3repE0EEENS1_30default_config_static_selectorELNS0_4arch9wavefront6targetE0EEEvSP_.private_seg_size, 0
	.set _ZN7rocprim17ROCPRIM_400000_NS6detail17trampoline_kernelINS0_14default_configENS1_32segmented_reduce_config_selectorIfEEZNS1_21segmented_reduce_implIS3_PKfPfPKlfN6hipcub16HIPCUB_304000_NS6detail27convert_result_type_wrapperIS8_S9_N2at6native12_GLOBAL__N_110CustomProdEEEEE10hipError_tPvRmT0_T1_jT2_SQ_T4_T3_P12ihipStream_tbEUlT_E_NS1_11comp_targetILNS1_3genE3ELNS1_11target_archE908ELNS1_3gpuE7ELNS1_3repE0EEENS1_30default_config_static_selectorELNS0_4arch9wavefront6targetE0EEEvSP_.uses_vcc, 0
	.set _ZN7rocprim17ROCPRIM_400000_NS6detail17trampoline_kernelINS0_14default_configENS1_32segmented_reduce_config_selectorIfEEZNS1_21segmented_reduce_implIS3_PKfPfPKlfN6hipcub16HIPCUB_304000_NS6detail27convert_result_type_wrapperIS8_S9_N2at6native12_GLOBAL__N_110CustomProdEEEEE10hipError_tPvRmT0_T1_jT2_SQ_T4_T3_P12ihipStream_tbEUlT_E_NS1_11comp_targetILNS1_3genE3ELNS1_11target_archE908ELNS1_3gpuE7ELNS1_3repE0EEENS1_30default_config_static_selectorELNS0_4arch9wavefront6targetE0EEEvSP_.uses_flat_scratch, 0
	.set _ZN7rocprim17ROCPRIM_400000_NS6detail17trampoline_kernelINS0_14default_configENS1_32segmented_reduce_config_selectorIfEEZNS1_21segmented_reduce_implIS3_PKfPfPKlfN6hipcub16HIPCUB_304000_NS6detail27convert_result_type_wrapperIS8_S9_N2at6native12_GLOBAL__N_110CustomProdEEEEE10hipError_tPvRmT0_T1_jT2_SQ_T4_T3_P12ihipStream_tbEUlT_E_NS1_11comp_targetILNS1_3genE3ELNS1_11target_archE908ELNS1_3gpuE7ELNS1_3repE0EEENS1_30default_config_static_selectorELNS0_4arch9wavefront6targetE0EEEvSP_.has_dyn_sized_stack, 0
	.set _ZN7rocprim17ROCPRIM_400000_NS6detail17trampoline_kernelINS0_14default_configENS1_32segmented_reduce_config_selectorIfEEZNS1_21segmented_reduce_implIS3_PKfPfPKlfN6hipcub16HIPCUB_304000_NS6detail27convert_result_type_wrapperIS8_S9_N2at6native12_GLOBAL__N_110CustomProdEEEEE10hipError_tPvRmT0_T1_jT2_SQ_T4_T3_P12ihipStream_tbEUlT_E_NS1_11comp_targetILNS1_3genE3ELNS1_11target_archE908ELNS1_3gpuE7ELNS1_3repE0EEENS1_30default_config_static_selectorELNS0_4arch9wavefront6targetE0EEEvSP_.has_recursion, 0
	.set _ZN7rocprim17ROCPRIM_400000_NS6detail17trampoline_kernelINS0_14default_configENS1_32segmented_reduce_config_selectorIfEEZNS1_21segmented_reduce_implIS3_PKfPfPKlfN6hipcub16HIPCUB_304000_NS6detail27convert_result_type_wrapperIS8_S9_N2at6native12_GLOBAL__N_110CustomProdEEEEE10hipError_tPvRmT0_T1_jT2_SQ_T4_T3_P12ihipStream_tbEUlT_E_NS1_11comp_targetILNS1_3genE3ELNS1_11target_archE908ELNS1_3gpuE7ELNS1_3repE0EEENS1_30default_config_static_selectorELNS0_4arch9wavefront6targetE0EEEvSP_.has_indirect_call, 0
	.section	.AMDGPU.csdata,"",@progbits
; Kernel info:
; codeLenInByte = 0
; TotalNumSgprs: 0
; NumVgprs: 0
; ScratchSize: 0
; MemoryBound: 0
; FloatMode: 240
; IeeeMode: 1
; LDSByteSize: 0 bytes/workgroup (compile time only)
; SGPRBlocks: 0
; VGPRBlocks: 0
; NumSGPRsForWavesPerEU: 1
; NumVGPRsForWavesPerEU: 1
; Occupancy: 16
; WaveLimiterHint : 0
; COMPUTE_PGM_RSRC2:SCRATCH_EN: 0
; COMPUTE_PGM_RSRC2:USER_SGPR: 6
; COMPUTE_PGM_RSRC2:TRAP_HANDLER: 0
; COMPUTE_PGM_RSRC2:TGID_X_EN: 1
; COMPUTE_PGM_RSRC2:TGID_Y_EN: 0
; COMPUTE_PGM_RSRC2:TGID_Z_EN: 0
; COMPUTE_PGM_RSRC2:TIDIG_COMP_CNT: 0
	.section	.text._ZN7rocprim17ROCPRIM_400000_NS6detail17trampoline_kernelINS0_14default_configENS1_32segmented_reduce_config_selectorIfEEZNS1_21segmented_reduce_implIS3_PKfPfPKlfN6hipcub16HIPCUB_304000_NS6detail27convert_result_type_wrapperIS8_S9_N2at6native12_GLOBAL__N_110CustomProdEEEEE10hipError_tPvRmT0_T1_jT2_SQ_T4_T3_P12ihipStream_tbEUlT_E_NS1_11comp_targetILNS1_3genE2ELNS1_11target_archE906ELNS1_3gpuE6ELNS1_3repE0EEENS1_30default_config_static_selectorELNS0_4arch9wavefront6targetE0EEEvSP_,"axG",@progbits,_ZN7rocprim17ROCPRIM_400000_NS6detail17trampoline_kernelINS0_14default_configENS1_32segmented_reduce_config_selectorIfEEZNS1_21segmented_reduce_implIS3_PKfPfPKlfN6hipcub16HIPCUB_304000_NS6detail27convert_result_type_wrapperIS8_S9_N2at6native12_GLOBAL__N_110CustomProdEEEEE10hipError_tPvRmT0_T1_jT2_SQ_T4_T3_P12ihipStream_tbEUlT_E_NS1_11comp_targetILNS1_3genE2ELNS1_11target_archE906ELNS1_3gpuE6ELNS1_3repE0EEENS1_30default_config_static_selectorELNS0_4arch9wavefront6targetE0EEEvSP_,comdat
	.globl	_ZN7rocprim17ROCPRIM_400000_NS6detail17trampoline_kernelINS0_14default_configENS1_32segmented_reduce_config_selectorIfEEZNS1_21segmented_reduce_implIS3_PKfPfPKlfN6hipcub16HIPCUB_304000_NS6detail27convert_result_type_wrapperIS8_S9_N2at6native12_GLOBAL__N_110CustomProdEEEEE10hipError_tPvRmT0_T1_jT2_SQ_T4_T3_P12ihipStream_tbEUlT_E_NS1_11comp_targetILNS1_3genE2ELNS1_11target_archE906ELNS1_3gpuE6ELNS1_3repE0EEENS1_30default_config_static_selectorELNS0_4arch9wavefront6targetE0EEEvSP_ ; -- Begin function _ZN7rocprim17ROCPRIM_400000_NS6detail17trampoline_kernelINS0_14default_configENS1_32segmented_reduce_config_selectorIfEEZNS1_21segmented_reduce_implIS3_PKfPfPKlfN6hipcub16HIPCUB_304000_NS6detail27convert_result_type_wrapperIS8_S9_N2at6native12_GLOBAL__N_110CustomProdEEEEE10hipError_tPvRmT0_T1_jT2_SQ_T4_T3_P12ihipStream_tbEUlT_E_NS1_11comp_targetILNS1_3genE2ELNS1_11target_archE906ELNS1_3gpuE6ELNS1_3repE0EEENS1_30default_config_static_selectorELNS0_4arch9wavefront6targetE0EEEvSP_
	.p2align	8
	.type	_ZN7rocprim17ROCPRIM_400000_NS6detail17trampoline_kernelINS0_14default_configENS1_32segmented_reduce_config_selectorIfEEZNS1_21segmented_reduce_implIS3_PKfPfPKlfN6hipcub16HIPCUB_304000_NS6detail27convert_result_type_wrapperIS8_S9_N2at6native12_GLOBAL__N_110CustomProdEEEEE10hipError_tPvRmT0_T1_jT2_SQ_T4_T3_P12ihipStream_tbEUlT_E_NS1_11comp_targetILNS1_3genE2ELNS1_11target_archE906ELNS1_3gpuE6ELNS1_3repE0EEENS1_30default_config_static_selectorELNS0_4arch9wavefront6targetE0EEEvSP_,@function
_ZN7rocprim17ROCPRIM_400000_NS6detail17trampoline_kernelINS0_14default_configENS1_32segmented_reduce_config_selectorIfEEZNS1_21segmented_reduce_implIS3_PKfPfPKlfN6hipcub16HIPCUB_304000_NS6detail27convert_result_type_wrapperIS8_S9_N2at6native12_GLOBAL__N_110CustomProdEEEEE10hipError_tPvRmT0_T1_jT2_SQ_T4_T3_P12ihipStream_tbEUlT_E_NS1_11comp_targetILNS1_3genE2ELNS1_11target_archE906ELNS1_3gpuE6ELNS1_3repE0EEENS1_30default_config_static_selectorELNS0_4arch9wavefront6targetE0EEEvSP_: ; @_ZN7rocprim17ROCPRIM_400000_NS6detail17trampoline_kernelINS0_14default_configENS1_32segmented_reduce_config_selectorIfEEZNS1_21segmented_reduce_implIS3_PKfPfPKlfN6hipcub16HIPCUB_304000_NS6detail27convert_result_type_wrapperIS8_S9_N2at6native12_GLOBAL__N_110CustomProdEEEEE10hipError_tPvRmT0_T1_jT2_SQ_T4_T3_P12ihipStream_tbEUlT_E_NS1_11comp_targetILNS1_3genE2ELNS1_11target_archE906ELNS1_3gpuE6ELNS1_3repE0EEENS1_30default_config_static_selectorELNS0_4arch9wavefront6targetE0EEEvSP_
; %bb.0:
	.section	.rodata,"a",@progbits
	.p2align	6, 0x0
	.amdhsa_kernel _ZN7rocprim17ROCPRIM_400000_NS6detail17trampoline_kernelINS0_14default_configENS1_32segmented_reduce_config_selectorIfEEZNS1_21segmented_reduce_implIS3_PKfPfPKlfN6hipcub16HIPCUB_304000_NS6detail27convert_result_type_wrapperIS8_S9_N2at6native12_GLOBAL__N_110CustomProdEEEEE10hipError_tPvRmT0_T1_jT2_SQ_T4_T3_P12ihipStream_tbEUlT_E_NS1_11comp_targetILNS1_3genE2ELNS1_11target_archE906ELNS1_3gpuE6ELNS1_3repE0EEENS1_30default_config_static_selectorELNS0_4arch9wavefront6targetE0EEEvSP_
		.amdhsa_group_segment_fixed_size 0
		.amdhsa_private_segment_fixed_size 0
		.amdhsa_kernarg_size 48
		.amdhsa_user_sgpr_count 6
		.amdhsa_user_sgpr_private_segment_buffer 1
		.amdhsa_user_sgpr_dispatch_ptr 0
		.amdhsa_user_sgpr_queue_ptr 0
		.amdhsa_user_sgpr_kernarg_segment_ptr 1
		.amdhsa_user_sgpr_dispatch_id 0
		.amdhsa_user_sgpr_flat_scratch_init 0
		.amdhsa_user_sgpr_private_segment_size 0
		.amdhsa_wavefront_size32 1
		.amdhsa_uses_dynamic_stack 0
		.amdhsa_system_sgpr_private_segment_wavefront_offset 0
		.amdhsa_system_sgpr_workgroup_id_x 1
		.amdhsa_system_sgpr_workgroup_id_y 0
		.amdhsa_system_sgpr_workgroup_id_z 0
		.amdhsa_system_sgpr_workgroup_info 0
		.amdhsa_system_vgpr_workitem_id 0
		.amdhsa_next_free_vgpr 1
		.amdhsa_next_free_sgpr 1
		.amdhsa_reserve_vcc 0
		.amdhsa_reserve_flat_scratch 0
		.amdhsa_float_round_mode_32 0
		.amdhsa_float_round_mode_16_64 0
		.amdhsa_float_denorm_mode_32 3
		.amdhsa_float_denorm_mode_16_64 3
		.amdhsa_dx10_clamp 1
		.amdhsa_ieee_mode 1
		.amdhsa_fp16_overflow 0
		.amdhsa_workgroup_processor_mode 1
		.amdhsa_memory_ordered 1
		.amdhsa_forward_progress 1
		.amdhsa_shared_vgpr_count 0
		.amdhsa_exception_fp_ieee_invalid_op 0
		.amdhsa_exception_fp_denorm_src 0
		.amdhsa_exception_fp_ieee_div_zero 0
		.amdhsa_exception_fp_ieee_overflow 0
		.amdhsa_exception_fp_ieee_underflow 0
		.amdhsa_exception_fp_ieee_inexact 0
		.amdhsa_exception_int_div_zero 0
	.end_amdhsa_kernel
	.section	.text._ZN7rocprim17ROCPRIM_400000_NS6detail17trampoline_kernelINS0_14default_configENS1_32segmented_reduce_config_selectorIfEEZNS1_21segmented_reduce_implIS3_PKfPfPKlfN6hipcub16HIPCUB_304000_NS6detail27convert_result_type_wrapperIS8_S9_N2at6native12_GLOBAL__N_110CustomProdEEEEE10hipError_tPvRmT0_T1_jT2_SQ_T4_T3_P12ihipStream_tbEUlT_E_NS1_11comp_targetILNS1_3genE2ELNS1_11target_archE906ELNS1_3gpuE6ELNS1_3repE0EEENS1_30default_config_static_selectorELNS0_4arch9wavefront6targetE0EEEvSP_,"axG",@progbits,_ZN7rocprim17ROCPRIM_400000_NS6detail17trampoline_kernelINS0_14default_configENS1_32segmented_reduce_config_selectorIfEEZNS1_21segmented_reduce_implIS3_PKfPfPKlfN6hipcub16HIPCUB_304000_NS6detail27convert_result_type_wrapperIS8_S9_N2at6native12_GLOBAL__N_110CustomProdEEEEE10hipError_tPvRmT0_T1_jT2_SQ_T4_T3_P12ihipStream_tbEUlT_E_NS1_11comp_targetILNS1_3genE2ELNS1_11target_archE906ELNS1_3gpuE6ELNS1_3repE0EEENS1_30default_config_static_selectorELNS0_4arch9wavefront6targetE0EEEvSP_,comdat
.Lfunc_end209:
	.size	_ZN7rocprim17ROCPRIM_400000_NS6detail17trampoline_kernelINS0_14default_configENS1_32segmented_reduce_config_selectorIfEEZNS1_21segmented_reduce_implIS3_PKfPfPKlfN6hipcub16HIPCUB_304000_NS6detail27convert_result_type_wrapperIS8_S9_N2at6native12_GLOBAL__N_110CustomProdEEEEE10hipError_tPvRmT0_T1_jT2_SQ_T4_T3_P12ihipStream_tbEUlT_E_NS1_11comp_targetILNS1_3genE2ELNS1_11target_archE906ELNS1_3gpuE6ELNS1_3repE0EEENS1_30default_config_static_selectorELNS0_4arch9wavefront6targetE0EEEvSP_, .Lfunc_end209-_ZN7rocprim17ROCPRIM_400000_NS6detail17trampoline_kernelINS0_14default_configENS1_32segmented_reduce_config_selectorIfEEZNS1_21segmented_reduce_implIS3_PKfPfPKlfN6hipcub16HIPCUB_304000_NS6detail27convert_result_type_wrapperIS8_S9_N2at6native12_GLOBAL__N_110CustomProdEEEEE10hipError_tPvRmT0_T1_jT2_SQ_T4_T3_P12ihipStream_tbEUlT_E_NS1_11comp_targetILNS1_3genE2ELNS1_11target_archE906ELNS1_3gpuE6ELNS1_3repE0EEENS1_30default_config_static_selectorELNS0_4arch9wavefront6targetE0EEEvSP_
                                        ; -- End function
	.set _ZN7rocprim17ROCPRIM_400000_NS6detail17trampoline_kernelINS0_14default_configENS1_32segmented_reduce_config_selectorIfEEZNS1_21segmented_reduce_implIS3_PKfPfPKlfN6hipcub16HIPCUB_304000_NS6detail27convert_result_type_wrapperIS8_S9_N2at6native12_GLOBAL__N_110CustomProdEEEEE10hipError_tPvRmT0_T1_jT2_SQ_T4_T3_P12ihipStream_tbEUlT_E_NS1_11comp_targetILNS1_3genE2ELNS1_11target_archE906ELNS1_3gpuE6ELNS1_3repE0EEENS1_30default_config_static_selectorELNS0_4arch9wavefront6targetE0EEEvSP_.num_vgpr, 0
	.set _ZN7rocprim17ROCPRIM_400000_NS6detail17trampoline_kernelINS0_14default_configENS1_32segmented_reduce_config_selectorIfEEZNS1_21segmented_reduce_implIS3_PKfPfPKlfN6hipcub16HIPCUB_304000_NS6detail27convert_result_type_wrapperIS8_S9_N2at6native12_GLOBAL__N_110CustomProdEEEEE10hipError_tPvRmT0_T1_jT2_SQ_T4_T3_P12ihipStream_tbEUlT_E_NS1_11comp_targetILNS1_3genE2ELNS1_11target_archE906ELNS1_3gpuE6ELNS1_3repE0EEENS1_30default_config_static_selectorELNS0_4arch9wavefront6targetE0EEEvSP_.num_agpr, 0
	.set _ZN7rocprim17ROCPRIM_400000_NS6detail17trampoline_kernelINS0_14default_configENS1_32segmented_reduce_config_selectorIfEEZNS1_21segmented_reduce_implIS3_PKfPfPKlfN6hipcub16HIPCUB_304000_NS6detail27convert_result_type_wrapperIS8_S9_N2at6native12_GLOBAL__N_110CustomProdEEEEE10hipError_tPvRmT0_T1_jT2_SQ_T4_T3_P12ihipStream_tbEUlT_E_NS1_11comp_targetILNS1_3genE2ELNS1_11target_archE906ELNS1_3gpuE6ELNS1_3repE0EEENS1_30default_config_static_selectorELNS0_4arch9wavefront6targetE0EEEvSP_.numbered_sgpr, 0
	.set _ZN7rocprim17ROCPRIM_400000_NS6detail17trampoline_kernelINS0_14default_configENS1_32segmented_reduce_config_selectorIfEEZNS1_21segmented_reduce_implIS3_PKfPfPKlfN6hipcub16HIPCUB_304000_NS6detail27convert_result_type_wrapperIS8_S9_N2at6native12_GLOBAL__N_110CustomProdEEEEE10hipError_tPvRmT0_T1_jT2_SQ_T4_T3_P12ihipStream_tbEUlT_E_NS1_11comp_targetILNS1_3genE2ELNS1_11target_archE906ELNS1_3gpuE6ELNS1_3repE0EEENS1_30default_config_static_selectorELNS0_4arch9wavefront6targetE0EEEvSP_.num_named_barrier, 0
	.set _ZN7rocprim17ROCPRIM_400000_NS6detail17trampoline_kernelINS0_14default_configENS1_32segmented_reduce_config_selectorIfEEZNS1_21segmented_reduce_implIS3_PKfPfPKlfN6hipcub16HIPCUB_304000_NS6detail27convert_result_type_wrapperIS8_S9_N2at6native12_GLOBAL__N_110CustomProdEEEEE10hipError_tPvRmT0_T1_jT2_SQ_T4_T3_P12ihipStream_tbEUlT_E_NS1_11comp_targetILNS1_3genE2ELNS1_11target_archE906ELNS1_3gpuE6ELNS1_3repE0EEENS1_30default_config_static_selectorELNS0_4arch9wavefront6targetE0EEEvSP_.private_seg_size, 0
	.set _ZN7rocprim17ROCPRIM_400000_NS6detail17trampoline_kernelINS0_14default_configENS1_32segmented_reduce_config_selectorIfEEZNS1_21segmented_reduce_implIS3_PKfPfPKlfN6hipcub16HIPCUB_304000_NS6detail27convert_result_type_wrapperIS8_S9_N2at6native12_GLOBAL__N_110CustomProdEEEEE10hipError_tPvRmT0_T1_jT2_SQ_T4_T3_P12ihipStream_tbEUlT_E_NS1_11comp_targetILNS1_3genE2ELNS1_11target_archE906ELNS1_3gpuE6ELNS1_3repE0EEENS1_30default_config_static_selectorELNS0_4arch9wavefront6targetE0EEEvSP_.uses_vcc, 0
	.set _ZN7rocprim17ROCPRIM_400000_NS6detail17trampoline_kernelINS0_14default_configENS1_32segmented_reduce_config_selectorIfEEZNS1_21segmented_reduce_implIS3_PKfPfPKlfN6hipcub16HIPCUB_304000_NS6detail27convert_result_type_wrapperIS8_S9_N2at6native12_GLOBAL__N_110CustomProdEEEEE10hipError_tPvRmT0_T1_jT2_SQ_T4_T3_P12ihipStream_tbEUlT_E_NS1_11comp_targetILNS1_3genE2ELNS1_11target_archE906ELNS1_3gpuE6ELNS1_3repE0EEENS1_30default_config_static_selectorELNS0_4arch9wavefront6targetE0EEEvSP_.uses_flat_scratch, 0
	.set _ZN7rocprim17ROCPRIM_400000_NS6detail17trampoline_kernelINS0_14default_configENS1_32segmented_reduce_config_selectorIfEEZNS1_21segmented_reduce_implIS3_PKfPfPKlfN6hipcub16HIPCUB_304000_NS6detail27convert_result_type_wrapperIS8_S9_N2at6native12_GLOBAL__N_110CustomProdEEEEE10hipError_tPvRmT0_T1_jT2_SQ_T4_T3_P12ihipStream_tbEUlT_E_NS1_11comp_targetILNS1_3genE2ELNS1_11target_archE906ELNS1_3gpuE6ELNS1_3repE0EEENS1_30default_config_static_selectorELNS0_4arch9wavefront6targetE0EEEvSP_.has_dyn_sized_stack, 0
	.set _ZN7rocprim17ROCPRIM_400000_NS6detail17trampoline_kernelINS0_14default_configENS1_32segmented_reduce_config_selectorIfEEZNS1_21segmented_reduce_implIS3_PKfPfPKlfN6hipcub16HIPCUB_304000_NS6detail27convert_result_type_wrapperIS8_S9_N2at6native12_GLOBAL__N_110CustomProdEEEEE10hipError_tPvRmT0_T1_jT2_SQ_T4_T3_P12ihipStream_tbEUlT_E_NS1_11comp_targetILNS1_3genE2ELNS1_11target_archE906ELNS1_3gpuE6ELNS1_3repE0EEENS1_30default_config_static_selectorELNS0_4arch9wavefront6targetE0EEEvSP_.has_recursion, 0
	.set _ZN7rocprim17ROCPRIM_400000_NS6detail17trampoline_kernelINS0_14default_configENS1_32segmented_reduce_config_selectorIfEEZNS1_21segmented_reduce_implIS3_PKfPfPKlfN6hipcub16HIPCUB_304000_NS6detail27convert_result_type_wrapperIS8_S9_N2at6native12_GLOBAL__N_110CustomProdEEEEE10hipError_tPvRmT0_T1_jT2_SQ_T4_T3_P12ihipStream_tbEUlT_E_NS1_11comp_targetILNS1_3genE2ELNS1_11target_archE906ELNS1_3gpuE6ELNS1_3repE0EEENS1_30default_config_static_selectorELNS0_4arch9wavefront6targetE0EEEvSP_.has_indirect_call, 0
	.section	.AMDGPU.csdata,"",@progbits
; Kernel info:
; codeLenInByte = 0
; TotalNumSgprs: 0
; NumVgprs: 0
; ScratchSize: 0
; MemoryBound: 0
; FloatMode: 240
; IeeeMode: 1
; LDSByteSize: 0 bytes/workgroup (compile time only)
; SGPRBlocks: 0
; VGPRBlocks: 0
; NumSGPRsForWavesPerEU: 1
; NumVGPRsForWavesPerEU: 1
; Occupancy: 16
; WaveLimiterHint : 0
; COMPUTE_PGM_RSRC2:SCRATCH_EN: 0
; COMPUTE_PGM_RSRC2:USER_SGPR: 6
; COMPUTE_PGM_RSRC2:TRAP_HANDLER: 0
; COMPUTE_PGM_RSRC2:TGID_X_EN: 1
; COMPUTE_PGM_RSRC2:TGID_Y_EN: 0
; COMPUTE_PGM_RSRC2:TGID_Z_EN: 0
; COMPUTE_PGM_RSRC2:TIDIG_COMP_CNT: 0
	.section	.text._ZN7rocprim17ROCPRIM_400000_NS6detail17trampoline_kernelINS0_14default_configENS1_32segmented_reduce_config_selectorIfEEZNS1_21segmented_reduce_implIS3_PKfPfPKlfN6hipcub16HIPCUB_304000_NS6detail27convert_result_type_wrapperIS8_S9_N2at6native12_GLOBAL__N_110CustomProdEEEEE10hipError_tPvRmT0_T1_jT2_SQ_T4_T3_P12ihipStream_tbEUlT_E_NS1_11comp_targetILNS1_3genE9ELNS1_11target_archE1100ELNS1_3gpuE3ELNS1_3repE0EEENS1_30default_config_static_selectorELNS0_4arch9wavefront6targetE0EEEvSP_,"axG",@progbits,_ZN7rocprim17ROCPRIM_400000_NS6detail17trampoline_kernelINS0_14default_configENS1_32segmented_reduce_config_selectorIfEEZNS1_21segmented_reduce_implIS3_PKfPfPKlfN6hipcub16HIPCUB_304000_NS6detail27convert_result_type_wrapperIS8_S9_N2at6native12_GLOBAL__N_110CustomProdEEEEE10hipError_tPvRmT0_T1_jT2_SQ_T4_T3_P12ihipStream_tbEUlT_E_NS1_11comp_targetILNS1_3genE9ELNS1_11target_archE1100ELNS1_3gpuE3ELNS1_3repE0EEENS1_30default_config_static_selectorELNS0_4arch9wavefront6targetE0EEEvSP_,comdat
	.globl	_ZN7rocprim17ROCPRIM_400000_NS6detail17trampoline_kernelINS0_14default_configENS1_32segmented_reduce_config_selectorIfEEZNS1_21segmented_reduce_implIS3_PKfPfPKlfN6hipcub16HIPCUB_304000_NS6detail27convert_result_type_wrapperIS8_S9_N2at6native12_GLOBAL__N_110CustomProdEEEEE10hipError_tPvRmT0_T1_jT2_SQ_T4_T3_P12ihipStream_tbEUlT_E_NS1_11comp_targetILNS1_3genE9ELNS1_11target_archE1100ELNS1_3gpuE3ELNS1_3repE0EEENS1_30default_config_static_selectorELNS0_4arch9wavefront6targetE0EEEvSP_ ; -- Begin function _ZN7rocprim17ROCPRIM_400000_NS6detail17trampoline_kernelINS0_14default_configENS1_32segmented_reduce_config_selectorIfEEZNS1_21segmented_reduce_implIS3_PKfPfPKlfN6hipcub16HIPCUB_304000_NS6detail27convert_result_type_wrapperIS8_S9_N2at6native12_GLOBAL__N_110CustomProdEEEEE10hipError_tPvRmT0_T1_jT2_SQ_T4_T3_P12ihipStream_tbEUlT_E_NS1_11comp_targetILNS1_3genE9ELNS1_11target_archE1100ELNS1_3gpuE3ELNS1_3repE0EEENS1_30default_config_static_selectorELNS0_4arch9wavefront6targetE0EEEvSP_
	.p2align	8
	.type	_ZN7rocprim17ROCPRIM_400000_NS6detail17trampoline_kernelINS0_14default_configENS1_32segmented_reduce_config_selectorIfEEZNS1_21segmented_reduce_implIS3_PKfPfPKlfN6hipcub16HIPCUB_304000_NS6detail27convert_result_type_wrapperIS8_S9_N2at6native12_GLOBAL__N_110CustomProdEEEEE10hipError_tPvRmT0_T1_jT2_SQ_T4_T3_P12ihipStream_tbEUlT_E_NS1_11comp_targetILNS1_3genE9ELNS1_11target_archE1100ELNS1_3gpuE3ELNS1_3repE0EEENS1_30default_config_static_selectorELNS0_4arch9wavefront6targetE0EEEvSP_,@function
_ZN7rocprim17ROCPRIM_400000_NS6detail17trampoline_kernelINS0_14default_configENS1_32segmented_reduce_config_selectorIfEEZNS1_21segmented_reduce_implIS3_PKfPfPKlfN6hipcub16HIPCUB_304000_NS6detail27convert_result_type_wrapperIS8_S9_N2at6native12_GLOBAL__N_110CustomProdEEEEE10hipError_tPvRmT0_T1_jT2_SQ_T4_T3_P12ihipStream_tbEUlT_E_NS1_11comp_targetILNS1_3genE9ELNS1_11target_archE1100ELNS1_3gpuE3ELNS1_3repE0EEENS1_30default_config_static_selectorELNS0_4arch9wavefront6targetE0EEEvSP_: ; @_ZN7rocprim17ROCPRIM_400000_NS6detail17trampoline_kernelINS0_14default_configENS1_32segmented_reduce_config_selectorIfEEZNS1_21segmented_reduce_implIS3_PKfPfPKlfN6hipcub16HIPCUB_304000_NS6detail27convert_result_type_wrapperIS8_S9_N2at6native12_GLOBAL__N_110CustomProdEEEEE10hipError_tPvRmT0_T1_jT2_SQ_T4_T3_P12ihipStream_tbEUlT_E_NS1_11comp_targetILNS1_3genE9ELNS1_11target_archE1100ELNS1_3gpuE3ELNS1_3repE0EEENS1_30default_config_static_selectorELNS0_4arch9wavefront6targetE0EEEvSP_
; %bb.0:
	.section	.rodata,"a",@progbits
	.p2align	6, 0x0
	.amdhsa_kernel _ZN7rocprim17ROCPRIM_400000_NS6detail17trampoline_kernelINS0_14default_configENS1_32segmented_reduce_config_selectorIfEEZNS1_21segmented_reduce_implIS3_PKfPfPKlfN6hipcub16HIPCUB_304000_NS6detail27convert_result_type_wrapperIS8_S9_N2at6native12_GLOBAL__N_110CustomProdEEEEE10hipError_tPvRmT0_T1_jT2_SQ_T4_T3_P12ihipStream_tbEUlT_E_NS1_11comp_targetILNS1_3genE9ELNS1_11target_archE1100ELNS1_3gpuE3ELNS1_3repE0EEENS1_30default_config_static_selectorELNS0_4arch9wavefront6targetE0EEEvSP_
		.amdhsa_group_segment_fixed_size 0
		.amdhsa_private_segment_fixed_size 0
		.amdhsa_kernarg_size 48
		.amdhsa_user_sgpr_count 6
		.amdhsa_user_sgpr_private_segment_buffer 1
		.amdhsa_user_sgpr_dispatch_ptr 0
		.amdhsa_user_sgpr_queue_ptr 0
		.amdhsa_user_sgpr_kernarg_segment_ptr 1
		.amdhsa_user_sgpr_dispatch_id 0
		.amdhsa_user_sgpr_flat_scratch_init 0
		.amdhsa_user_sgpr_private_segment_size 0
		.amdhsa_wavefront_size32 1
		.amdhsa_uses_dynamic_stack 0
		.amdhsa_system_sgpr_private_segment_wavefront_offset 0
		.amdhsa_system_sgpr_workgroup_id_x 1
		.amdhsa_system_sgpr_workgroup_id_y 0
		.amdhsa_system_sgpr_workgroup_id_z 0
		.amdhsa_system_sgpr_workgroup_info 0
		.amdhsa_system_vgpr_workitem_id 0
		.amdhsa_next_free_vgpr 1
		.amdhsa_next_free_sgpr 1
		.amdhsa_reserve_vcc 0
		.amdhsa_reserve_flat_scratch 0
		.amdhsa_float_round_mode_32 0
		.amdhsa_float_round_mode_16_64 0
		.amdhsa_float_denorm_mode_32 3
		.amdhsa_float_denorm_mode_16_64 3
		.amdhsa_dx10_clamp 1
		.amdhsa_ieee_mode 1
		.amdhsa_fp16_overflow 0
		.amdhsa_workgroup_processor_mode 1
		.amdhsa_memory_ordered 1
		.amdhsa_forward_progress 1
		.amdhsa_shared_vgpr_count 0
		.amdhsa_exception_fp_ieee_invalid_op 0
		.amdhsa_exception_fp_denorm_src 0
		.amdhsa_exception_fp_ieee_div_zero 0
		.amdhsa_exception_fp_ieee_overflow 0
		.amdhsa_exception_fp_ieee_underflow 0
		.amdhsa_exception_fp_ieee_inexact 0
		.amdhsa_exception_int_div_zero 0
	.end_amdhsa_kernel
	.section	.text._ZN7rocprim17ROCPRIM_400000_NS6detail17trampoline_kernelINS0_14default_configENS1_32segmented_reduce_config_selectorIfEEZNS1_21segmented_reduce_implIS3_PKfPfPKlfN6hipcub16HIPCUB_304000_NS6detail27convert_result_type_wrapperIS8_S9_N2at6native12_GLOBAL__N_110CustomProdEEEEE10hipError_tPvRmT0_T1_jT2_SQ_T4_T3_P12ihipStream_tbEUlT_E_NS1_11comp_targetILNS1_3genE9ELNS1_11target_archE1100ELNS1_3gpuE3ELNS1_3repE0EEENS1_30default_config_static_selectorELNS0_4arch9wavefront6targetE0EEEvSP_,"axG",@progbits,_ZN7rocprim17ROCPRIM_400000_NS6detail17trampoline_kernelINS0_14default_configENS1_32segmented_reduce_config_selectorIfEEZNS1_21segmented_reduce_implIS3_PKfPfPKlfN6hipcub16HIPCUB_304000_NS6detail27convert_result_type_wrapperIS8_S9_N2at6native12_GLOBAL__N_110CustomProdEEEEE10hipError_tPvRmT0_T1_jT2_SQ_T4_T3_P12ihipStream_tbEUlT_E_NS1_11comp_targetILNS1_3genE9ELNS1_11target_archE1100ELNS1_3gpuE3ELNS1_3repE0EEENS1_30default_config_static_selectorELNS0_4arch9wavefront6targetE0EEEvSP_,comdat
.Lfunc_end210:
	.size	_ZN7rocprim17ROCPRIM_400000_NS6detail17trampoline_kernelINS0_14default_configENS1_32segmented_reduce_config_selectorIfEEZNS1_21segmented_reduce_implIS3_PKfPfPKlfN6hipcub16HIPCUB_304000_NS6detail27convert_result_type_wrapperIS8_S9_N2at6native12_GLOBAL__N_110CustomProdEEEEE10hipError_tPvRmT0_T1_jT2_SQ_T4_T3_P12ihipStream_tbEUlT_E_NS1_11comp_targetILNS1_3genE9ELNS1_11target_archE1100ELNS1_3gpuE3ELNS1_3repE0EEENS1_30default_config_static_selectorELNS0_4arch9wavefront6targetE0EEEvSP_, .Lfunc_end210-_ZN7rocprim17ROCPRIM_400000_NS6detail17trampoline_kernelINS0_14default_configENS1_32segmented_reduce_config_selectorIfEEZNS1_21segmented_reduce_implIS3_PKfPfPKlfN6hipcub16HIPCUB_304000_NS6detail27convert_result_type_wrapperIS8_S9_N2at6native12_GLOBAL__N_110CustomProdEEEEE10hipError_tPvRmT0_T1_jT2_SQ_T4_T3_P12ihipStream_tbEUlT_E_NS1_11comp_targetILNS1_3genE9ELNS1_11target_archE1100ELNS1_3gpuE3ELNS1_3repE0EEENS1_30default_config_static_selectorELNS0_4arch9wavefront6targetE0EEEvSP_
                                        ; -- End function
	.set _ZN7rocprim17ROCPRIM_400000_NS6detail17trampoline_kernelINS0_14default_configENS1_32segmented_reduce_config_selectorIfEEZNS1_21segmented_reduce_implIS3_PKfPfPKlfN6hipcub16HIPCUB_304000_NS6detail27convert_result_type_wrapperIS8_S9_N2at6native12_GLOBAL__N_110CustomProdEEEEE10hipError_tPvRmT0_T1_jT2_SQ_T4_T3_P12ihipStream_tbEUlT_E_NS1_11comp_targetILNS1_3genE9ELNS1_11target_archE1100ELNS1_3gpuE3ELNS1_3repE0EEENS1_30default_config_static_selectorELNS0_4arch9wavefront6targetE0EEEvSP_.num_vgpr, 0
	.set _ZN7rocprim17ROCPRIM_400000_NS6detail17trampoline_kernelINS0_14default_configENS1_32segmented_reduce_config_selectorIfEEZNS1_21segmented_reduce_implIS3_PKfPfPKlfN6hipcub16HIPCUB_304000_NS6detail27convert_result_type_wrapperIS8_S9_N2at6native12_GLOBAL__N_110CustomProdEEEEE10hipError_tPvRmT0_T1_jT2_SQ_T4_T3_P12ihipStream_tbEUlT_E_NS1_11comp_targetILNS1_3genE9ELNS1_11target_archE1100ELNS1_3gpuE3ELNS1_3repE0EEENS1_30default_config_static_selectorELNS0_4arch9wavefront6targetE0EEEvSP_.num_agpr, 0
	.set _ZN7rocprim17ROCPRIM_400000_NS6detail17trampoline_kernelINS0_14default_configENS1_32segmented_reduce_config_selectorIfEEZNS1_21segmented_reduce_implIS3_PKfPfPKlfN6hipcub16HIPCUB_304000_NS6detail27convert_result_type_wrapperIS8_S9_N2at6native12_GLOBAL__N_110CustomProdEEEEE10hipError_tPvRmT0_T1_jT2_SQ_T4_T3_P12ihipStream_tbEUlT_E_NS1_11comp_targetILNS1_3genE9ELNS1_11target_archE1100ELNS1_3gpuE3ELNS1_3repE0EEENS1_30default_config_static_selectorELNS0_4arch9wavefront6targetE0EEEvSP_.numbered_sgpr, 0
	.set _ZN7rocprim17ROCPRIM_400000_NS6detail17trampoline_kernelINS0_14default_configENS1_32segmented_reduce_config_selectorIfEEZNS1_21segmented_reduce_implIS3_PKfPfPKlfN6hipcub16HIPCUB_304000_NS6detail27convert_result_type_wrapperIS8_S9_N2at6native12_GLOBAL__N_110CustomProdEEEEE10hipError_tPvRmT0_T1_jT2_SQ_T4_T3_P12ihipStream_tbEUlT_E_NS1_11comp_targetILNS1_3genE9ELNS1_11target_archE1100ELNS1_3gpuE3ELNS1_3repE0EEENS1_30default_config_static_selectorELNS0_4arch9wavefront6targetE0EEEvSP_.num_named_barrier, 0
	.set _ZN7rocprim17ROCPRIM_400000_NS6detail17trampoline_kernelINS0_14default_configENS1_32segmented_reduce_config_selectorIfEEZNS1_21segmented_reduce_implIS3_PKfPfPKlfN6hipcub16HIPCUB_304000_NS6detail27convert_result_type_wrapperIS8_S9_N2at6native12_GLOBAL__N_110CustomProdEEEEE10hipError_tPvRmT0_T1_jT2_SQ_T4_T3_P12ihipStream_tbEUlT_E_NS1_11comp_targetILNS1_3genE9ELNS1_11target_archE1100ELNS1_3gpuE3ELNS1_3repE0EEENS1_30default_config_static_selectorELNS0_4arch9wavefront6targetE0EEEvSP_.private_seg_size, 0
	.set _ZN7rocprim17ROCPRIM_400000_NS6detail17trampoline_kernelINS0_14default_configENS1_32segmented_reduce_config_selectorIfEEZNS1_21segmented_reduce_implIS3_PKfPfPKlfN6hipcub16HIPCUB_304000_NS6detail27convert_result_type_wrapperIS8_S9_N2at6native12_GLOBAL__N_110CustomProdEEEEE10hipError_tPvRmT0_T1_jT2_SQ_T4_T3_P12ihipStream_tbEUlT_E_NS1_11comp_targetILNS1_3genE9ELNS1_11target_archE1100ELNS1_3gpuE3ELNS1_3repE0EEENS1_30default_config_static_selectorELNS0_4arch9wavefront6targetE0EEEvSP_.uses_vcc, 0
	.set _ZN7rocprim17ROCPRIM_400000_NS6detail17trampoline_kernelINS0_14default_configENS1_32segmented_reduce_config_selectorIfEEZNS1_21segmented_reduce_implIS3_PKfPfPKlfN6hipcub16HIPCUB_304000_NS6detail27convert_result_type_wrapperIS8_S9_N2at6native12_GLOBAL__N_110CustomProdEEEEE10hipError_tPvRmT0_T1_jT2_SQ_T4_T3_P12ihipStream_tbEUlT_E_NS1_11comp_targetILNS1_3genE9ELNS1_11target_archE1100ELNS1_3gpuE3ELNS1_3repE0EEENS1_30default_config_static_selectorELNS0_4arch9wavefront6targetE0EEEvSP_.uses_flat_scratch, 0
	.set _ZN7rocprim17ROCPRIM_400000_NS6detail17trampoline_kernelINS0_14default_configENS1_32segmented_reduce_config_selectorIfEEZNS1_21segmented_reduce_implIS3_PKfPfPKlfN6hipcub16HIPCUB_304000_NS6detail27convert_result_type_wrapperIS8_S9_N2at6native12_GLOBAL__N_110CustomProdEEEEE10hipError_tPvRmT0_T1_jT2_SQ_T4_T3_P12ihipStream_tbEUlT_E_NS1_11comp_targetILNS1_3genE9ELNS1_11target_archE1100ELNS1_3gpuE3ELNS1_3repE0EEENS1_30default_config_static_selectorELNS0_4arch9wavefront6targetE0EEEvSP_.has_dyn_sized_stack, 0
	.set _ZN7rocprim17ROCPRIM_400000_NS6detail17trampoline_kernelINS0_14default_configENS1_32segmented_reduce_config_selectorIfEEZNS1_21segmented_reduce_implIS3_PKfPfPKlfN6hipcub16HIPCUB_304000_NS6detail27convert_result_type_wrapperIS8_S9_N2at6native12_GLOBAL__N_110CustomProdEEEEE10hipError_tPvRmT0_T1_jT2_SQ_T4_T3_P12ihipStream_tbEUlT_E_NS1_11comp_targetILNS1_3genE9ELNS1_11target_archE1100ELNS1_3gpuE3ELNS1_3repE0EEENS1_30default_config_static_selectorELNS0_4arch9wavefront6targetE0EEEvSP_.has_recursion, 0
	.set _ZN7rocprim17ROCPRIM_400000_NS6detail17trampoline_kernelINS0_14default_configENS1_32segmented_reduce_config_selectorIfEEZNS1_21segmented_reduce_implIS3_PKfPfPKlfN6hipcub16HIPCUB_304000_NS6detail27convert_result_type_wrapperIS8_S9_N2at6native12_GLOBAL__N_110CustomProdEEEEE10hipError_tPvRmT0_T1_jT2_SQ_T4_T3_P12ihipStream_tbEUlT_E_NS1_11comp_targetILNS1_3genE9ELNS1_11target_archE1100ELNS1_3gpuE3ELNS1_3repE0EEENS1_30default_config_static_selectorELNS0_4arch9wavefront6targetE0EEEvSP_.has_indirect_call, 0
	.section	.AMDGPU.csdata,"",@progbits
; Kernel info:
; codeLenInByte = 0
; TotalNumSgprs: 0
; NumVgprs: 0
; ScratchSize: 0
; MemoryBound: 0
; FloatMode: 240
; IeeeMode: 1
; LDSByteSize: 0 bytes/workgroup (compile time only)
; SGPRBlocks: 0
; VGPRBlocks: 0
; NumSGPRsForWavesPerEU: 1
; NumVGPRsForWavesPerEU: 1
; Occupancy: 16
; WaveLimiterHint : 0
; COMPUTE_PGM_RSRC2:SCRATCH_EN: 0
; COMPUTE_PGM_RSRC2:USER_SGPR: 6
; COMPUTE_PGM_RSRC2:TRAP_HANDLER: 0
; COMPUTE_PGM_RSRC2:TGID_X_EN: 1
; COMPUTE_PGM_RSRC2:TGID_Y_EN: 0
; COMPUTE_PGM_RSRC2:TGID_Z_EN: 0
; COMPUTE_PGM_RSRC2:TIDIG_COMP_CNT: 0
	.section	.text._ZN7rocprim17ROCPRIM_400000_NS6detail17trampoline_kernelINS0_14default_configENS1_32segmented_reduce_config_selectorIfEEZNS1_21segmented_reduce_implIS3_PKfPfPKlfN6hipcub16HIPCUB_304000_NS6detail27convert_result_type_wrapperIS8_S9_N2at6native12_GLOBAL__N_110CustomProdEEEEE10hipError_tPvRmT0_T1_jT2_SQ_T4_T3_P12ihipStream_tbEUlT_E_NS1_11comp_targetILNS1_3genE8ELNS1_11target_archE1030ELNS1_3gpuE2ELNS1_3repE0EEENS1_30default_config_static_selectorELNS0_4arch9wavefront6targetE0EEEvSP_,"axG",@progbits,_ZN7rocprim17ROCPRIM_400000_NS6detail17trampoline_kernelINS0_14default_configENS1_32segmented_reduce_config_selectorIfEEZNS1_21segmented_reduce_implIS3_PKfPfPKlfN6hipcub16HIPCUB_304000_NS6detail27convert_result_type_wrapperIS8_S9_N2at6native12_GLOBAL__N_110CustomProdEEEEE10hipError_tPvRmT0_T1_jT2_SQ_T4_T3_P12ihipStream_tbEUlT_E_NS1_11comp_targetILNS1_3genE8ELNS1_11target_archE1030ELNS1_3gpuE2ELNS1_3repE0EEENS1_30default_config_static_selectorELNS0_4arch9wavefront6targetE0EEEvSP_,comdat
	.globl	_ZN7rocprim17ROCPRIM_400000_NS6detail17trampoline_kernelINS0_14default_configENS1_32segmented_reduce_config_selectorIfEEZNS1_21segmented_reduce_implIS3_PKfPfPKlfN6hipcub16HIPCUB_304000_NS6detail27convert_result_type_wrapperIS8_S9_N2at6native12_GLOBAL__N_110CustomProdEEEEE10hipError_tPvRmT0_T1_jT2_SQ_T4_T3_P12ihipStream_tbEUlT_E_NS1_11comp_targetILNS1_3genE8ELNS1_11target_archE1030ELNS1_3gpuE2ELNS1_3repE0EEENS1_30default_config_static_selectorELNS0_4arch9wavefront6targetE0EEEvSP_ ; -- Begin function _ZN7rocprim17ROCPRIM_400000_NS6detail17trampoline_kernelINS0_14default_configENS1_32segmented_reduce_config_selectorIfEEZNS1_21segmented_reduce_implIS3_PKfPfPKlfN6hipcub16HIPCUB_304000_NS6detail27convert_result_type_wrapperIS8_S9_N2at6native12_GLOBAL__N_110CustomProdEEEEE10hipError_tPvRmT0_T1_jT2_SQ_T4_T3_P12ihipStream_tbEUlT_E_NS1_11comp_targetILNS1_3genE8ELNS1_11target_archE1030ELNS1_3gpuE2ELNS1_3repE0EEENS1_30default_config_static_selectorELNS0_4arch9wavefront6targetE0EEEvSP_
	.p2align	8
	.type	_ZN7rocprim17ROCPRIM_400000_NS6detail17trampoline_kernelINS0_14default_configENS1_32segmented_reduce_config_selectorIfEEZNS1_21segmented_reduce_implIS3_PKfPfPKlfN6hipcub16HIPCUB_304000_NS6detail27convert_result_type_wrapperIS8_S9_N2at6native12_GLOBAL__N_110CustomProdEEEEE10hipError_tPvRmT0_T1_jT2_SQ_T4_T3_P12ihipStream_tbEUlT_E_NS1_11comp_targetILNS1_3genE8ELNS1_11target_archE1030ELNS1_3gpuE2ELNS1_3repE0EEENS1_30default_config_static_selectorELNS0_4arch9wavefront6targetE0EEEvSP_,@function
_ZN7rocprim17ROCPRIM_400000_NS6detail17trampoline_kernelINS0_14default_configENS1_32segmented_reduce_config_selectorIfEEZNS1_21segmented_reduce_implIS3_PKfPfPKlfN6hipcub16HIPCUB_304000_NS6detail27convert_result_type_wrapperIS8_S9_N2at6native12_GLOBAL__N_110CustomProdEEEEE10hipError_tPvRmT0_T1_jT2_SQ_T4_T3_P12ihipStream_tbEUlT_E_NS1_11comp_targetILNS1_3genE8ELNS1_11target_archE1030ELNS1_3gpuE2ELNS1_3repE0EEENS1_30default_config_static_selectorELNS0_4arch9wavefront6targetE0EEEvSP_: ; @_ZN7rocprim17ROCPRIM_400000_NS6detail17trampoline_kernelINS0_14default_configENS1_32segmented_reduce_config_selectorIfEEZNS1_21segmented_reduce_implIS3_PKfPfPKlfN6hipcub16HIPCUB_304000_NS6detail27convert_result_type_wrapperIS8_S9_N2at6native12_GLOBAL__N_110CustomProdEEEEE10hipError_tPvRmT0_T1_jT2_SQ_T4_T3_P12ihipStream_tbEUlT_E_NS1_11comp_targetILNS1_3genE8ELNS1_11target_archE1030ELNS1_3gpuE2ELNS1_3repE0EEENS1_30default_config_static_selectorELNS0_4arch9wavefront6targetE0EEEvSP_
; %bb.0:
	s_clause 0x2
	s_load_dwordx8 s[20:27], s[4:5], 0x0
	s_load_dwordx2 s[0:1], s[4:5], 0x20
	s_load_dword s17, s[4:5], 0x2c
	s_mov_b32 s7, 0
	s_mov_b32 s30, s7
	s_waitcnt lgkmcnt(0)
	s_lshl_b64 s[2:3], s[24:25], 3
	s_add_u32 s4, s26, s2
	s_addc_u32 s5, s27, s3
	s_add_u32 s8, s0, s2
	s_addc_u32 s9, s1, s3
	s_lshl_b64 s[0:1], s[6:7], 3
	s_add_u32 s2, s4, s0
	s_addc_u32 s3, s5, s1
	s_add_u32 s0, s8, s0
	s_addc_u32 s1, s9, s1
	s_load_dwordx2 s[26:27], s[2:3], 0x0
	s_load_dwordx2 s[18:19], s[0:1], 0x0
	s_mov_b32 s1, -1
	s_waitcnt lgkmcnt(0)
	v_cmp_gt_i64_e64 s0, s[18:19], s[26:27]
	s_and_b32 vcc_lo, exec_lo, s0
	v_cmp_eq_u32_e64 s0, 0, v0
	s_cbranch_vccnz .LBB211_2
; %bb.1:
	s_mov_b32 s1, 0
	s_and_b32 s30, s0, exec_lo
.LBB211_2:
	s_andn2_b32 vcc_lo, exec_lo, s1
	s_cbranch_vccnz .LBB211_44
; %bb.3:
	s_add_u32 s0, s26, 0x1000
	s_addc_u32 s1, s27, 0
	v_cmp_le_i64_e64 s2, s[0:1], s[18:19]
	s_and_b32 vcc_lo, exec_lo, s2
	s_cbranch_vccz .LBB211_45
; %bb.4:
	v_lshlrev_b32_e32 v20, 2, v0
	s_lshl_b64 s[2:3], s[26:27], 2
	s_add_u32 s4, s20, s2
	s_addc_u32 s5, s21, s3
	v_add_co_u32 v18, s8, s4, v20
	v_add_co_ci_u32_e64 v19, null, s5, 0, s8
	s_clause 0x1
	global_load_dword v4, v20, s[4:5]
	global_load_dword v3, v20, s[4:5] offset:1024
	v_add_co_u32 v1, vcc_lo, v18, 0x1000
	v_add_co_ci_u32_e64 v2, null, 0, v19, vcc_lo
	v_add_co_u32 v7, vcc_lo, 0x800, v18
	v_add_co_ci_u32_e64 v8, null, 0, v19, vcc_lo
	s_clause 0x1
	global_load_dword v6, v[1:2], off offset:-2048
	global_load_dword v5, v[7:8], off offset:1024
	v_add_co_u32 v8, vcc_lo, 0x1000, v18
	v_add_co_ci_u32_e64 v9, null, 0, v19, vcc_lo
	global_load_dword v7, v[1:2], off
	s_add_u32 s4, s26, 0x2000
	s_addc_u32 s5, s27, 0
	global_load_dword v8, v[8:9], off offset:1024
	v_add_co_u32 v1, vcc_lo, v18, 0x2000
	v_add_co_ci_u32_e64 v2, null, 0, v19, vcc_lo
	v_add_co_u32 v11, vcc_lo, 0x1800, v18
	v_add_co_ci_u32_e64 v12, null, 0, v19, vcc_lo
	s_clause 0x1
	global_load_dword v10, v[1:2], off offset:-2048
	global_load_dword v9, v[11:12], off offset:1024
	v_add_co_u32 v12, vcc_lo, 0x2000, v18
	v_add_co_ci_u32_e64 v13, null, 0, v19, vcc_lo
	global_load_dword v11, v[1:2], off
	v_cmp_ge_i64_e64 s4, s[4:5], s[18:19]
	global_load_dword v12, v[12:13], off offset:1024
	v_add_co_u32 v1, vcc_lo, v18, 0x3000
	v_add_co_ci_u32_e64 v2, null, 0, v19, vcc_lo
	v_add_co_u32 v15, vcc_lo, 0x2800, v18
	v_add_co_ci_u32_e64 v16, null, 0, v19, vcc_lo
	s_clause 0x1
	global_load_dword v14, v[1:2], off offset:-2048
	global_load_dword v13, v[15:16], off offset:1024
	v_add_co_u32 v16, vcc_lo, 0x3000, v18
	global_load_dword v15, v[1:2], off
	v_add_co_ci_u32_e64 v17, null, 0, v19, vcc_lo
	v_add_co_u32 v1, vcc_lo, 0x3800, v18
	v_add_co_ci_u32_e64 v2, null, 0, v19, vcc_lo
	s_clause 0x2
	global_load_dword v16, v[16:17], off offset:1024
	global_load_dword v17, v[1:2], off
	global_load_dword v18, v[1:2], off offset:1024
	s_and_b32 vcc_lo, exec_lo, s4
	s_waitcnt vmcnt(14)
	v_mul_f32_e32 v1, v4, v3
	s_waitcnt vmcnt(13)
	v_mul_f32_e32 v1, v1, v6
	;; [unrolled: 2-line block ×15, first 2 shown]
	s_cbranch_vccnz .LBB211_7
; %bb.5:
	s_add_u32 s2, s20, s2
	s_addc_u32 s3, s21, s3
	v_add_co_u32 v1, s2, s2, v20
	v_add_co_ci_u32_e64 v2, null, s3, 0, s2
	v_add_co_u32 v1, vcc_lo, 0x4000, v1
	v_add_co_ci_u32_e64 v2, null, 0, v2, vcc_lo
.LBB211_6:                              ; =>This Inner Loop Header: Depth=1
	s_clause 0x1
	global_load_dword v4, v[1:2], off
	global_load_dword v3, v[1:2], off offset:1024
	v_add_co_u32 v7, vcc_lo, v1, 0x1000
	v_add_co_ci_u32_e64 v8, null, 0, v2, vcc_lo
	v_add_co_u32 v9, vcc_lo, 0x800, v1
	v_add_co_ci_u32_e64 v10, null, 0, v2, vcc_lo
	s_clause 0x1
	global_load_dword v6, v[7:8], off offset:-2048
	global_load_dword v5, v[9:10], off offset:1024
	v_add_co_u32 v9, vcc_lo, 0x1000, v1
	v_add_co_ci_u32_e64 v10, null, 0, v2, vcc_lo
	global_load_dword v7, v[7:8], off
	v_add_co_u32 v11, vcc_lo, v1, 0x2000
	v_add_co_ci_u32_e64 v12, null, 0, v2, vcc_lo
	global_load_dword v8, v[9:10], off offset:1024
	v_add_co_u32 v13, vcc_lo, 0x1800, v1
	v_add_co_ci_u32_e64 v14, null, 0, v2, vcc_lo
	s_clause 0x1
	global_load_dword v10, v[11:12], off offset:-2048
	global_load_dword v9, v[13:14], off offset:1024
	v_add_co_u32 v13, vcc_lo, 0x2000, v1
	v_add_co_ci_u32_e64 v14, null, 0, v2, vcc_lo
	global_load_dword v11, v[11:12], off
	v_add_co_u32 v15, vcc_lo, v1, 0x3000
	v_add_co_ci_u32_e64 v16, null, 0, v2, vcc_lo
	global_load_dword v12, v[13:14], off offset:1024
	v_add_co_u32 v17, vcc_lo, 0x2800, v1
	v_add_co_ci_u32_e64 v18, null, 0, v2, vcc_lo
	s_clause 0x1
	global_load_dword v14, v[15:16], off offset:-2048
	global_load_dword v13, v[17:18], off offset:1024
	v_add_co_u32 v17, vcc_lo, 0x3000, v1
	global_load_dword v15, v[15:16], off
	v_add_co_ci_u32_e64 v18, null, 0, v2, vcc_lo
	v_add_co_u32 v21, vcc_lo, 0x3800, v1
	v_add_co_ci_u32_e64 v22, null, 0, v2, vcc_lo
	s_clause 0x2
	global_load_dword v16, v[17:18], off offset:1024
	global_load_dword v17, v[21:22], off
	global_load_dword v18, v[21:22], off offset:1024
	s_mov_b64 s[2:3], s[0:1]
	v_add_co_u32 v1, vcc_lo, 0x4000, v1
	s_add_u32 s0, s2, 0x1000
	s_addc_u32 s1, s3, 0
	s_add_u32 s2, s2, 0x2000
	s_addc_u32 s3, s3, 0
	v_add_co_ci_u32_e64 v2, null, 0, v2, vcc_lo
	v_cmp_lt_i64_e64 s2, s[2:3], s[18:19]
	s_and_b32 vcc_lo, exec_lo, s2
	s_waitcnt vmcnt(15)
	v_mul_f32_e32 v19, v19, v4
	s_waitcnt vmcnt(14)
	v_mul_f32_e32 v19, v19, v3
	;; [unrolled: 2-line block ×16, first 2 shown]
	s_cbranch_vccnz .LBB211_6
.LBB211_7:
	s_sub_i32 s16, s18, s0
	s_lshl_b64 s[0:1], s[0:1], 2
	v_cmp_gt_u32_e32 vcc_lo, s16, v0
	s_add_u32 s28, s20, s0
	s_addc_u32 s29, s21, s1
	s_and_saveexec_b32 s0, vcc_lo
	s_cbranch_execz .LBB211_9
; %bb.8:
	global_load_dword v4, v20, s[28:29]
.LBB211_9:
	s_or_b32 exec_lo, exec_lo, s0
	v_or_b32_e32 v1, 0x100, v0
	v_cmp_gt_u32_e64 s0, s16, v1
	s_and_saveexec_b32 s1, s0
	s_cbranch_execz .LBB211_11
; %bb.10:
	global_load_dword v3, v20, s[28:29] offset:1024
.LBB211_11:
	s_or_b32 exec_lo, exec_lo, s1
	v_or_b32_e32 v1, 0x200, v0
	v_cmp_gt_u32_e64 s1, s16, v1
	s_and_saveexec_b32 s2, s1
	s_cbranch_execz .LBB211_13
; %bb.12:
	v_lshlrev_b32_e32 v1, 2, v1
	global_load_dword v6, v1, s[28:29]
.LBB211_13:
	s_or_b32 exec_lo, exec_lo, s2
	v_or_b32_e32 v1, 0x300, v0
	v_cmp_gt_u32_e64 s2, s16, v1
	s_and_saveexec_b32 s3, s2
	s_cbranch_execz .LBB211_15
; %bb.14:
	v_lshlrev_b32_e32 v1, 2, v1
	global_load_dword v5, v1, s[28:29]
.LBB211_15:
	;; [unrolled: 9-line block ×14, first 2 shown]
	s_or_b32 exec_lo, exec_lo, s31
	s_waitcnt vmcnt(0)
	v_mul_f32_e32 v1, v19, v4
	v_cndmask_b32_e32 v1, v19, v1, vcc_lo
	v_mul_f32_e32 v2, v3, v1
	v_cndmask_b32_e64 v1, v1, v2, s0
	s_mov_b32 s0, exec_lo
	v_mul_f32_e32 v2, v6, v1
	v_cndmask_b32_e64 v1, v1, v2, s1
	v_mul_f32_e32 v2, v5, v1
	v_cndmask_b32_e64 v1, v1, v2, s2
	;; [unrolled: 2-line block ×14, first 2 shown]
	v_mov_b32_dpp v2, v1 quad_perm:[1,0,3,2] row_mask:0xf bank_mask:0xf
	v_mul_f32_e32 v1, v1, v2
	v_mov_b32_dpp v2, v1 quad_perm:[2,3,0,1] row_mask:0xf bank_mask:0xf
	v_mul_f32_e32 v1, v1, v2
	v_mov_b32_dpp v2, v1 row_ror:4 row_mask:0xf bank_mask:0xf
	v_mul_f32_e32 v1, v1, v2
	v_mov_b32_dpp v2, v1 row_ror:8 row_mask:0xf bank_mask:0xf
	v_mul_f32_e32 v1, v1, v2
	ds_swizzle_b32 v2, v1 offset:swizzle(BROADCAST,32,15)
	s_waitcnt lgkmcnt(0)
	v_mul_f32_e32 v1, v1, v2
	v_mov_b32_e32 v2, 0
	ds_bpermute_b32 v2, v2, v1 offset:124
	v_mbcnt_lo_u32_b32 v1, -1, 0
	v_cmpx_eq_u32_e32 0, v1
	s_cbranch_execz .LBB211_41
; %bb.40:
	v_lshrrev_b32_e32 v3, 3, v0
	v_and_b32_e32 v3, 28, v3
	s_waitcnt lgkmcnt(0)
	ds_write_b32 v3, v2
.LBB211_41:
	s_or_b32 exec_lo, exec_lo, s0
	s_mov_b32 s0, exec_lo
	s_waitcnt lgkmcnt(0)
	s_barrier
	buffer_gl0_inv
	v_cmpx_gt_u32_e32 32, v0
	s_cbranch_execz .LBB211_43
; %bb.42:
	v_and_b32_e32 v2, 7, v1
	v_lshlrev_b32_e32 v3, 2, v2
	v_cmp_ne_u32_e32 vcc_lo, 7, v2
	ds_read_b32 v3, v3
	v_add_co_ci_u32_e64 v4, null, 0, v1, vcc_lo
	v_cmp_gt_u32_e32 vcc_lo, 6, v2
	v_lshlrev_b32_e32 v4, 2, v4
	v_cndmask_b32_e64 v2, 0, 2, vcc_lo
	v_add_lshl_u32 v2, v2, v1, 2
	v_lshlrev_b32_e32 v1, 2, v1
	v_or_b32_e32 v1, 16, v1
	s_waitcnt lgkmcnt(0)
	ds_bpermute_b32 v4, v4, v3
	s_waitcnt lgkmcnt(0)
	v_mul_f32_e32 v3, v3, v4
	ds_bpermute_b32 v2, v2, v3
	s_waitcnt lgkmcnt(0)
	v_mul_f32_e32 v2, v3, v2
	;; [unrolled: 3-line block ×3, first 2 shown]
.LBB211_43:
	s_or_b32 exec_lo, exec_lo, s0
	s_branch .LBB211_64
.LBB211_44:
	v_mov_b32_e32 v1, s17
	s_and_saveexec_b32 s0, s30
	s_cbranch_execnz .LBB211_67
	s_branch .LBB211_68
.LBB211_45:
                                        ; implicit-def: $vgpr2
	s_cbranch_execz .LBB211_64
; %bb.46:
	s_sub_i32 s2, s18, s26
	s_mov_b32 s1, exec_lo
                                        ; implicit-def: $vgpr5
	v_cmpx_gt_u32_e64 s2, v0
	s_cbranch_execz .LBB211_52
; %bb.47:
	v_add_co_u32 v1, s0, s26, v0
	v_add_co_ci_u32_e64 v2, null, s27, 0, s0
	s_mov_b32 s3, exec_lo
	v_lshlrev_b64 v[3:4], 2, v[1:2]
	v_add_co_u32 v3, vcc_lo, s20, v3
	v_add_co_ci_u32_e64 v4, null, s21, v4, vcc_lo
	v_add_co_u32 v1, vcc_lo, 0x100, v1
	v_add_co_ci_u32_e64 v2, null, 0, v2, vcc_lo
	global_load_dword v5, v[3:4], off
	v_cmpx_gt_i64_e64 s[18:19], v[1:2]
	s_cbranch_execz .LBB211_51
; %bb.48:
	v_add_co_u32 v3, vcc_lo, 0x400, v3
	v_add_co_ci_u32_e64 v4, null, 0, v4, vcc_lo
	s_mov_b32 s4, 0
	.p2align	6
.LBB211_49:                             ; =>This Inner Loop Header: Depth=1
	global_load_dword v6, v[3:4], off
	v_add_co_u32 v1, vcc_lo, 0x100, v1
	v_add_co_ci_u32_e64 v2, null, 0, v2, vcc_lo
	v_add_co_u32 v3, s0, 0x400, v3
	v_add_co_ci_u32_e64 v4, null, 0, v4, s0
	v_cmp_le_i64_e32 vcc_lo, s[18:19], v[1:2]
	s_or_b32 s4, vcc_lo, s4
	s_waitcnt vmcnt(0)
	v_mul_f32_e32 v5, v5, v6
	s_andn2_b32 exec_lo, exec_lo, s4
	s_cbranch_execnz .LBB211_49
; %bb.50:
	s_or_b32 exec_lo, exec_lo, s4
.LBB211_51:
	s_or_b32 exec_lo, exec_lo, s3
.LBB211_52:
	s_or_b32 exec_lo, exec_lo, s1
	v_mbcnt_lo_u32_b32 v1, -1, 0
	s_cmpk_lt_u32 s2, 0x100
	s_mov_b32 s0, -1
                                        ; implicit-def: $vgpr2
	v_cmp_eq_u32_e32 vcc_lo, 0, v1
	s_cbranch_scc0 .LBB211_58
; %bb.53:
	v_cmp_ne_u32_e64 s0, 31, v1
	v_and_b32_e32 v3, 0xe0, v0
	v_add_nc_u32_e32 v4, 1, v1
	v_cmp_gt_u32_e64 s1, 28, v1
	v_add_co_ci_u32_e64 v2, null, 0, v1, s0
	v_cmp_gt_u32_e64 s0, 30, v1
	v_sub_nc_u32_e64 v7, s2, v3 clamp
	v_lshlrev_b32_e32 v2, 2, v2
	v_cndmask_b32_e64 v6, 0, 2, s0
	v_cmp_lt_u32_e64 s0, v4, v7
	v_cndmask_b32_e64 v4, 0, 4, s1
	s_waitcnt vmcnt(0)
	ds_bpermute_b32 v2, v2, v5
	v_add_lshl_u32 v3, v6, v1, 2
	v_add_nc_u32_e32 v6, 2, v1
	v_add_lshl_u32 v4, v4, v1, 2
	v_cmp_lt_u32_e64 s1, v6, v7
	v_add_nc_u32_e32 v6, 4, v1
	s_waitcnt lgkmcnt(0)
	v_mul_f32_e32 v2, v5, v2
	v_cndmask_b32_e64 v2, v5, v2, s0
	ds_bpermute_b32 v3, v3, v2
	s_waitcnt lgkmcnt(0)
	v_mul_f32_e32 v3, v2, v3
	v_cndmask_b32_e64 v2, v2, v3, s1
	v_cmp_gt_u32_e64 s1, 24, v1
	ds_bpermute_b32 v3, v4, v2
	v_cndmask_b32_e64 v4, 0, 8, s1
	v_cmp_lt_u32_e64 s1, v6, v7
	v_add_lshl_u32 v4, v4, v1, 2
	s_waitcnt lgkmcnt(0)
	v_mul_f32_e32 v3, v2, v3
	v_cndmask_b32_e64 v2, v2, v3, s1
	ds_bpermute_b32 v3, v4, v2
	v_add_nc_u32_e32 v4, 8, v1
	v_cmp_lt_u32_e64 s1, v4, v7
	s_waitcnt lgkmcnt(0)
	v_mul_f32_e32 v6, v2, v3
	v_lshlrev_b32_e32 v3, 2, v1
	v_cndmask_b32_e64 v2, v2, v6, s1
	v_or_b32_e32 v4, 64, v3
	v_add_nc_u32_e32 v6, 16, v1
	ds_bpermute_b32 v4, v4, v2
	v_cmp_lt_u32_e64 s1, v6, v7
	s_waitcnt lgkmcnt(0)
	v_mul_f32_e32 v4, v2, v4
	v_cndmask_b32_e64 v2, v2, v4, s1
	v_cndmask_b32_e64 v2, v5, v2, s0
	s_and_saveexec_b32 s0, vcc_lo
; %bb.54:
	v_lshrrev_b32_e32 v4, 3, v0
	v_and_b32_e32 v4, 28, v4
	ds_write_b32 v4, v2
; %bb.55:
	s_or_b32 exec_lo, exec_lo, s0
	s_mov_b32 s1, exec_lo
	s_waitcnt lgkmcnt(0)
	s_barrier
	buffer_gl0_inv
	v_cmpx_gt_u32_e32 8, v0
	s_cbranch_execz .LBB211_57
; %bb.56:
	ds_read_b32 v2, v3
	v_and_b32_e32 v4, 7, v1
	s_add_i32 s2, s2, 31
	v_or_b32_e32 v3, 16, v3
	s_lshr_b32 s2, s2, 5
	v_cmp_ne_u32_e32 vcc_lo, 7, v4
	v_add_nc_u32_e32 v8, 1, v4
	v_add_co_ci_u32_e64 v6, null, 0, v1, vcc_lo
	v_cmp_gt_u32_e32 vcc_lo, 6, v4
	v_lshlrev_b32_e32 v6, 2, v6
	v_cndmask_b32_e64 v7, 0, 2, vcc_lo
	v_cmp_gt_u32_e32 vcc_lo, s2, v8
	v_add_nc_u32_e32 v8, 2, v4
	s_waitcnt lgkmcnt(0)
	ds_bpermute_b32 v6, v6, v2
	v_add_nc_u32_e32 v4, 4, v4
	v_add_lshl_u32 v7, v7, v1, 2
	v_cmp_gt_u32_e64 s0, s2, v8
	s_waitcnt lgkmcnt(0)
	v_mul_f32_e32 v6, v2, v6
	v_cndmask_b32_e32 v6, v2, v6, vcc_lo
	ds_bpermute_b32 v7, v7, v6
	s_waitcnt lgkmcnt(0)
	v_mul_f32_e32 v7, v6, v7
	v_cndmask_b32_e64 v6, v6, v7, s0
	v_cmp_gt_u32_e64 s0, s2, v4
	ds_bpermute_b32 v3, v3, v6
	s_waitcnt lgkmcnt(0)
	v_mul_f32_e32 v3, v6, v3
	v_cndmask_b32_e64 v3, v6, v3, s0
	v_cndmask_b32_e32 v2, v2, v3, vcc_lo
.LBB211_57:
	s_or_b32 exec_lo, exec_lo, s1
	s_mov_b32 s0, 0
.LBB211_58:
	s_and_b32 vcc_lo, exec_lo, s0
	s_cbranch_vccz .LBB211_64
; %bb.59:
	s_waitcnt vmcnt(0)
	v_mov_b32_dpp v2, v5 quad_perm:[1,0,3,2] row_mask:0xf bank_mask:0xf
	s_mov_b32 s0, exec_lo
	v_mul_f32_e32 v2, v5, v2
	v_mov_b32_dpp v3, v2 quad_perm:[2,3,0,1] row_mask:0xf bank_mask:0xf
	v_mul_f32_e32 v2, v2, v3
	v_mov_b32_dpp v3, v2 row_ror:4 row_mask:0xf bank_mask:0xf
	v_mul_f32_e32 v2, v2, v3
	v_mov_b32_dpp v3, v2 row_ror:8 row_mask:0xf bank_mask:0xf
	v_mul_f32_e32 v2, v2, v3
	ds_swizzle_b32 v3, v2 offset:swizzle(BROADCAST,32,15)
	s_waitcnt lgkmcnt(0)
	v_mul_f32_e32 v2, v2, v3
	v_mov_b32_e32 v3, 0
	ds_bpermute_b32 v2, v3, v2 offset:124
	v_cmpx_eq_u32_e32 0, v1
	s_cbranch_execz .LBB211_61
; %bb.60:
	v_lshrrev_b32_e32 v3, 3, v0
	v_and_b32_e32 v3, 28, v3
	s_waitcnt lgkmcnt(0)
	ds_write_b32 v3, v2
.LBB211_61:
	s_or_b32 exec_lo, exec_lo, s0
	s_mov_b32 s0, exec_lo
	s_waitcnt lgkmcnt(0)
	s_barrier
	buffer_gl0_inv
	v_cmpx_gt_u32_e32 32, v0
	s_cbranch_execz .LBB211_63
; %bb.62:
	v_and_b32_e32 v2, 7, v1
	v_lshlrev_b32_e32 v3, 2, v2
	v_cmp_ne_u32_e32 vcc_lo, 7, v2
	ds_read_b32 v3, v3
	v_add_co_ci_u32_e64 v4, null, 0, v1, vcc_lo
	v_cmp_gt_u32_e32 vcc_lo, 6, v2
	v_lshlrev_b32_e32 v4, 2, v4
	v_cndmask_b32_e64 v2, 0, 2, vcc_lo
	v_add_lshl_u32 v2, v2, v1, 2
	v_lshlrev_b32_e32 v1, 2, v1
	v_or_b32_e32 v1, 16, v1
	s_waitcnt lgkmcnt(0)
	ds_bpermute_b32 v4, v4, v3
	s_waitcnt lgkmcnt(0)
	v_mul_f32_e32 v3, v3, v4
	ds_bpermute_b32 v2, v2, v3
	s_waitcnt lgkmcnt(0)
	v_mul_f32_e32 v2, v3, v2
	;; [unrolled: 3-line block ×3, first 2 shown]
.LBB211_63:
	s_or_b32 exec_lo, exec_lo, s0
.LBB211_64:
	s_mov_b32 s0, exec_lo
                                        ; implicit-def: $vgpr1
	v_cmpx_eq_u32_e32 0, v0
; %bb.65:
	v_mul_f32_e32 v1, s17, v2
	s_or_b32 s30, s30, exec_lo
; %bb.66:
	s_or_b32 exec_lo, exec_lo, s0
	s_and_saveexec_b32 s0, s30
	s_cbranch_execz .LBB211_68
.LBB211_67:
	s_lshl_b64 s[0:1], s[24:25], 2
	v_mov_b32_e32 v0, 0
	s_add_u32 s2, s22, s0
	s_addc_u32 s3, s23, s1
	s_lshl_b64 s[0:1], s[6:7], 2
	s_add_u32 s0, s2, s0
	s_addc_u32 s1, s3, s1
	global_store_dword v0, v1, s[0:1]
.LBB211_68:
	s_endpgm
	.section	.rodata,"a",@progbits
	.p2align	6, 0x0
	.amdhsa_kernel _ZN7rocprim17ROCPRIM_400000_NS6detail17trampoline_kernelINS0_14default_configENS1_32segmented_reduce_config_selectorIfEEZNS1_21segmented_reduce_implIS3_PKfPfPKlfN6hipcub16HIPCUB_304000_NS6detail27convert_result_type_wrapperIS8_S9_N2at6native12_GLOBAL__N_110CustomProdEEEEE10hipError_tPvRmT0_T1_jT2_SQ_T4_T3_P12ihipStream_tbEUlT_E_NS1_11comp_targetILNS1_3genE8ELNS1_11target_archE1030ELNS1_3gpuE2ELNS1_3repE0EEENS1_30default_config_static_selectorELNS0_4arch9wavefront6targetE0EEEvSP_
		.amdhsa_group_segment_fixed_size 32
		.amdhsa_private_segment_fixed_size 0
		.amdhsa_kernarg_size 48
		.amdhsa_user_sgpr_count 6
		.amdhsa_user_sgpr_private_segment_buffer 1
		.amdhsa_user_sgpr_dispatch_ptr 0
		.amdhsa_user_sgpr_queue_ptr 0
		.amdhsa_user_sgpr_kernarg_segment_ptr 1
		.amdhsa_user_sgpr_dispatch_id 0
		.amdhsa_user_sgpr_flat_scratch_init 0
		.amdhsa_user_sgpr_private_segment_size 0
		.amdhsa_wavefront_size32 1
		.amdhsa_uses_dynamic_stack 0
		.amdhsa_system_sgpr_private_segment_wavefront_offset 0
		.amdhsa_system_sgpr_workgroup_id_x 1
		.amdhsa_system_sgpr_workgroup_id_y 0
		.amdhsa_system_sgpr_workgroup_id_z 0
		.amdhsa_system_sgpr_workgroup_info 0
		.amdhsa_system_vgpr_workitem_id 0
		.amdhsa_next_free_vgpr 23
		.amdhsa_next_free_sgpr 32
		.amdhsa_reserve_vcc 1
		.amdhsa_reserve_flat_scratch 0
		.amdhsa_float_round_mode_32 0
		.amdhsa_float_round_mode_16_64 0
		.amdhsa_float_denorm_mode_32 3
		.amdhsa_float_denorm_mode_16_64 3
		.amdhsa_dx10_clamp 1
		.amdhsa_ieee_mode 1
		.amdhsa_fp16_overflow 0
		.amdhsa_workgroup_processor_mode 1
		.amdhsa_memory_ordered 1
		.amdhsa_forward_progress 1
		.amdhsa_shared_vgpr_count 0
		.amdhsa_exception_fp_ieee_invalid_op 0
		.amdhsa_exception_fp_denorm_src 0
		.amdhsa_exception_fp_ieee_div_zero 0
		.amdhsa_exception_fp_ieee_overflow 0
		.amdhsa_exception_fp_ieee_underflow 0
		.amdhsa_exception_fp_ieee_inexact 0
		.amdhsa_exception_int_div_zero 0
	.end_amdhsa_kernel
	.section	.text._ZN7rocprim17ROCPRIM_400000_NS6detail17trampoline_kernelINS0_14default_configENS1_32segmented_reduce_config_selectorIfEEZNS1_21segmented_reduce_implIS3_PKfPfPKlfN6hipcub16HIPCUB_304000_NS6detail27convert_result_type_wrapperIS8_S9_N2at6native12_GLOBAL__N_110CustomProdEEEEE10hipError_tPvRmT0_T1_jT2_SQ_T4_T3_P12ihipStream_tbEUlT_E_NS1_11comp_targetILNS1_3genE8ELNS1_11target_archE1030ELNS1_3gpuE2ELNS1_3repE0EEENS1_30default_config_static_selectorELNS0_4arch9wavefront6targetE0EEEvSP_,"axG",@progbits,_ZN7rocprim17ROCPRIM_400000_NS6detail17trampoline_kernelINS0_14default_configENS1_32segmented_reduce_config_selectorIfEEZNS1_21segmented_reduce_implIS3_PKfPfPKlfN6hipcub16HIPCUB_304000_NS6detail27convert_result_type_wrapperIS8_S9_N2at6native12_GLOBAL__N_110CustomProdEEEEE10hipError_tPvRmT0_T1_jT2_SQ_T4_T3_P12ihipStream_tbEUlT_E_NS1_11comp_targetILNS1_3genE8ELNS1_11target_archE1030ELNS1_3gpuE2ELNS1_3repE0EEENS1_30default_config_static_selectorELNS0_4arch9wavefront6targetE0EEEvSP_,comdat
.Lfunc_end211:
	.size	_ZN7rocprim17ROCPRIM_400000_NS6detail17trampoline_kernelINS0_14default_configENS1_32segmented_reduce_config_selectorIfEEZNS1_21segmented_reduce_implIS3_PKfPfPKlfN6hipcub16HIPCUB_304000_NS6detail27convert_result_type_wrapperIS8_S9_N2at6native12_GLOBAL__N_110CustomProdEEEEE10hipError_tPvRmT0_T1_jT2_SQ_T4_T3_P12ihipStream_tbEUlT_E_NS1_11comp_targetILNS1_3genE8ELNS1_11target_archE1030ELNS1_3gpuE2ELNS1_3repE0EEENS1_30default_config_static_selectorELNS0_4arch9wavefront6targetE0EEEvSP_, .Lfunc_end211-_ZN7rocprim17ROCPRIM_400000_NS6detail17trampoline_kernelINS0_14default_configENS1_32segmented_reduce_config_selectorIfEEZNS1_21segmented_reduce_implIS3_PKfPfPKlfN6hipcub16HIPCUB_304000_NS6detail27convert_result_type_wrapperIS8_S9_N2at6native12_GLOBAL__N_110CustomProdEEEEE10hipError_tPvRmT0_T1_jT2_SQ_T4_T3_P12ihipStream_tbEUlT_E_NS1_11comp_targetILNS1_3genE8ELNS1_11target_archE1030ELNS1_3gpuE2ELNS1_3repE0EEENS1_30default_config_static_selectorELNS0_4arch9wavefront6targetE0EEEvSP_
                                        ; -- End function
	.set _ZN7rocprim17ROCPRIM_400000_NS6detail17trampoline_kernelINS0_14default_configENS1_32segmented_reduce_config_selectorIfEEZNS1_21segmented_reduce_implIS3_PKfPfPKlfN6hipcub16HIPCUB_304000_NS6detail27convert_result_type_wrapperIS8_S9_N2at6native12_GLOBAL__N_110CustomProdEEEEE10hipError_tPvRmT0_T1_jT2_SQ_T4_T3_P12ihipStream_tbEUlT_E_NS1_11comp_targetILNS1_3genE8ELNS1_11target_archE1030ELNS1_3gpuE2ELNS1_3repE0EEENS1_30default_config_static_selectorELNS0_4arch9wavefront6targetE0EEEvSP_.num_vgpr, 23
	.set _ZN7rocprim17ROCPRIM_400000_NS6detail17trampoline_kernelINS0_14default_configENS1_32segmented_reduce_config_selectorIfEEZNS1_21segmented_reduce_implIS3_PKfPfPKlfN6hipcub16HIPCUB_304000_NS6detail27convert_result_type_wrapperIS8_S9_N2at6native12_GLOBAL__N_110CustomProdEEEEE10hipError_tPvRmT0_T1_jT2_SQ_T4_T3_P12ihipStream_tbEUlT_E_NS1_11comp_targetILNS1_3genE8ELNS1_11target_archE1030ELNS1_3gpuE2ELNS1_3repE0EEENS1_30default_config_static_selectorELNS0_4arch9wavefront6targetE0EEEvSP_.num_agpr, 0
	.set _ZN7rocprim17ROCPRIM_400000_NS6detail17trampoline_kernelINS0_14default_configENS1_32segmented_reduce_config_selectorIfEEZNS1_21segmented_reduce_implIS3_PKfPfPKlfN6hipcub16HIPCUB_304000_NS6detail27convert_result_type_wrapperIS8_S9_N2at6native12_GLOBAL__N_110CustomProdEEEEE10hipError_tPvRmT0_T1_jT2_SQ_T4_T3_P12ihipStream_tbEUlT_E_NS1_11comp_targetILNS1_3genE8ELNS1_11target_archE1030ELNS1_3gpuE2ELNS1_3repE0EEENS1_30default_config_static_selectorELNS0_4arch9wavefront6targetE0EEEvSP_.numbered_sgpr, 32
	.set _ZN7rocprim17ROCPRIM_400000_NS6detail17trampoline_kernelINS0_14default_configENS1_32segmented_reduce_config_selectorIfEEZNS1_21segmented_reduce_implIS3_PKfPfPKlfN6hipcub16HIPCUB_304000_NS6detail27convert_result_type_wrapperIS8_S9_N2at6native12_GLOBAL__N_110CustomProdEEEEE10hipError_tPvRmT0_T1_jT2_SQ_T4_T3_P12ihipStream_tbEUlT_E_NS1_11comp_targetILNS1_3genE8ELNS1_11target_archE1030ELNS1_3gpuE2ELNS1_3repE0EEENS1_30default_config_static_selectorELNS0_4arch9wavefront6targetE0EEEvSP_.num_named_barrier, 0
	.set _ZN7rocprim17ROCPRIM_400000_NS6detail17trampoline_kernelINS0_14default_configENS1_32segmented_reduce_config_selectorIfEEZNS1_21segmented_reduce_implIS3_PKfPfPKlfN6hipcub16HIPCUB_304000_NS6detail27convert_result_type_wrapperIS8_S9_N2at6native12_GLOBAL__N_110CustomProdEEEEE10hipError_tPvRmT0_T1_jT2_SQ_T4_T3_P12ihipStream_tbEUlT_E_NS1_11comp_targetILNS1_3genE8ELNS1_11target_archE1030ELNS1_3gpuE2ELNS1_3repE0EEENS1_30default_config_static_selectorELNS0_4arch9wavefront6targetE0EEEvSP_.private_seg_size, 0
	.set _ZN7rocprim17ROCPRIM_400000_NS6detail17trampoline_kernelINS0_14default_configENS1_32segmented_reduce_config_selectorIfEEZNS1_21segmented_reduce_implIS3_PKfPfPKlfN6hipcub16HIPCUB_304000_NS6detail27convert_result_type_wrapperIS8_S9_N2at6native12_GLOBAL__N_110CustomProdEEEEE10hipError_tPvRmT0_T1_jT2_SQ_T4_T3_P12ihipStream_tbEUlT_E_NS1_11comp_targetILNS1_3genE8ELNS1_11target_archE1030ELNS1_3gpuE2ELNS1_3repE0EEENS1_30default_config_static_selectorELNS0_4arch9wavefront6targetE0EEEvSP_.uses_vcc, 1
	.set _ZN7rocprim17ROCPRIM_400000_NS6detail17trampoline_kernelINS0_14default_configENS1_32segmented_reduce_config_selectorIfEEZNS1_21segmented_reduce_implIS3_PKfPfPKlfN6hipcub16HIPCUB_304000_NS6detail27convert_result_type_wrapperIS8_S9_N2at6native12_GLOBAL__N_110CustomProdEEEEE10hipError_tPvRmT0_T1_jT2_SQ_T4_T3_P12ihipStream_tbEUlT_E_NS1_11comp_targetILNS1_3genE8ELNS1_11target_archE1030ELNS1_3gpuE2ELNS1_3repE0EEENS1_30default_config_static_selectorELNS0_4arch9wavefront6targetE0EEEvSP_.uses_flat_scratch, 0
	.set _ZN7rocprim17ROCPRIM_400000_NS6detail17trampoline_kernelINS0_14default_configENS1_32segmented_reduce_config_selectorIfEEZNS1_21segmented_reduce_implIS3_PKfPfPKlfN6hipcub16HIPCUB_304000_NS6detail27convert_result_type_wrapperIS8_S9_N2at6native12_GLOBAL__N_110CustomProdEEEEE10hipError_tPvRmT0_T1_jT2_SQ_T4_T3_P12ihipStream_tbEUlT_E_NS1_11comp_targetILNS1_3genE8ELNS1_11target_archE1030ELNS1_3gpuE2ELNS1_3repE0EEENS1_30default_config_static_selectorELNS0_4arch9wavefront6targetE0EEEvSP_.has_dyn_sized_stack, 0
	.set _ZN7rocprim17ROCPRIM_400000_NS6detail17trampoline_kernelINS0_14default_configENS1_32segmented_reduce_config_selectorIfEEZNS1_21segmented_reduce_implIS3_PKfPfPKlfN6hipcub16HIPCUB_304000_NS6detail27convert_result_type_wrapperIS8_S9_N2at6native12_GLOBAL__N_110CustomProdEEEEE10hipError_tPvRmT0_T1_jT2_SQ_T4_T3_P12ihipStream_tbEUlT_E_NS1_11comp_targetILNS1_3genE8ELNS1_11target_archE1030ELNS1_3gpuE2ELNS1_3repE0EEENS1_30default_config_static_selectorELNS0_4arch9wavefront6targetE0EEEvSP_.has_recursion, 0
	.set _ZN7rocprim17ROCPRIM_400000_NS6detail17trampoline_kernelINS0_14default_configENS1_32segmented_reduce_config_selectorIfEEZNS1_21segmented_reduce_implIS3_PKfPfPKlfN6hipcub16HIPCUB_304000_NS6detail27convert_result_type_wrapperIS8_S9_N2at6native12_GLOBAL__N_110CustomProdEEEEE10hipError_tPvRmT0_T1_jT2_SQ_T4_T3_P12ihipStream_tbEUlT_E_NS1_11comp_targetILNS1_3genE8ELNS1_11target_archE1030ELNS1_3gpuE2ELNS1_3repE0EEENS1_30default_config_static_selectorELNS0_4arch9wavefront6targetE0EEEvSP_.has_indirect_call, 0
	.section	.AMDGPU.csdata,"",@progbits
; Kernel info:
; codeLenInByte = 3540
; TotalNumSgprs: 34
; NumVgprs: 23
; ScratchSize: 0
; MemoryBound: 0
; FloatMode: 240
; IeeeMode: 1
; LDSByteSize: 32 bytes/workgroup (compile time only)
; SGPRBlocks: 0
; VGPRBlocks: 2
; NumSGPRsForWavesPerEU: 34
; NumVGPRsForWavesPerEU: 23
; Occupancy: 16
; WaveLimiterHint : 1
; COMPUTE_PGM_RSRC2:SCRATCH_EN: 0
; COMPUTE_PGM_RSRC2:USER_SGPR: 6
; COMPUTE_PGM_RSRC2:TRAP_HANDLER: 0
; COMPUTE_PGM_RSRC2:TGID_X_EN: 1
; COMPUTE_PGM_RSRC2:TGID_Y_EN: 0
; COMPUTE_PGM_RSRC2:TGID_Z_EN: 0
; COMPUTE_PGM_RSRC2:TIDIG_COMP_CNT: 0
	.section	.text._ZN2at6native12_GLOBAL__N_129segment_reduce_forward_kernelIN3c104HalfElEEvNS0_13ReductionTypeEPT_PKS6_PKT0_SC_llbS6_lllllll,"axG",@progbits,_ZN2at6native12_GLOBAL__N_129segment_reduce_forward_kernelIN3c104HalfElEEvNS0_13ReductionTypeEPT_PKS6_PKT0_SC_llbS6_lllllll,comdat
	.globl	_ZN2at6native12_GLOBAL__N_129segment_reduce_forward_kernelIN3c104HalfElEEvNS0_13ReductionTypeEPT_PKS6_PKT0_SC_llbS6_lllllll ; -- Begin function _ZN2at6native12_GLOBAL__N_129segment_reduce_forward_kernelIN3c104HalfElEEvNS0_13ReductionTypeEPT_PKS6_PKT0_SC_llbS6_lllllll
	.p2align	8
	.type	_ZN2at6native12_GLOBAL__N_129segment_reduce_forward_kernelIN3c104HalfElEEvNS0_13ReductionTypeEPT_PKS6_PKT0_SC_llbS6_lllllll,@function
_ZN2at6native12_GLOBAL__N_129segment_reduce_forward_kernelIN3c104HalfElEEvNS0_13ReductionTypeEPT_PKS6_PKT0_SC_llbS6_lllllll: ; @_ZN2at6native12_GLOBAL__N_129segment_reduce_forward_kernelIN3c104HalfElEEvNS0_13ReductionTypeEPT_PKS6_PKT0_SC_llbS6_lllllll
; %bb.0:
	s_clause 0x2
	s_load_dwordx4 s[36:39], s[4:5], 0x28
	s_load_dword s0, s[4:5], 0x84
	s_load_dwordx8 s[24:31], s[4:5], 0x40
	v_mov_b32_e32 v2, 0
	v_mov_b32_e32 v1, v2
	s_waitcnt lgkmcnt(0)
	s_and_b32 s0, s0, 0xffff
	s_mul_i32 s1, s24, s37
	s_mul_hi_u32 s2, s24, s36
	s_mul_i32 s3, s25, s36
	s_mul_i32 s7, s24, s36
	v_mad_u64_u32 v[4:5], null, s0, s6, v[0:1]
	s_add_i32 s0, s2, s1
	s_mul_i32 s1, s7, s27
	s_mul_hi_u32 s2, s7, s26
	s_add_i32 s0, s0, s3
	s_add_i32 s1, s2, s1
	s_mul_i32 s0, s0, s26
	s_add_i32 s1, s1, s0
	s_mul_i32 s0, s7, s26
	v_cmp_gt_i64_e32 vcc_lo, s[0:1], v[4:5]
	s_and_saveexec_b32 s0, vcc_lo
	s_cbranch_execz .LBB212_37
; %bb.1:
	v_or_b32_e32 v3, s27, v5
                                        ; implicit-def: $vgpr8_vgpr9
	s_mov_b32 s0, exec_lo
	v_cmpx_ne_u64_e32 0, v[2:3]
	s_xor_b32 s1, exec_lo, s0
	s_cbranch_execz .LBB212_3
; %bb.2:
	s_ashr_i32 s2, s27, 31
	v_ashrrev_i32_e32 v8, 31, v5
	s_add_u32 s6, s26, s2
	s_mov_b32 s3, s2
	s_addc_u32 s7, s27, s2
	s_xor_b64 s[6:7], s[6:7], s[2:3]
	v_add_co_u32 v2, vcc_lo, v4, v8
	v_cvt_f32_u32_e32 v0, s6
	v_cvt_f32_u32_e32 v1, s7
	s_sub_u32 s8, 0, s6
	s_subb_u32 s9, 0, s7
	v_add_co_ci_u32_e64 v3, null, v5, v8, vcc_lo
	v_fmamk_f32 v0, v1, 0x4f800000, v0
	v_xor_b32_e32 v9, v2, v8
	v_xor_b32_e32 v10, v3, v8
	v_rcp_f32_e32 v0, v0
	v_mul_f32_e32 v0, 0x5f7ffffc, v0
	v_mul_f32_e32 v1, 0x2f800000, v0
	v_trunc_f32_e32 v1, v1
	v_fmamk_f32 v0, v1, 0xcf800000, v0
	v_cvt_u32_f32_e32 v1, v1
	v_cvt_u32_f32_e32 v0, v0
	v_readfirstlane_b32 s0, v1
	v_readfirstlane_b32 s3, v0
	s_mul_i32 s10, s8, s0
	s_mul_hi_u32 s12, s8, s3
	s_mul_i32 s11, s9, s3
	s_add_i32 s10, s12, s10
	s_mul_i32 s13, s8, s3
	s_add_i32 s10, s10, s11
	s_mul_hi_u32 s12, s3, s13
	s_mul_i32 s15, s3, s10
	s_mul_hi_u32 s14, s0, s13
	s_mul_i32 s11, s0, s13
	s_mul_hi_u32 s13, s3, s10
	s_add_u32 s12, s12, s15
	s_addc_u32 s13, 0, s13
	s_mul_hi_u32 s16, s0, s10
	s_add_u32 s11, s12, s11
	s_mul_i32 s10, s0, s10
	s_addc_u32 s11, s13, s14
	s_addc_u32 s12, s16, 0
	s_add_u32 s10, s11, s10
	s_addc_u32 s11, 0, s12
	s_add_u32 s3, s3, s10
	s_cselect_b32 s10, -1, 0
	s_mul_hi_u32 s12, s8, s3
	s_cmp_lg_u32 s10, 0
	s_mul_i32 s10, s8, s3
	s_addc_u32 s0, s0, s11
	s_mul_i32 s9, s9, s3
	s_mul_i32 s8, s8, s0
	s_mul_hi_u32 s11, s3, s10
	s_add_i32 s8, s12, s8
	s_mul_hi_u32 s12, s0, s10
	s_add_i32 s8, s8, s9
	s_mul_i32 s9, s0, s10
	s_mul_i32 s14, s3, s8
	s_mul_hi_u32 s13, s3, s8
	s_add_u32 s11, s11, s14
	s_addc_u32 s13, 0, s13
	s_mul_hi_u32 s10, s0, s8
	s_add_u32 s9, s11, s9
	s_mul_i32 s8, s0, s8
	s_addc_u32 s9, s13, s12
	s_addc_u32 s10, s10, 0
	s_add_u32 s8, s9, s8
	s_addc_u32 s9, 0, s10
	s_add_u32 s3, s3, s8
	s_cselect_b32 s8, -1, 0
	v_mul_hi_u32 v11, v9, s3
	s_cmp_lg_u32 s8, 0
	v_mad_u64_u32 v[2:3], null, v10, s3, 0
	s_addc_u32 s0, s0, s9
	v_mad_u64_u32 v[0:1], null, v9, s0, 0
	v_mad_u64_u32 v[6:7], null, v10, s0, 0
	v_add_co_u32 v0, vcc_lo, v11, v0
	v_add_co_ci_u32_e64 v1, null, 0, v1, vcc_lo
	v_add_co_u32 v0, vcc_lo, v0, v2
	v_add_co_ci_u32_e32 v0, vcc_lo, v1, v3, vcc_lo
	v_add_co_ci_u32_e32 v1, vcc_lo, 0, v7, vcc_lo
	v_add_co_u32 v2, vcc_lo, v0, v6
	v_add_co_ci_u32_e64 v3, null, 0, v1, vcc_lo
	v_mul_lo_u32 v6, s7, v2
	v_mad_u64_u32 v[0:1], null, s6, v2, 0
	v_mul_lo_u32 v7, s6, v3
	v_sub_co_u32 v0, vcc_lo, v9, v0
	v_add3_u32 v1, v1, v7, v6
	v_add_co_u32 v7, s0, v2, 2
	v_add_co_ci_u32_e64 v9, null, 0, v3, s0
	v_sub_nc_u32_e32 v6, v10, v1
	v_sub_co_u32 v11, s0, v0, s6
	v_sub_co_ci_u32_e64 v1, null, v10, v1, vcc_lo
	v_subrev_co_ci_u32_e64 v6, null, s7, v6, vcc_lo
	v_cmp_le_u32_e32 vcc_lo, s6, v11
	v_subrev_co_ci_u32_e64 v6, null, 0, v6, s0
	v_cndmask_b32_e64 v10, 0, -1, vcc_lo
	v_cmp_le_u32_e32 vcc_lo, s7, v6
	v_cndmask_b32_e64 v11, 0, -1, vcc_lo
	v_cmp_le_u32_e32 vcc_lo, s6, v0
	;; [unrolled: 2-line block ×3, first 2 shown]
	v_cndmask_b32_e64 v12, 0, -1, vcc_lo
	v_cmp_eq_u32_e32 vcc_lo, s7, v6
	v_cndmask_b32_e32 v6, v11, v10, vcc_lo
	v_add_co_u32 v10, vcc_lo, v2, 1
	v_add_co_ci_u32_e64 v11, null, 0, v3, vcc_lo
	v_cmp_eq_u32_e32 vcc_lo, s7, v1
	v_cndmask_b32_e32 v0, v12, v0, vcc_lo
	v_cmp_ne_u32_e32 vcc_lo, 0, v6
	v_xor_b32_e32 v6, s2, v8
	v_cmp_ne_u32_e64 s0, 0, v0
	v_cndmask_b32_e32 v0, v10, v7, vcc_lo
	v_cndmask_b32_e32 v1, v11, v9, vcc_lo
	v_cndmask_b32_e64 v0, v2, v0, s0
	v_cndmask_b32_e64 v1, v3, v1, s0
	v_xor_b32_e32 v0, v0, v6
	v_xor_b32_e32 v1, v1, v6
	v_sub_co_u32 v8, vcc_lo, v0, v6
	v_sub_co_ci_u32_e64 v9, null, v1, v6, vcc_lo
.LBB212_3:
	s_or_saveexec_b32 s0, s1
	s_clause 0x1
	s_load_dwordx8 s[8:15], s[4:5], 0x8
	s_load_dwordx8 s[16:23], s[4:5], 0x60
	s_xor_b32 exec_lo, exec_lo, s0
	s_cbranch_execz .LBB212_5
; %bb.4:
	v_cvt_f32_u32_e32 v0, s26
	s_sub_i32 s1, 0, s26
	v_mov_b32_e32 v9, 0
	v_rcp_iflag_f32_e32 v0, v0
	v_mul_f32_e32 v0, 0x4f7ffffe, v0
	v_cvt_u32_f32_e32 v0, v0
	v_mul_lo_u32 v1, s1, v0
	v_mul_hi_u32 v1, v0, v1
	v_add_nc_u32_e32 v0, v0, v1
	v_mul_hi_u32 v0, v4, v0
	v_mul_lo_u32 v1, v0, s26
	v_add_nc_u32_e32 v2, 1, v0
	v_sub_nc_u32_e32 v1, v4, v1
	v_subrev_nc_u32_e32 v3, s26, v1
	v_cmp_le_u32_e32 vcc_lo, s26, v1
	v_cndmask_b32_e32 v1, v1, v3, vcc_lo
	v_cndmask_b32_e32 v0, v0, v2, vcc_lo
	v_cmp_le_u32_e32 vcc_lo, s26, v1
	v_add_nc_u32_e32 v2, 1, v0
	v_cndmask_b32_e32 v8, v0, v2, vcc_lo
.LBB212_5:
	s_or_b32 exec_lo, exec_lo, s0
	v_or_b32_e32 v1, s37, v9
	v_mov_b32_e32 v0, 0
                                        ; implicit-def: $vgpr6_vgpr7
	s_mov_b32 s0, exec_lo
	v_cmpx_ne_u64_e32 0, v[0:1]
	s_xor_b32 s1, exec_lo, s0
	s_cbranch_execz .LBB212_7
; %bb.6:
	s_ashr_i32 s2, s37, 31
	v_ashrrev_i32_e32 v10, 31, v9
	s_add_u32 s6, s36, s2
	s_mov_b32 s3, s2
	s_addc_u32 s7, s37, s2
	s_xor_b64 s[6:7], s[6:7], s[2:3]
	v_add_co_u32 v2, vcc_lo, v8, v10
	v_cvt_f32_u32_e32 v0, s6
	v_cvt_f32_u32_e32 v1, s7
	s_waitcnt lgkmcnt(0)
	s_sub_u32 s22, 0, s6
	s_subb_u32 s23, 0, s7
	v_add_co_ci_u32_e64 v3, null, v9, v10, vcc_lo
	v_fmamk_f32 v0, v1, 0x4f800000, v0
	v_xor_b32_e32 v11, v2, v10
	v_xor_b32_e32 v12, v3, v10
	v_rcp_f32_e32 v0, v0
	v_mul_f32_e32 v0, 0x5f7ffffc, v0
	v_mul_f32_e32 v1, 0x2f800000, v0
	v_trunc_f32_e32 v1, v1
	v_fmamk_f32 v0, v1, 0xcf800000, v0
	v_cvt_u32_f32_e32 v1, v1
	v_cvt_u32_f32_e32 v0, v0
	v_readfirstlane_b32 s0, v1
	v_readfirstlane_b32 s3, v0
	s_mul_i32 s24, s22, s0
	s_mul_hi_u32 s33, s22, s3
	s_mul_i32 s25, s23, s3
	s_add_i32 s24, s33, s24
	s_mul_i32 s34, s22, s3
	s_add_i32 s24, s24, s25
	s_mul_hi_u32 s33, s3, s34
	s_mul_i32 s40, s3, s24
	s_mul_hi_u32 s35, s0, s34
	s_mul_i32 s25, s0, s34
	s_mul_hi_u32 s34, s3, s24
	s_add_u32 s33, s33, s40
	s_addc_u32 s34, 0, s34
	s_mul_hi_u32 s41, s0, s24
	s_add_u32 s25, s33, s25
	s_mul_i32 s24, s0, s24
	s_addc_u32 s25, s34, s35
	s_addc_u32 s33, s41, 0
	s_add_u32 s24, s25, s24
	s_addc_u32 s25, 0, s33
	s_add_u32 s3, s3, s24
	s_cselect_b32 s24, -1, 0
	s_mul_hi_u32 s33, s22, s3
	s_cmp_lg_u32 s24, 0
	s_mul_i32 s24, s22, s3
	s_addc_u32 s0, s0, s25
	s_mul_i32 s23, s23, s3
	s_mul_i32 s22, s22, s0
	s_mul_hi_u32 s25, s3, s24
	s_add_i32 s22, s33, s22
	s_mul_hi_u32 s33, s0, s24
	s_add_i32 s22, s22, s23
	s_mul_i32 s23, s0, s24
	s_mul_i32 s35, s3, s22
	s_mul_hi_u32 s34, s3, s22
	s_add_u32 s25, s25, s35
	s_addc_u32 s34, 0, s34
	s_mul_hi_u32 s24, s0, s22
	s_add_u32 s23, s25, s23
	s_mul_i32 s22, s0, s22
	s_addc_u32 s23, s34, s33
	s_addc_u32 s24, s24, 0
	s_add_u32 s22, s23, s22
	s_addc_u32 s23, 0, s24
	s_add_u32 s3, s3, s22
	s_cselect_b32 s22, -1, 0
	v_mul_hi_u32 v13, v11, s3
	s_cmp_lg_u32 s22, 0
	v_mad_u64_u32 v[2:3], null, v12, s3, 0
	s_addc_u32 s0, s0, s23
	v_mad_u64_u32 v[0:1], null, v11, s0, 0
	v_mad_u64_u32 v[6:7], null, v12, s0, 0
	v_add_co_u32 v0, vcc_lo, v13, v0
	v_add_co_ci_u32_e64 v1, null, 0, v1, vcc_lo
	v_add_co_u32 v0, vcc_lo, v0, v2
	v_add_co_ci_u32_e32 v0, vcc_lo, v1, v3, vcc_lo
	v_add_co_ci_u32_e32 v1, vcc_lo, 0, v7, vcc_lo
	v_add_co_u32 v2, vcc_lo, v0, v6
	v_add_co_ci_u32_e64 v3, null, 0, v1, vcc_lo
	v_mul_lo_u32 v6, s7, v2
	v_mad_u64_u32 v[0:1], null, s6, v2, 0
	v_mul_lo_u32 v7, s6, v3
	v_sub_co_u32 v0, vcc_lo, v11, v0
	v_add3_u32 v1, v1, v7, v6
	v_add_co_u32 v7, s0, v2, 2
	v_add_co_ci_u32_e64 v11, null, 0, v3, s0
	v_sub_nc_u32_e32 v6, v12, v1
	v_sub_co_u32 v13, s0, v0, s6
	v_sub_co_ci_u32_e64 v1, null, v12, v1, vcc_lo
	v_subrev_co_ci_u32_e64 v6, null, s7, v6, vcc_lo
	v_cmp_le_u32_e32 vcc_lo, s6, v13
	v_subrev_co_ci_u32_e64 v6, null, 0, v6, s0
	v_cndmask_b32_e64 v12, 0, -1, vcc_lo
	v_cmp_le_u32_e32 vcc_lo, s7, v6
	v_cndmask_b32_e64 v13, 0, -1, vcc_lo
	v_cmp_le_u32_e32 vcc_lo, s6, v0
	v_cndmask_b32_e64 v0, 0, -1, vcc_lo
	v_cmp_le_u32_e32 vcc_lo, s7, v1
	v_cndmask_b32_e64 v14, 0, -1, vcc_lo
	v_cmp_eq_u32_e32 vcc_lo, s7, v6
	v_cndmask_b32_e32 v6, v13, v12, vcc_lo
	v_add_co_u32 v12, vcc_lo, v2, 1
	v_add_co_ci_u32_e64 v13, null, 0, v3, vcc_lo
	v_cmp_eq_u32_e32 vcc_lo, s7, v1
	v_cndmask_b32_e32 v0, v14, v0, vcc_lo
	v_cmp_ne_u32_e32 vcc_lo, 0, v6
	v_cmp_ne_u32_e64 s0, 0, v0
	v_cndmask_b32_e32 v0, v12, v7, vcc_lo
	v_cndmask_b32_e32 v1, v13, v11, vcc_lo
	v_xor_b32_e32 v7, s2, v10
	v_cndmask_b32_e64 v0, v2, v0, s0
	v_cndmask_b32_e64 v1, v3, v1, s0
	v_xor_b32_e32 v0, v0, v7
	v_xor_b32_e32 v1, v1, v7
	v_sub_co_u32 v6, vcc_lo, v0, v7
	v_sub_co_ci_u32_e64 v7, null, v1, v7, vcc_lo
.LBB212_7:
	s_andn2_saveexec_b32 s0, s1
	s_cbranch_execz .LBB212_9
; %bb.8:
	v_cvt_f32_u32_e32 v0, s36
	s_sub_i32 s1, 0, s36
	v_mov_b32_e32 v7, 0
	v_rcp_iflag_f32_e32 v0, v0
	v_mul_f32_e32 v0, 0x4f7ffffe, v0
	v_cvt_u32_f32_e32 v0, v0
	v_mul_lo_u32 v1, s1, v0
	v_mul_hi_u32 v1, v0, v1
	v_add_nc_u32_e32 v0, v0, v1
	v_mul_hi_u32 v0, v8, v0
	v_mul_lo_u32 v1, v0, s36
	v_add_nc_u32_e32 v2, 1, v0
	v_sub_nc_u32_e32 v1, v8, v1
	v_subrev_nc_u32_e32 v3, s36, v1
	v_cmp_le_u32_e32 vcc_lo, s36, v1
	v_cndmask_b32_e32 v1, v1, v3, vcc_lo
	v_cndmask_b32_e32 v0, v0, v2, vcc_lo
	v_cmp_le_u32_e32 vcc_lo, s36, v1
	v_add_nc_u32_e32 v2, 1, v0
	v_cndmask_b32_e32 v6, v0, v2, vcc_lo
.LBB212_9:
	s_or_b32 exec_lo, exec_lo, s0
	s_load_dword s1, s[4:5], 0x38
	v_mul_lo_u32 v2, v7, s36
	v_mul_lo_u32 v3, v6, s37
	v_mad_u64_u32 v[12:13], null, v6, s36, 0
	s_load_dword s4, s[4:5], 0x0
	v_mul_lo_u32 v16, v9, s26
	v_mul_lo_u32 v17, v8, s27
	s_mov_b32 s5, exec_lo
	v_add3_u32 v13, v13, v3, v2
	s_waitcnt lgkmcnt(0)
	s_lshr_b32 s0, s1, 16
	s_add_u32 s2, s36, 1
	s_addc_u32 s3, s37, 0
	s_mul_hi_u32 s6, s20, s2
	s_mul_i32 s3, s20, s3
	s_mul_i32 s7, s21, s2
	s_add_i32 s3, s6, s3
	s_mul_i32 s2, s20, s2
	s_add_i32 s3, s3, s7
	v_mul_lo_u32 v10, s2, v7
	v_mad_u64_u32 v[0:1], null, s2, v6, 0
	v_mul_lo_u32 v11, s3, v6
	v_mov_b32_e32 v18, s0
	v_add3_u32 v1, v1, v10, v11
	v_sub_co_u32 v10, vcc_lo, v8, v12
	v_sub_co_ci_u32_e64 v11, null, v9, v13, vcc_lo
	v_lshlrev_b64 v[0:1], 3, v[0:1]
	v_mad_u64_u32 v[8:9], null, v8, s26, 0
	v_lshlrev_b64 v[14:15], 3, v[10:11]
	v_add_co_u32 v0, vcc_lo, s14, v0
	v_add_co_ci_u32_e64 v1, null, s15, v1, vcc_lo
	v_add3_u32 v9, v9, v17, v16
	v_add_co_u32 v0, vcc_lo, v0, v14
	v_add_co_ci_u32_e64 v1, null, v1, v15, vcc_lo
	global_load_dwordx4 v[0:3], v[0:1], off
	s_waitcnt vmcnt(0)
	v_cmpx_lt_i64_e64 v[0:1], v[2:3]
	s_cbranch_execz .LBB212_28
; %bb.10:
	v_mul_lo_u32 v18, v7, s30
	v_mul_lo_u32 v19, v6, s31
	v_mad_u64_u32 v[16:17], null, v6, s30, 0
	s_cmp_lg_u32 s4, 0
	s_mov_b32 s7, 0
	s_cselect_b32 s6, -1, 0
	s_and_b32 s2, s4, -3
	s_cmp_lg_u32 s2, 1
	v_add3_u32 v17, v17, v19, v18
	v_lshlrev_b64 v[18:19], 1, v[0:1]
	v_lshlrev_b64 v[16:17], 1, v[16:17]
	v_add_co_u32 v18, vcc_lo, v16, v18
	v_add_co_ci_u32_e64 v19, null, v17, v19, vcc_lo
	v_lshlrev_b64 v[16:17], 1, v[4:5]
	v_mul_lo_u32 v21, s29, v18
	v_mul_lo_u32 v20, s28, v19
	v_mad_u64_u32 v[16:17], null, s28, v18, v[16:17]
	v_lshlrev_b64 v[18:19], 1, v[8:9]
	v_add3_u32 v17, v21, v17, v20
	v_sub_co_u32 v16, vcc_lo, v16, v18
	v_sub_co_ci_u32_e64 v17, null, v17, v19, vcc_lo
	v_add_co_u32 v16, vcc_lo, s10, v16
	v_mov_b32_e32 v19, s0
	v_add_co_ci_u32_e64 v17, null, s11, v17, vcc_lo
	s_cselect_b32 s10, -1, 0
	s_lshl_b64 s[2:3], s[28:29], 1
	s_branch .LBB212_12
.LBB212_11:                             ;   in Loop: Header=BB212_12 Depth=1
	v_add_co_u32 v0, vcc_lo, v0, 1
	v_add_co_ci_u32_e64 v1, null, 0, v1, vcc_lo
	v_add_co_u32 v16, s0, v16, s2
	v_add_co_ci_u32_e64 v17, null, s3, v17, s0
	v_cmp_ge_i64_e32 vcc_lo, v[0:1], v[2:3]
	v_mov_b32_e32 v19, v18
	s_or_b32 s7, vcc_lo, s7
	s_andn2_b32 exec_lo, exec_lo, s7
	s_cbranch_execz .LBB212_27
.LBB212_12:                             ; =>This Inner Loop Header: Depth=1
	global_load_ushort v20, v[16:17], off
	s_and_b32 vcc_lo, exec_lo, s6
	s_cbranch_vccz .LBB212_25
; %bb.13:                               ;   in Loop: Header=BB212_12 Depth=1
	s_and_b32 vcc_lo, exec_lo, s10
	s_mov_b32 s0, -1
                                        ; implicit-def: $vgpr18
	s_cbranch_vccz .LBB212_22
; %bb.14:                               ;   in Loop: Header=BB212_12 Depth=1
	s_cmp_lt_i32 s4, 4
                                        ; implicit-def: $vgpr18
	s_cbranch_scc1 .LBB212_18
; %bb.15:                               ;   in Loop: Header=BB212_12 Depth=1
	v_mov_b32_e32 v18, v19
	s_cmp_eq_u32 s4, 4
	s_cbranch_scc0 .LBB212_17
; %bb.16:                               ;   in Loop: Header=BB212_12 Depth=1
	s_waitcnt vmcnt(0)
	v_mul_f16_e32 v18, v19, v20
.LBB212_17:                             ;   in Loop: Header=BB212_12 Depth=1
	s_mov_b32 s0, 0
.LBB212_18:                             ;   in Loop: Header=BB212_12 Depth=1
	s_andn2_b32 vcc_lo, exec_lo, s0
	s_cbranch_vccnz .LBB212_21
; %bb.19:                               ;   in Loop: Header=BB212_12 Depth=1
	v_mov_b32_e32 v18, v19
	s_cmp_lg_u32 s4, 2
	s_cbranch_scc1 .LBB212_21
; %bb.20:                               ;   in Loop: Header=BB212_12 Depth=1
	s_waitcnt vmcnt(0)
	v_cmp_u_f16_e32 vcc_lo, v20, v20
	v_cmp_gt_f16_e64 s0, v19, v20
	s_or_b32 vcc_lo, vcc_lo, s0
	v_cndmask_b32_e32 v18, v19, v20, vcc_lo
.LBB212_21:                             ;   in Loop: Header=BB212_12 Depth=1
	s_mov_b32 s0, 0
.LBB212_22:                             ;   in Loop: Header=BB212_12 Depth=1
	s_and_b32 vcc_lo, exec_lo, s0
	s_cbranch_vccz .LBB212_24
; %bb.23:                               ;   in Loop: Header=BB212_12 Depth=1
	s_waitcnt vmcnt(0)
	v_add_f16_e32 v18, v19, v20
.LBB212_24:                             ;   in Loop: Header=BB212_12 Depth=1
	s_cbranch_execnz .LBB212_11
	s_branch .LBB212_26
.LBB212_25:                             ;   in Loop: Header=BB212_12 Depth=1
                                        ; implicit-def: $vgpr18
.LBB212_26:                             ;   in Loop: Header=BB212_12 Depth=1
	s_waitcnt vmcnt(0)
	v_cmp_u_f16_e32 vcc_lo, v20, v20
	v_cmp_lt_f16_e64 s0, v19, v20
	s_or_b32 vcc_lo, vcc_lo, s0
	v_cndmask_b32_e32 v18, v19, v20, vcc_lo
	s_branch .LBB212_11
.LBB212_27:
	s_or_b32 exec_lo, exec_lo, s7
.LBB212_28:
	s_or_b32 exec_lo, exec_lo, s5
	v_mul_lo_u32 v2, v13, s38
	v_mul_lo_u32 v3, v12, s39
	v_mad_u64_u32 v[0:1], null, v12, s38, 0
	s_mov_b32 s0, exec_lo
	v_add3_u32 v1, v1, v3, v2
	v_lshlrev_b64 v[0:1], 3, v[0:1]
	v_add_co_u32 v0, vcc_lo, s12, v0
	v_add_co_ci_u32_e64 v1, null, s13, v1, vcc_lo
	v_add_co_u32 v0, vcc_lo, v0, v14
	v_add_co_ci_u32_e64 v1, null, v1, v15, vcc_lo
	global_load_dwordx2 v[0:1], v[0:1], off
	s_waitcnt vmcnt(0)
	v_cmpx_lt_i64_e32 -1, v[0:1]
	s_xor_b32 s0, exec_lo, s0
	s_cbranch_execz .LBB212_36
; %bb.29:
	v_cmp_ne_u64_e32 vcc_lo, 0, v[0:1]
	s_bitcmp1_b32 s1, 0
	v_mov_b32_e32 v2, 0x7e00
	s_cselect_b32 s1, -1, 0
	s_or_b32 s1, s1, vcc_lo
	s_cmp_lg_u32 s4, 1
	s_cselect_b32 s2, -1, 0
	s_or_b32 s3, s2, s1
	s_and_saveexec_b32 s1, s3
	s_cbranch_execz .LBB212_35
; %bb.30:
	v_cmp_ne_u64_e32 vcc_lo, 0, v[0:1]
	s_xor_b32 s2, s2, -1
	s_and_b32 s3, s2, vcc_lo
	s_and_saveexec_b32 s2, s3
	s_cbranch_execz .LBB212_34
; %bb.31:
	s_mov_b32 s3, exec_lo
	v_cmpx_o_f16_e32 v18, v18
	s_cbranch_execz .LBB212_33
; %bb.32:
	v_ffbh_u32_e32 v2, v1
	v_min_u32_e32 v2, 32, v2
	v_lshlrev_b64 v[0:1], v2, v[0:1]
	v_min_u32_e32 v0, 1, v0
	v_or_b32_e32 v0, v1, v0
	v_sub_nc_u32_e32 v1, 32, v2
	v_cvt_f32_f16_e32 v2, v18
	v_cvt_f32_u32_e32 v0, v0
	v_ldexp_f32 v0, v0, v1
	v_cvt_f16_f32_e32 v0, v0
	v_cvt_f32_f16_e32 v1, v0
	v_rcp_f32_e32 v1, v1
	v_mul_f32_e32 v2, v2, v1
	v_fma_mix_f32 v3, -v0, v2, v18 op_sel_hi:[1,0,1]
	v_fmac_f32_e32 v2, v3, v1
	v_fma_mix_f32 v3, -v0, v2, v18 op_sel_hi:[1,0,1]
	v_mul_f32_e32 v1, v3, v1
	v_and_b32_e32 v1, 0xff800000, v1
	v_add_f32_e32 v1, v1, v2
	v_cvt_f16_f32_e32 v1, v1
	v_div_fixup_f16 v18, v1, v0, v18
.LBB212_33:
	s_or_b32 exec_lo, exec_lo, s3
.LBB212_34:
	s_or_b32 exec_lo, exec_lo, s2
	v_mov_b32_e32 v2, v18
.LBB212_35:
	s_or_b32 exec_lo, exec_lo, s1
	s_mul_i32 s1, s18, s17
	s_mul_hi_u32 s2, s18, s16
	s_mul_i32 s3, s19, s16
	s_add_i32 s1, s2, s1
	s_mul_i32 s2, s18, s16
	s_add_i32 s1, s1, s3
	v_mul_lo_u32 v12, s2, v7
	v_mul_lo_u32 v3, s1, v6
	v_mad_u64_u32 v[0:1], null, s2, v6, 0
	v_mul_lo_u32 v11, v11, s16
	v_mul_lo_u32 v13, v10, s17
	v_mad_u64_u32 v[6:7], null, v10, s16, 0
	v_add3_u32 v1, v1, v12, v3
	v_sub_co_u32 v3, vcc_lo, v4, v8
	v_sub_co_ci_u32_e64 v4, null, v5, v9, vcc_lo
	v_add3_u32 v7, v7, v13, v11
	v_lshlrev_b64 v[0:1], 1, v[0:1]
	v_lshlrev_b64 v[5:6], 1, v[6:7]
	v_add_co_u32 v7, vcc_lo, s8, v0
	v_add_co_ci_u32_e64 v8, null, s9, v1, vcc_lo
	v_lshlrev_b64 v[0:1], 1, v[3:4]
	v_add_co_u32 v3, vcc_lo, v7, v5
	v_add_co_ci_u32_e64 v4, null, v8, v6, vcc_lo
	v_add_co_u32 v0, vcc_lo, v3, v0
	v_add_co_ci_u32_e64 v1, null, v4, v1, vcc_lo
	global_store_short v[0:1], v2, off
.LBB212_36:
	s_andn2_saveexec_b32 s0, s0
	s_cbranch_execnz .LBB212_38
.LBB212_37:
	s_endpgm
.LBB212_38:
	s_trap 2
	; divergent unreachable
	s_endpgm
	.section	.rodata,"a",@progbits
	.p2align	6, 0x0
	.amdhsa_kernel _ZN2at6native12_GLOBAL__N_129segment_reduce_forward_kernelIN3c104HalfElEEvNS0_13ReductionTypeEPT_PKS6_PKT0_SC_llbS6_lllllll
		.amdhsa_group_segment_fixed_size 0
		.amdhsa_private_segment_fixed_size 0
		.amdhsa_kernarg_size 376
		.amdhsa_user_sgpr_count 6
		.amdhsa_user_sgpr_private_segment_buffer 1
		.amdhsa_user_sgpr_dispatch_ptr 0
		.amdhsa_user_sgpr_queue_ptr 0
		.amdhsa_user_sgpr_kernarg_segment_ptr 1
		.amdhsa_user_sgpr_dispatch_id 0
		.amdhsa_user_sgpr_flat_scratch_init 0
		.amdhsa_user_sgpr_private_segment_size 0
		.amdhsa_wavefront_size32 1
		.amdhsa_uses_dynamic_stack 0
		.amdhsa_system_sgpr_private_segment_wavefront_offset 0
		.amdhsa_system_sgpr_workgroup_id_x 1
		.amdhsa_system_sgpr_workgroup_id_y 0
		.amdhsa_system_sgpr_workgroup_id_z 0
		.amdhsa_system_sgpr_workgroup_info 0
		.amdhsa_system_vgpr_workitem_id 0
		.amdhsa_next_free_vgpr 22
		.amdhsa_next_free_sgpr 42
		.amdhsa_reserve_vcc 1
		.amdhsa_reserve_flat_scratch 0
		.amdhsa_float_round_mode_32 0
		.amdhsa_float_round_mode_16_64 0
		.amdhsa_float_denorm_mode_32 3
		.amdhsa_float_denorm_mode_16_64 3
		.amdhsa_dx10_clamp 1
		.amdhsa_ieee_mode 1
		.amdhsa_fp16_overflow 0
		.amdhsa_workgroup_processor_mode 1
		.amdhsa_memory_ordered 1
		.amdhsa_forward_progress 1
		.amdhsa_shared_vgpr_count 0
		.amdhsa_exception_fp_ieee_invalid_op 0
		.amdhsa_exception_fp_denorm_src 0
		.amdhsa_exception_fp_ieee_div_zero 0
		.amdhsa_exception_fp_ieee_overflow 0
		.amdhsa_exception_fp_ieee_underflow 0
		.amdhsa_exception_fp_ieee_inexact 0
		.amdhsa_exception_int_div_zero 0
	.end_amdhsa_kernel
	.section	.text._ZN2at6native12_GLOBAL__N_129segment_reduce_forward_kernelIN3c104HalfElEEvNS0_13ReductionTypeEPT_PKS6_PKT0_SC_llbS6_lllllll,"axG",@progbits,_ZN2at6native12_GLOBAL__N_129segment_reduce_forward_kernelIN3c104HalfElEEvNS0_13ReductionTypeEPT_PKS6_PKT0_SC_llbS6_lllllll,comdat
.Lfunc_end212:
	.size	_ZN2at6native12_GLOBAL__N_129segment_reduce_forward_kernelIN3c104HalfElEEvNS0_13ReductionTypeEPT_PKS6_PKT0_SC_llbS6_lllllll, .Lfunc_end212-_ZN2at6native12_GLOBAL__N_129segment_reduce_forward_kernelIN3c104HalfElEEvNS0_13ReductionTypeEPT_PKS6_PKT0_SC_llbS6_lllllll
                                        ; -- End function
	.set _ZN2at6native12_GLOBAL__N_129segment_reduce_forward_kernelIN3c104HalfElEEvNS0_13ReductionTypeEPT_PKS6_PKT0_SC_llbS6_lllllll.num_vgpr, 22
	.set _ZN2at6native12_GLOBAL__N_129segment_reduce_forward_kernelIN3c104HalfElEEvNS0_13ReductionTypeEPT_PKS6_PKT0_SC_llbS6_lllllll.num_agpr, 0
	.set _ZN2at6native12_GLOBAL__N_129segment_reduce_forward_kernelIN3c104HalfElEEvNS0_13ReductionTypeEPT_PKS6_PKT0_SC_llbS6_lllllll.numbered_sgpr, 42
	.set _ZN2at6native12_GLOBAL__N_129segment_reduce_forward_kernelIN3c104HalfElEEvNS0_13ReductionTypeEPT_PKS6_PKT0_SC_llbS6_lllllll.num_named_barrier, 0
	.set _ZN2at6native12_GLOBAL__N_129segment_reduce_forward_kernelIN3c104HalfElEEvNS0_13ReductionTypeEPT_PKS6_PKT0_SC_llbS6_lllllll.private_seg_size, 0
	.set _ZN2at6native12_GLOBAL__N_129segment_reduce_forward_kernelIN3c104HalfElEEvNS0_13ReductionTypeEPT_PKS6_PKT0_SC_llbS6_lllllll.uses_vcc, 1
	.set _ZN2at6native12_GLOBAL__N_129segment_reduce_forward_kernelIN3c104HalfElEEvNS0_13ReductionTypeEPT_PKS6_PKT0_SC_llbS6_lllllll.uses_flat_scratch, 0
	.set _ZN2at6native12_GLOBAL__N_129segment_reduce_forward_kernelIN3c104HalfElEEvNS0_13ReductionTypeEPT_PKS6_PKT0_SC_llbS6_lllllll.has_dyn_sized_stack, 0
	.set _ZN2at6native12_GLOBAL__N_129segment_reduce_forward_kernelIN3c104HalfElEEvNS0_13ReductionTypeEPT_PKS6_PKT0_SC_llbS6_lllllll.has_recursion, 0
	.set _ZN2at6native12_GLOBAL__N_129segment_reduce_forward_kernelIN3c104HalfElEEvNS0_13ReductionTypeEPT_PKS6_PKT0_SC_llbS6_lllllll.has_indirect_call, 0
	.section	.AMDGPU.csdata,"",@progbits
; Kernel info:
; codeLenInByte = 2820
; TotalNumSgprs: 44
; NumVgprs: 22
; ScratchSize: 0
; MemoryBound: 0
; FloatMode: 240
; IeeeMode: 1
; LDSByteSize: 0 bytes/workgroup (compile time only)
; SGPRBlocks: 0
; VGPRBlocks: 2
; NumSGPRsForWavesPerEU: 44
; NumVGPRsForWavesPerEU: 22
; Occupancy: 16
; WaveLimiterHint : 0
; COMPUTE_PGM_RSRC2:SCRATCH_EN: 0
; COMPUTE_PGM_RSRC2:USER_SGPR: 6
; COMPUTE_PGM_RSRC2:TRAP_HANDLER: 0
; COMPUTE_PGM_RSRC2:TGID_X_EN: 1
; COMPUTE_PGM_RSRC2:TGID_Y_EN: 0
; COMPUTE_PGM_RSRC2:TGID_Z_EN: 0
; COMPUTE_PGM_RSRC2:TIDIG_COMP_CNT: 0
	.section	.text._ZN7rocprim17ROCPRIM_400000_NS6detail17trampoline_kernelINS0_14default_configENS1_32segmented_reduce_config_selectorIN3c104HalfEEEZNS1_21segmented_reduce_implIS3_PKS6_PS6_PKlS6_N6hipcub16HIPCUB_304000_NS6detail27convert_result_type_wrapperISA_SB_N2at6native12_GLOBAL__N_19CustomMaxEEEEE10hipError_tPvRmT0_T1_jT2_SS_T4_T3_P12ihipStream_tbEUlT_E_NS1_11comp_targetILNS1_3genE0ELNS1_11target_archE4294967295ELNS1_3gpuE0ELNS1_3repE0EEENS1_30default_config_static_selectorELNS0_4arch9wavefront6targetE0EEEvSR_,"axG",@progbits,_ZN7rocprim17ROCPRIM_400000_NS6detail17trampoline_kernelINS0_14default_configENS1_32segmented_reduce_config_selectorIN3c104HalfEEEZNS1_21segmented_reduce_implIS3_PKS6_PS6_PKlS6_N6hipcub16HIPCUB_304000_NS6detail27convert_result_type_wrapperISA_SB_N2at6native12_GLOBAL__N_19CustomMaxEEEEE10hipError_tPvRmT0_T1_jT2_SS_T4_T3_P12ihipStream_tbEUlT_E_NS1_11comp_targetILNS1_3genE0ELNS1_11target_archE4294967295ELNS1_3gpuE0ELNS1_3repE0EEENS1_30default_config_static_selectorELNS0_4arch9wavefront6targetE0EEEvSR_,comdat
	.globl	_ZN7rocprim17ROCPRIM_400000_NS6detail17trampoline_kernelINS0_14default_configENS1_32segmented_reduce_config_selectorIN3c104HalfEEEZNS1_21segmented_reduce_implIS3_PKS6_PS6_PKlS6_N6hipcub16HIPCUB_304000_NS6detail27convert_result_type_wrapperISA_SB_N2at6native12_GLOBAL__N_19CustomMaxEEEEE10hipError_tPvRmT0_T1_jT2_SS_T4_T3_P12ihipStream_tbEUlT_E_NS1_11comp_targetILNS1_3genE0ELNS1_11target_archE4294967295ELNS1_3gpuE0ELNS1_3repE0EEENS1_30default_config_static_selectorELNS0_4arch9wavefront6targetE0EEEvSR_ ; -- Begin function _ZN7rocprim17ROCPRIM_400000_NS6detail17trampoline_kernelINS0_14default_configENS1_32segmented_reduce_config_selectorIN3c104HalfEEEZNS1_21segmented_reduce_implIS3_PKS6_PS6_PKlS6_N6hipcub16HIPCUB_304000_NS6detail27convert_result_type_wrapperISA_SB_N2at6native12_GLOBAL__N_19CustomMaxEEEEE10hipError_tPvRmT0_T1_jT2_SS_T4_T3_P12ihipStream_tbEUlT_E_NS1_11comp_targetILNS1_3genE0ELNS1_11target_archE4294967295ELNS1_3gpuE0ELNS1_3repE0EEENS1_30default_config_static_selectorELNS0_4arch9wavefront6targetE0EEEvSR_
	.p2align	8
	.type	_ZN7rocprim17ROCPRIM_400000_NS6detail17trampoline_kernelINS0_14default_configENS1_32segmented_reduce_config_selectorIN3c104HalfEEEZNS1_21segmented_reduce_implIS3_PKS6_PS6_PKlS6_N6hipcub16HIPCUB_304000_NS6detail27convert_result_type_wrapperISA_SB_N2at6native12_GLOBAL__N_19CustomMaxEEEEE10hipError_tPvRmT0_T1_jT2_SS_T4_T3_P12ihipStream_tbEUlT_E_NS1_11comp_targetILNS1_3genE0ELNS1_11target_archE4294967295ELNS1_3gpuE0ELNS1_3repE0EEENS1_30default_config_static_selectorELNS0_4arch9wavefront6targetE0EEEvSR_,@function
_ZN7rocprim17ROCPRIM_400000_NS6detail17trampoline_kernelINS0_14default_configENS1_32segmented_reduce_config_selectorIN3c104HalfEEEZNS1_21segmented_reduce_implIS3_PKS6_PS6_PKlS6_N6hipcub16HIPCUB_304000_NS6detail27convert_result_type_wrapperISA_SB_N2at6native12_GLOBAL__N_19CustomMaxEEEEE10hipError_tPvRmT0_T1_jT2_SS_T4_T3_P12ihipStream_tbEUlT_E_NS1_11comp_targetILNS1_3genE0ELNS1_11target_archE4294967295ELNS1_3gpuE0ELNS1_3repE0EEENS1_30default_config_static_selectorELNS0_4arch9wavefront6targetE0EEEvSR_: ; @_ZN7rocprim17ROCPRIM_400000_NS6detail17trampoline_kernelINS0_14default_configENS1_32segmented_reduce_config_selectorIN3c104HalfEEEZNS1_21segmented_reduce_implIS3_PKS6_PS6_PKlS6_N6hipcub16HIPCUB_304000_NS6detail27convert_result_type_wrapperISA_SB_N2at6native12_GLOBAL__N_19CustomMaxEEEEE10hipError_tPvRmT0_T1_jT2_SS_T4_T3_P12ihipStream_tbEUlT_E_NS1_11comp_targetILNS1_3genE0ELNS1_11target_archE4294967295ELNS1_3gpuE0ELNS1_3repE0EEENS1_30default_config_static_selectorELNS0_4arch9wavefront6targetE0EEEvSR_
; %bb.0:
	.section	.rodata,"a",@progbits
	.p2align	6, 0x0
	.amdhsa_kernel _ZN7rocprim17ROCPRIM_400000_NS6detail17trampoline_kernelINS0_14default_configENS1_32segmented_reduce_config_selectorIN3c104HalfEEEZNS1_21segmented_reduce_implIS3_PKS6_PS6_PKlS6_N6hipcub16HIPCUB_304000_NS6detail27convert_result_type_wrapperISA_SB_N2at6native12_GLOBAL__N_19CustomMaxEEEEE10hipError_tPvRmT0_T1_jT2_SS_T4_T3_P12ihipStream_tbEUlT_E_NS1_11comp_targetILNS1_3genE0ELNS1_11target_archE4294967295ELNS1_3gpuE0ELNS1_3repE0EEENS1_30default_config_static_selectorELNS0_4arch9wavefront6targetE0EEEvSR_
		.amdhsa_group_segment_fixed_size 0
		.amdhsa_private_segment_fixed_size 0
		.amdhsa_kernarg_size 48
		.amdhsa_user_sgpr_count 6
		.amdhsa_user_sgpr_private_segment_buffer 1
		.amdhsa_user_sgpr_dispatch_ptr 0
		.amdhsa_user_sgpr_queue_ptr 0
		.amdhsa_user_sgpr_kernarg_segment_ptr 1
		.amdhsa_user_sgpr_dispatch_id 0
		.amdhsa_user_sgpr_flat_scratch_init 0
		.amdhsa_user_sgpr_private_segment_size 0
		.amdhsa_wavefront_size32 1
		.amdhsa_uses_dynamic_stack 0
		.amdhsa_system_sgpr_private_segment_wavefront_offset 0
		.amdhsa_system_sgpr_workgroup_id_x 1
		.amdhsa_system_sgpr_workgroup_id_y 0
		.amdhsa_system_sgpr_workgroup_id_z 0
		.amdhsa_system_sgpr_workgroup_info 0
		.amdhsa_system_vgpr_workitem_id 0
		.amdhsa_next_free_vgpr 1
		.amdhsa_next_free_sgpr 1
		.amdhsa_reserve_vcc 0
		.amdhsa_reserve_flat_scratch 0
		.amdhsa_float_round_mode_32 0
		.amdhsa_float_round_mode_16_64 0
		.amdhsa_float_denorm_mode_32 3
		.amdhsa_float_denorm_mode_16_64 3
		.amdhsa_dx10_clamp 1
		.amdhsa_ieee_mode 1
		.amdhsa_fp16_overflow 0
		.amdhsa_workgroup_processor_mode 1
		.amdhsa_memory_ordered 1
		.amdhsa_forward_progress 1
		.amdhsa_shared_vgpr_count 0
		.amdhsa_exception_fp_ieee_invalid_op 0
		.amdhsa_exception_fp_denorm_src 0
		.amdhsa_exception_fp_ieee_div_zero 0
		.amdhsa_exception_fp_ieee_overflow 0
		.amdhsa_exception_fp_ieee_underflow 0
		.amdhsa_exception_fp_ieee_inexact 0
		.amdhsa_exception_int_div_zero 0
	.end_amdhsa_kernel
	.section	.text._ZN7rocprim17ROCPRIM_400000_NS6detail17trampoline_kernelINS0_14default_configENS1_32segmented_reduce_config_selectorIN3c104HalfEEEZNS1_21segmented_reduce_implIS3_PKS6_PS6_PKlS6_N6hipcub16HIPCUB_304000_NS6detail27convert_result_type_wrapperISA_SB_N2at6native12_GLOBAL__N_19CustomMaxEEEEE10hipError_tPvRmT0_T1_jT2_SS_T4_T3_P12ihipStream_tbEUlT_E_NS1_11comp_targetILNS1_3genE0ELNS1_11target_archE4294967295ELNS1_3gpuE0ELNS1_3repE0EEENS1_30default_config_static_selectorELNS0_4arch9wavefront6targetE0EEEvSR_,"axG",@progbits,_ZN7rocprim17ROCPRIM_400000_NS6detail17trampoline_kernelINS0_14default_configENS1_32segmented_reduce_config_selectorIN3c104HalfEEEZNS1_21segmented_reduce_implIS3_PKS6_PS6_PKlS6_N6hipcub16HIPCUB_304000_NS6detail27convert_result_type_wrapperISA_SB_N2at6native12_GLOBAL__N_19CustomMaxEEEEE10hipError_tPvRmT0_T1_jT2_SS_T4_T3_P12ihipStream_tbEUlT_E_NS1_11comp_targetILNS1_3genE0ELNS1_11target_archE4294967295ELNS1_3gpuE0ELNS1_3repE0EEENS1_30default_config_static_selectorELNS0_4arch9wavefront6targetE0EEEvSR_,comdat
.Lfunc_end213:
	.size	_ZN7rocprim17ROCPRIM_400000_NS6detail17trampoline_kernelINS0_14default_configENS1_32segmented_reduce_config_selectorIN3c104HalfEEEZNS1_21segmented_reduce_implIS3_PKS6_PS6_PKlS6_N6hipcub16HIPCUB_304000_NS6detail27convert_result_type_wrapperISA_SB_N2at6native12_GLOBAL__N_19CustomMaxEEEEE10hipError_tPvRmT0_T1_jT2_SS_T4_T3_P12ihipStream_tbEUlT_E_NS1_11comp_targetILNS1_3genE0ELNS1_11target_archE4294967295ELNS1_3gpuE0ELNS1_3repE0EEENS1_30default_config_static_selectorELNS0_4arch9wavefront6targetE0EEEvSR_, .Lfunc_end213-_ZN7rocprim17ROCPRIM_400000_NS6detail17trampoline_kernelINS0_14default_configENS1_32segmented_reduce_config_selectorIN3c104HalfEEEZNS1_21segmented_reduce_implIS3_PKS6_PS6_PKlS6_N6hipcub16HIPCUB_304000_NS6detail27convert_result_type_wrapperISA_SB_N2at6native12_GLOBAL__N_19CustomMaxEEEEE10hipError_tPvRmT0_T1_jT2_SS_T4_T3_P12ihipStream_tbEUlT_E_NS1_11comp_targetILNS1_3genE0ELNS1_11target_archE4294967295ELNS1_3gpuE0ELNS1_3repE0EEENS1_30default_config_static_selectorELNS0_4arch9wavefront6targetE0EEEvSR_
                                        ; -- End function
	.set _ZN7rocprim17ROCPRIM_400000_NS6detail17trampoline_kernelINS0_14default_configENS1_32segmented_reduce_config_selectorIN3c104HalfEEEZNS1_21segmented_reduce_implIS3_PKS6_PS6_PKlS6_N6hipcub16HIPCUB_304000_NS6detail27convert_result_type_wrapperISA_SB_N2at6native12_GLOBAL__N_19CustomMaxEEEEE10hipError_tPvRmT0_T1_jT2_SS_T4_T3_P12ihipStream_tbEUlT_E_NS1_11comp_targetILNS1_3genE0ELNS1_11target_archE4294967295ELNS1_3gpuE0ELNS1_3repE0EEENS1_30default_config_static_selectorELNS0_4arch9wavefront6targetE0EEEvSR_.num_vgpr, 0
	.set _ZN7rocprim17ROCPRIM_400000_NS6detail17trampoline_kernelINS0_14default_configENS1_32segmented_reduce_config_selectorIN3c104HalfEEEZNS1_21segmented_reduce_implIS3_PKS6_PS6_PKlS6_N6hipcub16HIPCUB_304000_NS6detail27convert_result_type_wrapperISA_SB_N2at6native12_GLOBAL__N_19CustomMaxEEEEE10hipError_tPvRmT0_T1_jT2_SS_T4_T3_P12ihipStream_tbEUlT_E_NS1_11comp_targetILNS1_3genE0ELNS1_11target_archE4294967295ELNS1_3gpuE0ELNS1_3repE0EEENS1_30default_config_static_selectorELNS0_4arch9wavefront6targetE0EEEvSR_.num_agpr, 0
	.set _ZN7rocprim17ROCPRIM_400000_NS6detail17trampoline_kernelINS0_14default_configENS1_32segmented_reduce_config_selectorIN3c104HalfEEEZNS1_21segmented_reduce_implIS3_PKS6_PS6_PKlS6_N6hipcub16HIPCUB_304000_NS6detail27convert_result_type_wrapperISA_SB_N2at6native12_GLOBAL__N_19CustomMaxEEEEE10hipError_tPvRmT0_T1_jT2_SS_T4_T3_P12ihipStream_tbEUlT_E_NS1_11comp_targetILNS1_3genE0ELNS1_11target_archE4294967295ELNS1_3gpuE0ELNS1_3repE0EEENS1_30default_config_static_selectorELNS0_4arch9wavefront6targetE0EEEvSR_.numbered_sgpr, 0
	.set _ZN7rocprim17ROCPRIM_400000_NS6detail17trampoline_kernelINS0_14default_configENS1_32segmented_reduce_config_selectorIN3c104HalfEEEZNS1_21segmented_reduce_implIS3_PKS6_PS6_PKlS6_N6hipcub16HIPCUB_304000_NS6detail27convert_result_type_wrapperISA_SB_N2at6native12_GLOBAL__N_19CustomMaxEEEEE10hipError_tPvRmT0_T1_jT2_SS_T4_T3_P12ihipStream_tbEUlT_E_NS1_11comp_targetILNS1_3genE0ELNS1_11target_archE4294967295ELNS1_3gpuE0ELNS1_3repE0EEENS1_30default_config_static_selectorELNS0_4arch9wavefront6targetE0EEEvSR_.num_named_barrier, 0
	.set _ZN7rocprim17ROCPRIM_400000_NS6detail17trampoline_kernelINS0_14default_configENS1_32segmented_reduce_config_selectorIN3c104HalfEEEZNS1_21segmented_reduce_implIS3_PKS6_PS6_PKlS6_N6hipcub16HIPCUB_304000_NS6detail27convert_result_type_wrapperISA_SB_N2at6native12_GLOBAL__N_19CustomMaxEEEEE10hipError_tPvRmT0_T1_jT2_SS_T4_T3_P12ihipStream_tbEUlT_E_NS1_11comp_targetILNS1_3genE0ELNS1_11target_archE4294967295ELNS1_3gpuE0ELNS1_3repE0EEENS1_30default_config_static_selectorELNS0_4arch9wavefront6targetE0EEEvSR_.private_seg_size, 0
	.set _ZN7rocprim17ROCPRIM_400000_NS6detail17trampoline_kernelINS0_14default_configENS1_32segmented_reduce_config_selectorIN3c104HalfEEEZNS1_21segmented_reduce_implIS3_PKS6_PS6_PKlS6_N6hipcub16HIPCUB_304000_NS6detail27convert_result_type_wrapperISA_SB_N2at6native12_GLOBAL__N_19CustomMaxEEEEE10hipError_tPvRmT0_T1_jT2_SS_T4_T3_P12ihipStream_tbEUlT_E_NS1_11comp_targetILNS1_3genE0ELNS1_11target_archE4294967295ELNS1_3gpuE0ELNS1_3repE0EEENS1_30default_config_static_selectorELNS0_4arch9wavefront6targetE0EEEvSR_.uses_vcc, 0
	.set _ZN7rocprim17ROCPRIM_400000_NS6detail17trampoline_kernelINS0_14default_configENS1_32segmented_reduce_config_selectorIN3c104HalfEEEZNS1_21segmented_reduce_implIS3_PKS6_PS6_PKlS6_N6hipcub16HIPCUB_304000_NS6detail27convert_result_type_wrapperISA_SB_N2at6native12_GLOBAL__N_19CustomMaxEEEEE10hipError_tPvRmT0_T1_jT2_SS_T4_T3_P12ihipStream_tbEUlT_E_NS1_11comp_targetILNS1_3genE0ELNS1_11target_archE4294967295ELNS1_3gpuE0ELNS1_3repE0EEENS1_30default_config_static_selectorELNS0_4arch9wavefront6targetE0EEEvSR_.uses_flat_scratch, 0
	.set _ZN7rocprim17ROCPRIM_400000_NS6detail17trampoline_kernelINS0_14default_configENS1_32segmented_reduce_config_selectorIN3c104HalfEEEZNS1_21segmented_reduce_implIS3_PKS6_PS6_PKlS6_N6hipcub16HIPCUB_304000_NS6detail27convert_result_type_wrapperISA_SB_N2at6native12_GLOBAL__N_19CustomMaxEEEEE10hipError_tPvRmT0_T1_jT2_SS_T4_T3_P12ihipStream_tbEUlT_E_NS1_11comp_targetILNS1_3genE0ELNS1_11target_archE4294967295ELNS1_3gpuE0ELNS1_3repE0EEENS1_30default_config_static_selectorELNS0_4arch9wavefront6targetE0EEEvSR_.has_dyn_sized_stack, 0
	.set _ZN7rocprim17ROCPRIM_400000_NS6detail17trampoline_kernelINS0_14default_configENS1_32segmented_reduce_config_selectorIN3c104HalfEEEZNS1_21segmented_reduce_implIS3_PKS6_PS6_PKlS6_N6hipcub16HIPCUB_304000_NS6detail27convert_result_type_wrapperISA_SB_N2at6native12_GLOBAL__N_19CustomMaxEEEEE10hipError_tPvRmT0_T1_jT2_SS_T4_T3_P12ihipStream_tbEUlT_E_NS1_11comp_targetILNS1_3genE0ELNS1_11target_archE4294967295ELNS1_3gpuE0ELNS1_3repE0EEENS1_30default_config_static_selectorELNS0_4arch9wavefront6targetE0EEEvSR_.has_recursion, 0
	.set _ZN7rocprim17ROCPRIM_400000_NS6detail17trampoline_kernelINS0_14default_configENS1_32segmented_reduce_config_selectorIN3c104HalfEEEZNS1_21segmented_reduce_implIS3_PKS6_PS6_PKlS6_N6hipcub16HIPCUB_304000_NS6detail27convert_result_type_wrapperISA_SB_N2at6native12_GLOBAL__N_19CustomMaxEEEEE10hipError_tPvRmT0_T1_jT2_SS_T4_T3_P12ihipStream_tbEUlT_E_NS1_11comp_targetILNS1_3genE0ELNS1_11target_archE4294967295ELNS1_3gpuE0ELNS1_3repE0EEENS1_30default_config_static_selectorELNS0_4arch9wavefront6targetE0EEEvSR_.has_indirect_call, 0
	.section	.AMDGPU.csdata,"",@progbits
; Kernel info:
; codeLenInByte = 0
; TotalNumSgprs: 0
; NumVgprs: 0
; ScratchSize: 0
; MemoryBound: 0
; FloatMode: 240
; IeeeMode: 1
; LDSByteSize: 0 bytes/workgroup (compile time only)
; SGPRBlocks: 0
; VGPRBlocks: 0
; NumSGPRsForWavesPerEU: 1
; NumVGPRsForWavesPerEU: 1
; Occupancy: 16
; WaveLimiterHint : 0
; COMPUTE_PGM_RSRC2:SCRATCH_EN: 0
; COMPUTE_PGM_RSRC2:USER_SGPR: 6
; COMPUTE_PGM_RSRC2:TRAP_HANDLER: 0
; COMPUTE_PGM_RSRC2:TGID_X_EN: 1
; COMPUTE_PGM_RSRC2:TGID_Y_EN: 0
; COMPUTE_PGM_RSRC2:TGID_Z_EN: 0
; COMPUTE_PGM_RSRC2:TIDIG_COMP_CNT: 0
	.section	.text._ZN7rocprim17ROCPRIM_400000_NS6detail17trampoline_kernelINS0_14default_configENS1_32segmented_reduce_config_selectorIN3c104HalfEEEZNS1_21segmented_reduce_implIS3_PKS6_PS6_PKlS6_N6hipcub16HIPCUB_304000_NS6detail27convert_result_type_wrapperISA_SB_N2at6native12_GLOBAL__N_19CustomMaxEEEEE10hipError_tPvRmT0_T1_jT2_SS_T4_T3_P12ihipStream_tbEUlT_E_NS1_11comp_targetILNS1_3genE5ELNS1_11target_archE942ELNS1_3gpuE9ELNS1_3repE0EEENS1_30default_config_static_selectorELNS0_4arch9wavefront6targetE0EEEvSR_,"axG",@progbits,_ZN7rocprim17ROCPRIM_400000_NS6detail17trampoline_kernelINS0_14default_configENS1_32segmented_reduce_config_selectorIN3c104HalfEEEZNS1_21segmented_reduce_implIS3_PKS6_PS6_PKlS6_N6hipcub16HIPCUB_304000_NS6detail27convert_result_type_wrapperISA_SB_N2at6native12_GLOBAL__N_19CustomMaxEEEEE10hipError_tPvRmT0_T1_jT2_SS_T4_T3_P12ihipStream_tbEUlT_E_NS1_11comp_targetILNS1_3genE5ELNS1_11target_archE942ELNS1_3gpuE9ELNS1_3repE0EEENS1_30default_config_static_selectorELNS0_4arch9wavefront6targetE0EEEvSR_,comdat
	.globl	_ZN7rocprim17ROCPRIM_400000_NS6detail17trampoline_kernelINS0_14default_configENS1_32segmented_reduce_config_selectorIN3c104HalfEEEZNS1_21segmented_reduce_implIS3_PKS6_PS6_PKlS6_N6hipcub16HIPCUB_304000_NS6detail27convert_result_type_wrapperISA_SB_N2at6native12_GLOBAL__N_19CustomMaxEEEEE10hipError_tPvRmT0_T1_jT2_SS_T4_T3_P12ihipStream_tbEUlT_E_NS1_11comp_targetILNS1_3genE5ELNS1_11target_archE942ELNS1_3gpuE9ELNS1_3repE0EEENS1_30default_config_static_selectorELNS0_4arch9wavefront6targetE0EEEvSR_ ; -- Begin function _ZN7rocprim17ROCPRIM_400000_NS6detail17trampoline_kernelINS0_14default_configENS1_32segmented_reduce_config_selectorIN3c104HalfEEEZNS1_21segmented_reduce_implIS3_PKS6_PS6_PKlS6_N6hipcub16HIPCUB_304000_NS6detail27convert_result_type_wrapperISA_SB_N2at6native12_GLOBAL__N_19CustomMaxEEEEE10hipError_tPvRmT0_T1_jT2_SS_T4_T3_P12ihipStream_tbEUlT_E_NS1_11comp_targetILNS1_3genE5ELNS1_11target_archE942ELNS1_3gpuE9ELNS1_3repE0EEENS1_30default_config_static_selectorELNS0_4arch9wavefront6targetE0EEEvSR_
	.p2align	8
	.type	_ZN7rocprim17ROCPRIM_400000_NS6detail17trampoline_kernelINS0_14default_configENS1_32segmented_reduce_config_selectorIN3c104HalfEEEZNS1_21segmented_reduce_implIS3_PKS6_PS6_PKlS6_N6hipcub16HIPCUB_304000_NS6detail27convert_result_type_wrapperISA_SB_N2at6native12_GLOBAL__N_19CustomMaxEEEEE10hipError_tPvRmT0_T1_jT2_SS_T4_T3_P12ihipStream_tbEUlT_E_NS1_11comp_targetILNS1_3genE5ELNS1_11target_archE942ELNS1_3gpuE9ELNS1_3repE0EEENS1_30default_config_static_selectorELNS0_4arch9wavefront6targetE0EEEvSR_,@function
_ZN7rocprim17ROCPRIM_400000_NS6detail17trampoline_kernelINS0_14default_configENS1_32segmented_reduce_config_selectorIN3c104HalfEEEZNS1_21segmented_reduce_implIS3_PKS6_PS6_PKlS6_N6hipcub16HIPCUB_304000_NS6detail27convert_result_type_wrapperISA_SB_N2at6native12_GLOBAL__N_19CustomMaxEEEEE10hipError_tPvRmT0_T1_jT2_SS_T4_T3_P12ihipStream_tbEUlT_E_NS1_11comp_targetILNS1_3genE5ELNS1_11target_archE942ELNS1_3gpuE9ELNS1_3repE0EEENS1_30default_config_static_selectorELNS0_4arch9wavefront6targetE0EEEvSR_: ; @_ZN7rocprim17ROCPRIM_400000_NS6detail17trampoline_kernelINS0_14default_configENS1_32segmented_reduce_config_selectorIN3c104HalfEEEZNS1_21segmented_reduce_implIS3_PKS6_PS6_PKlS6_N6hipcub16HIPCUB_304000_NS6detail27convert_result_type_wrapperISA_SB_N2at6native12_GLOBAL__N_19CustomMaxEEEEE10hipError_tPvRmT0_T1_jT2_SS_T4_T3_P12ihipStream_tbEUlT_E_NS1_11comp_targetILNS1_3genE5ELNS1_11target_archE942ELNS1_3gpuE9ELNS1_3repE0EEENS1_30default_config_static_selectorELNS0_4arch9wavefront6targetE0EEEvSR_
; %bb.0:
	.section	.rodata,"a",@progbits
	.p2align	6, 0x0
	.amdhsa_kernel _ZN7rocprim17ROCPRIM_400000_NS6detail17trampoline_kernelINS0_14default_configENS1_32segmented_reduce_config_selectorIN3c104HalfEEEZNS1_21segmented_reduce_implIS3_PKS6_PS6_PKlS6_N6hipcub16HIPCUB_304000_NS6detail27convert_result_type_wrapperISA_SB_N2at6native12_GLOBAL__N_19CustomMaxEEEEE10hipError_tPvRmT0_T1_jT2_SS_T4_T3_P12ihipStream_tbEUlT_E_NS1_11comp_targetILNS1_3genE5ELNS1_11target_archE942ELNS1_3gpuE9ELNS1_3repE0EEENS1_30default_config_static_selectorELNS0_4arch9wavefront6targetE0EEEvSR_
		.amdhsa_group_segment_fixed_size 0
		.amdhsa_private_segment_fixed_size 0
		.amdhsa_kernarg_size 48
		.amdhsa_user_sgpr_count 6
		.amdhsa_user_sgpr_private_segment_buffer 1
		.amdhsa_user_sgpr_dispatch_ptr 0
		.amdhsa_user_sgpr_queue_ptr 0
		.amdhsa_user_sgpr_kernarg_segment_ptr 1
		.amdhsa_user_sgpr_dispatch_id 0
		.amdhsa_user_sgpr_flat_scratch_init 0
		.amdhsa_user_sgpr_private_segment_size 0
		.amdhsa_wavefront_size32 1
		.amdhsa_uses_dynamic_stack 0
		.amdhsa_system_sgpr_private_segment_wavefront_offset 0
		.amdhsa_system_sgpr_workgroup_id_x 1
		.amdhsa_system_sgpr_workgroup_id_y 0
		.amdhsa_system_sgpr_workgroup_id_z 0
		.amdhsa_system_sgpr_workgroup_info 0
		.amdhsa_system_vgpr_workitem_id 0
		.amdhsa_next_free_vgpr 1
		.amdhsa_next_free_sgpr 1
		.amdhsa_reserve_vcc 0
		.amdhsa_reserve_flat_scratch 0
		.amdhsa_float_round_mode_32 0
		.amdhsa_float_round_mode_16_64 0
		.amdhsa_float_denorm_mode_32 3
		.amdhsa_float_denorm_mode_16_64 3
		.amdhsa_dx10_clamp 1
		.amdhsa_ieee_mode 1
		.amdhsa_fp16_overflow 0
		.amdhsa_workgroup_processor_mode 1
		.amdhsa_memory_ordered 1
		.amdhsa_forward_progress 1
		.amdhsa_shared_vgpr_count 0
		.amdhsa_exception_fp_ieee_invalid_op 0
		.amdhsa_exception_fp_denorm_src 0
		.amdhsa_exception_fp_ieee_div_zero 0
		.amdhsa_exception_fp_ieee_overflow 0
		.amdhsa_exception_fp_ieee_underflow 0
		.amdhsa_exception_fp_ieee_inexact 0
		.amdhsa_exception_int_div_zero 0
	.end_amdhsa_kernel
	.section	.text._ZN7rocprim17ROCPRIM_400000_NS6detail17trampoline_kernelINS0_14default_configENS1_32segmented_reduce_config_selectorIN3c104HalfEEEZNS1_21segmented_reduce_implIS3_PKS6_PS6_PKlS6_N6hipcub16HIPCUB_304000_NS6detail27convert_result_type_wrapperISA_SB_N2at6native12_GLOBAL__N_19CustomMaxEEEEE10hipError_tPvRmT0_T1_jT2_SS_T4_T3_P12ihipStream_tbEUlT_E_NS1_11comp_targetILNS1_3genE5ELNS1_11target_archE942ELNS1_3gpuE9ELNS1_3repE0EEENS1_30default_config_static_selectorELNS0_4arch9wavefront6targetE0EEEvSR_,"axG",@progbits,_ZN7rocprim17ROCPRIM_400000_NS6detail17trampoline_kernelINS0_14default_configENS1_32segmented_reduce_config_selectorIN3c104HalfEEEZNS1_21segmented_reduce_implIS3_PKS6_PS6_PKlS6_N6hipcub16HIPCUB_304000_NS6detail27convert_result_type_wrapperISA_SB_N2at6native12_GLOBAL__N_19CustomMaxEEEEE10hipError_tPvRmT0_T1_jT2_SS_T4_T3_P12ihipStream_tbEUlT_E_NS1_11comp_targetILNS1_3genE5ELNS1_11target_archE942ELNS1_3gpuE9ELNS1_3repE0EEENS1_30default_config_static_selectorELNS0_4arch9wavefront6targetE0EEEvSR_,comdat
.Lfunc_end214:
	.size	_ZN7rocprim17ROCPRIM_400000_NS6detail17trampoline_kernelINS0_14default_configENS1_32segmented_reduce_config_selectorIN3c104HalfEEEZNS1_21segmented_reduce_implIS3_PKS6_PS6_PKlS6_N6hipcub16HIPCUB_304000_NS6detail27convert_result_type_wrapperISA_SB_N2at6native12_GLOBAL__N_19CustomMaxEEEEE10hipError_tPvRmT0_T1_jT2_SS_T4_T3_P12ihipStream_tbEUlT_E_NS1_11comp_targetILNS1_3genE5ELNS1_11target_archE942ELNS1_3gpuE9ELNS1_3repE0EEENS1_30default_config_static_selectorELNS0_4arch9wavefront6targetE0EEEvSR_, .Lfunc_end214-_ZN7rocprim17ROCPRIM_400000_NS6detail17trampoline_kernelINS0_14default_configENS1_32segmented_reduce_config_selectorIN3c104HalfEEEZNS1_21segmented_reduce_implIS3_PKS6_PS6_PKlS6_N6hipcub16HIPCUB_304000_NS6detail27convert_result_type_wrapperISA_SB_N2at6native12_GLOBAL__N_19CustomMaxEEEEE10hipError_tPvRmT0_T1_jT2_SS_T4_T3_P12ihipStream_tbEUlT_E_NS1_11comp_targetILNS1_3genE5ELNS1_11target_archE942ELNS1_3gpuE9ELNS1_3repE0EEENS1_30default_config_static_selectorELNS0_4arch9wavefront6targetE0EEEvSR_
                                        ; -- End function
	.set _ZN7rocprim17ROCPRIM_400000_NS6detail17trampoline_kernelINS0_14default_configENS1_32segmented_reduce_config_selectorIN3c104HalfEEEZNS1_21segmented_reduce_implIS3_PKS6_PS6_PKlS6_N6hipcub16HIPCUB_304000_NS6detail27convert_result_type_wrapperISA_SB_N2at6native12_GLOBAL__N_19CustomMaxEEEEE10hipError_tPvRmT0_T1_jT2_SS_T4_T3_P12ihipStream_tbEUlT_E_NS1_11comp_targetILNS1_3genE5ELNS1_11target_archE942ELNS1_3gpuE9ELNS1_3repE0EEENS1_30default_config_static_selectorELNS0_4arch9wavefront6targetE0EEEvSR_.num_vgpr, 0
	.set _ZN7rocprim17ROCPRIM_400000_NS6detail17trampoline_kernelINS0_14default_configENS1_32segmented_reduce_config_selectorIN3c104HalfEEEZNS1_21segmented_reduce_implIS3_PKS6_PS6_PKlS6_N6hipcub16HIPCUB_304000_NS6detail27convert_result_type_wrapperISA_SB_N2at6native12_GLOBAL__N_19CustomMaxEEEEE10hipError_tPvRmT0_T1_jT2_SS_T4_T3_P12ihipStream_tbEUlT_E_NS1_11comp_targetILNS1_3genE5ELNS1_11target_archE942ELNS1_3gpuE9ELNS1_3repE0EEENS1_30default_config_static_selectorELNS0_4arch9wavefront6targetE0EEEvSR_.num_agpr, 0
	.set _ZN7rocprim17ROCPRIM_400000_NS6detail17trampoline_kernelINS0_14default_configENS1_32segmented_reduce_config_selectorIN3c104HalfEEEZNS1_21segmented_reduce_implIS3_PKS6_PS6_PKlS6_N6hipcub16HIPCUB_304000_NS6detail27convert_result_type_wrapperISA_SB_N2at6native12_GLOBAL__N_19CustomMaxEEEEE10hipError_tPvRmT0_T1_jT2_SS_T4_T3_P12ihipStream_tbEUlT_E_NS1_11comp_targetILNS1_3genE5ELNS1_11target_archE942ELNS1_3gpuE9ELNS1_3repE0EEENS1_30default_config_static_selectorELNS0_4arch9wavefront6targetE0EEEvSR_.numbered_sgpr, 0
	.set _ZN7rocprim17ROCPRIM_400000_NS6detail17trampoline_kernelINS0_14default_configENS1_32segmented_reduce_config_selectorIN3c104HalfEEEZNS1_21segmented_reduce_implIS3_PKS6_PS6_PKlS6_N6hipcub16HIPCUB_304000_NS6detail27convert_result_type_wrapperISA_SB_N2at6native12_GLOBAL__N_19CustomMaxEEEEE10hipError_tPvRmT0_T1_jT2_SS_T4_T3_P12ihipStream_tbEUlT_E_NS1_11comp_targetILNS1_3genE5ELNS1_11target_archE942ELNS1_3gpuE9ELNS1_3repE0EEENS1_30default_config_static_selectorELNS0_4arch9wavefront6targetE0EEEvSR_.num_named_barrier, 0
	.set _ZN7rocprim17ROCPRIM_400000_NS6detail17trampoline_kernelINS0_14default_configENS1_32segmented_reduce_config_selectorIN3c104HalfEEEZNS1_21segmented_reduce_implIS3_PKS6_PS6_PKlS6_N6hipcub16HIPCUB_304000_NS6detail27convert_result_type_wrapperISA_SB_N2at6native12_GLOBAL__N_19CustomMaxEEEEE10hipError_tPvRmT0_T1_jT2_SS_T4_T3_P12ihipStream_tbEUlT_E_NS1_11comp_targetILNS1_3genE5ELNS1_11target_archE942ELNS1_3gpuE9ELNS1_3repE0EEENS1_30default_config_static_selectorELNS0_4arch9wavefront6targetE0EEEvSR_.private_seg_size, 0
	.set _ZN7rocprim17ROCPRIM_400000_NS6detail17trampoline_kernelINS0_14default_configENS1_32segmented_reduce_config_selectorIN3c104HalfEEEZNS1_21segmented_reduce_implIS3_PKS6_PS6_PKlS6_N6hipcub16HIPCUB_304000_NS6detail27convert_result_type_wrapperISA_SB_N2at6native12_GLOBAL__N_19CustomMaxEEEEE10hipError_tPvRmT0_T1_jT2_SS_T4_T3_P12ihipStream_tbEUlT_E_NS1_11comp_targetILNS1_3genE5ELNS1_11target_archE942ELNS1_3gpuE9ELNS1_3repE0EEENS1_30default_config_static_selectorELNS0_4arch9wavefront6targetE0EEEvSR_.uses_vcc, 0
	.set _ZN7rocprim17ROCPRIM_400000_NS6detail17trampoline_kernelINS0_14default_configENS1_32segmented_reduce_config_selectorIN3c104HalfEEEZNS1_21segmented_reduce_implIS3_PKS6_PS6_PKlS6_N6hipcub16HIPCUB_304000_NS6detail27convert_result_type_wrapperISA_SB_N2at6native12_GLOBAL__N_19CustomMaxEEEEE10hipError_tPvRmT0_T1_jT2_SS_T4_T3_P12ihipStream_tbEUlT_E_NS1_11comp_targetILNS1_3genE5ELNS1_11target_archE942ELNS1_3gpuE9ELNS1_3repE0EEENS1_30default_config_static_selectorELNS0_4arch9wavefront6targetE0EEEvSR_.uses_flat_scratch, 0
	.set _ZN7rocprim17ROCPRIM_400000_NS6detail17trampoline_kernelINS0_14default_configENS1_32segmented_reduce_config_selectorIN3c104HalfEEEZNS1_21segmented_reduce_implIS3_PKS6_PS6_PKlS6_N6hipcub16HIPCUB_304000_NS6detail27convert_result_type_wrapperISA_SB_N2at6native12_GLOBAL__N_19CustomMaxEEEEE10hipError_tPvRmT0_T1_jT2_SS_T4_T3_P12ihipStream_tbEUlT_E_NS1_11comp_targetILNS1_3genE5ELNS1_11target_archE942ELNS1_3gpuE9ELNS1_3repE0EEENS1_30default_config_static_selectorELNS0_4arch9wavefront6targetE0EEEvSR_.has_dyn_sized_stack, 0
	.set _ZN7rocprim17ROCPRIM_400000_NS6detail17trampoline_kernelINS0_14default_configENS1_32segmented_reduce_config_selectorIN3c104HalfEEEZNS1_21segmented_reduce_implIS3_PKS6_PS6_PKlS6_N6hipcub16HIPCUB_304000_NS6detail27convert_result_type_wrapperISA_SB_N2at6native12_GLOBAL__N_19CustomMaxEEEEE10hipError_tPvRmT0_T1_jT2_SS_T4_T3_P12ihipStream_tbEUlT_E_NS1_11comp_targetILNS1_3genE5ELNS1_11target_archE942ELNS1_3gpuE9ELNS1_3repE0EEENS1_30default_config_static_selectorELNS0_4arch9wavefront6targetE0EEEvSR_.has_recursion, 0
	.set _ZN7rocprim17ROCPRIM_400000_NS6detail17trampoline_kernelINS0_14default_configENS1_32segmented_reduce_config_selectorIN3c104HalfEEEZNS1_21segmented_reduce_implIS3_PKS6_PS6_PKlS6_N6hipcub16HIPCUB_304000_NS6detail27convert_result_type_wrapperISA_SB_N2at6native12_GLOBAL__N_19CustomMaxEEEEE10hipError_tPvRmT0_T1_jT2_SS_T4_T3_P12ihipStream_tbEUlT_E_NS1_11comp_targetILNS1_3genE5ELNS1_11target_archE942ELNS1_3gpuE9ELNS1_3repE0EEENS1_30default_config_static_selectorELNS0_4arch9wavefront6targetE0EEEvSR_.has_indirect_call, 0
	.section	.AMDGPU.csdata,"",@progbits
; Kernel info:
; codeLenInByte = 0
; TotalNumSgprs: 0
; NumVgprs: 0
; ScratchSize: 0
; MemoryBound: 0
; FloatMode: 240
; IeeeMode: 1
; LDSByteSize: 0 bytes/workgroup (compile time only)
; SGPRBlocks: 0
; VGPRBlocks: 0
; NumSGPRsForWavesPerEU: 1
; NumVGPRsForWavesPerEU: 1
; Occupancy: 16
; WaveLimiterHint : 0
; COMPUTE_PGM_RSRC2:SCRATCH_EN: 0
; COMPUTE_PGM_RSRC2:USER_SGPR: 6
; COMPUTE_PGM_RSRC2:TRAP_HANDLER: 0
; COMPUTE_PGM_RSRC2:TGID_X_EN: 1
; COMPUTE_PGM_RSRC2:TGID_Y_EN: 0
; COMPUTE_PGM_RSRC2:TGID_Z_EN: 0
; COMPUTE_PGM_RSRC2:TIDIG_COMP_CNT: 0
	.section	.text._ZN7rocprim17ROCPRIM_400000_NS6detail17trampoline_kernelINS0_14default_configENS1_32segmented_reduce_config_selectorIN3c104HalfEEEZNS1_21segmented_reduce_implIS3_PKS6_PS6_PKlS6_N6hipcub16HIPCUB_304000_NS6detail27convert_result_type_wrapperISA_SB_N2at6native12_GLOBAL__N_19CustomMaxEEEEE10hipError_tPvRmT0_T1_jT2_SS_T4_T3_P12ihipStream_tbEUlT_E_NS1_11comp_targetILNS1_3genE10ELNS1_11target_archE1201ELNS1_3gpuE5ELNS1_3repE0EEENS1_30default_config_static_selectorELNS0_4arch9wavefront6targetE0EEEvSR_,"axG",@progbits,_ZN7rocprim17ROCPRIM_400000_NS6detail17trampoline_kernelINS0_14default_configENS1_32segmented_reduce_config_selectorIN3c104HalfEEEZNS1_21segmented_reduce_implIS3_PKS6_PS6_PKlS6_N6hipcub16HIPCUB_304000_NS6detail27convert_result_type_wrapperISA_SB_N2at6native12_GLOBAL__N_19CustomMaxEEEEE10hipError_tPvRmT0_T1_jT2_SS_T4_T3_P12ihipStream_tbEUlT_E_NS1_11comp_targetILNS1_3genE10ELNS1_11target_archE1201ELNS1_3gpuE5ELNS1_3repE0EEENS1_30default_config_static_selectorELNS0_4arch9wavefront6targetE0EEEvSR_,comdat
	.globl	_ZN7rocprim17ROCPRIM_400000_NS6detail17trampoline_kernelINS0_14default_configENS1_32segmented_reduce_config_selectorIN3c104HalfEEEZNS1_21segmented_reduce_implIS3_PKS6_PS6_PKlS6_N6hipcub16HIPCUB_304000_NS6detail27convert_result_type_wrapperISA_SB_N2at6native12_GLOBAL__N_19CustomMaxEEEEE10hipError_tPvRmT0_T1_jT2_SS_T4_T3_P12ihipStream_tbEUlT_E_NS1_11comp_targetILNS1_3genE10ELNS1_11target_archE1201ELNS1_3gpuE5ELNS1_3repE0EEENS1_30default_config_static_selectorELNS0_4arch9wavefront6targetE0EEEvSR_ ; -- Begin function _ZN7rocprim17ROCPRIM_400000_NS6detail17trampoline_kernelINS0_14default_configENS1_32segmented_reduce_config_selectorIN3c104HalfEEEZNS1_21segmented_reduce_implIS3_PKS6_PS6_PKlS6_N6hipcub16HIPCUB_304000_NS6detail27convert_result_type_wrapperISA_SB_N2at6native12_GLOBAL__N_19CustomMaxEEEEE10hipError_tPvRmT0_T1_jT2_SS_T4_T3_P12ihipStream_tbEUlT_E_NS1_11comp_targetILNS1_3genE10ELNS1_11target_archE1201ELNS1_3gpuE5ELNS1_3repE0EEENS1_30default_config_static_selectorELNS0_4arch9wavefront6targetE0EEEvSR_
	.p2align	8
	.type	_ZN7rocprim17ROCPRIM_400000_NS6detail17trampoline_kernelINS0_14default_configENS1_32segmented_reduce_config_selectorIN3c104HalfEEEZNS1_21segmented_reduce_implIS3_PKS6_PS6_PKlS6_N6hipcub16HIPCUB_304000_NS6detail27convert_result_type_wrapperISA_SB_N2at6native12_GLOBAL__N_19CustomMaxEEEEE10hipError_tPvRmT0_T1_jT2_SS_T4_T3_P12ihipStream_tbEUlT_E_NS1_11comp_targetILNS1_3genE10ELNS1_11target_archE1201ELNS1_3gpuE5ELNS1_3repE0EEENS1_30default_config_static_selectorELNS0_4arch9wavefront6targetE0EEEvSR_,@function
_ZN7rocprim17ROCPRIM_400000_NS6detail17trampoline_kernelINS0_14default_configENS1_32segmented_reduce_config_selectorIN3c104HalfEEEZNS1_21segmented_reduce_implIS3_PKS6_PS6_PKlS6_N6hipcub16HIPCUB_304000_NS6detail27convert_result_type_wrapperISA_SB_N2at6native12_GLOBAL__N_19CustomMaxEEEEE10hipError_tPvRmT0_T1_jT2_SS_T4_T3_P12ihipStream_tbEUlT_E_NS1_11comp_targetILNS1_3genE10ELNS1_11target_archE1201ELNS1_3gpuE5ELNS1_3repE0EEENS1_30default_config_static_selectorELNS0_4arch9wavefront6targetE0EEEvSR_: ; @_ZN7rocprim17ROCPRIM_400000_NS6detail17trampoline_kernelINS0_14default_configENS1_32segmented_reduce_config_selectorIN3c104HalfEEEZNS1_21segmented_reduce_implIS3_PKS6_PS6_PKlS6_N6hipcub16HIPCUB_304000_NS6detail27convert_result_type_wrapperISA_SB_N2at6native12_GLOBAL__N_19CustomMaxEEEEE10hipError_tPvRmT0_T1_jT2_SS_T4_T3_P12ihipStream_tbEUlT_E_NS1_11comp_targetILNS1_3genE10ELNS1_11target_archE1201ELNS1_3gpuE5ELNS1_3repE0EEENS1_30default_config_static_selectorELNS0_4arch9wavefront6targetE0EEEvSR_
; %bb.0:
	.section	.rodata,"a",@progbits
	.p2align	6, 0x0
	.amdhsa_kernel _ZN7rocprim17ROCPRIM_400000_NS6detail17trampoline_kernelINS0_14default_configENS1_32segmented_reduce_config_selectorIN3c104HalfEEEZNS1_21segmented_reduce_implIS3_PKS6_PS6_PKlS6_N6hipcub16HIPCUB_304000_NS6detail27convert_result_type_wrapperISA_SB_N2at6native12_GLOBAL__N_19CustomMaxEEEEE10hipError_tPvRmT0_T1_jT2_SS_T4_T3_P12ihipStream_tbEUlT_E_NS1_11comp_targetILNS1_3genE10ELNS1_11target_archE1201ELNS1_3gpuE5ELNS1_3repE0EEENS1_30default_config_static_selectorELNS0_4arch9wavefront6targetE0EEEvSR_
		.amdhsa_group_segment_fixed_size 0
		.amdhsa_private_segment_fixed_size 0
		.amdhsa_kernarg_size 48
		.amdhsa_user_sgpr_count 6
		.amdhsa_user_sgpr_private_segment_buffer 1
		.amdhsa_user_sgpr_dispatch_ptr 0
		.amdhsa_user_sgpr_queue_ptr 0
		.amdhsa_user_sgpr_kernarg_segment_ptr 1
		.amdhsa_user_sgpr_dispatch_id 0
		.amdhsa_user_sgpr_flat_scratch_init 0
		.amdhsa_user_sgpr_private_segment_size 0
		.amdhsa_wavefront_size32 1
		.amdhsa_uses_dynamic_stack 0
		.amdhsa_system_sgpr_private_segment_wavefront_offset 0
		.amdhsa_system_sgpr_workgroup_id_x 1
		.amdhsa_system_sgpr_workgroup_id_y 0
		.amdhsa_system_sgpr_workgroup_id_z 0
		.amdhsa_system_sgpr_workgroup_info 0
		.amdhsa_system_vgpr_workitem_id 0
		.amdhsa_next_free_vgpr 1
		.amdhsa_next_free_sgpr 1
		.amdhsa_reserve_vcc 0
		.amdhsa_reserve_flat_scratch 0
		.amdhsa_float_round_mode_32 0
		.amdhsa_float_round_mode_16_64 0
		.amdhsa_float_denorm_mode_32 3
		.amdhsa_float_denorm_mode_16_64 3
		.amdhsa_dx10_clamp 1
		.amdhsa_ieee_mode 1
		.amdhsa_fp16_overflow 0
		.amdhsa_workgroup_processor_mode 1
		.amdhsa_memory_ordered 1
		.amdhsa_forward_progress 1
		.amdhsa_shared_vgpr_count 0
		.amdhsa_exception_fp_ieee_invalid_op 0
		.amdhsa_exception_fp_denorm_src 0
		.amdhsa_exception_fp_ieee_div_zero 0
		.amdhsa_exception_fp_ieee_overflow 0
		.amdhsa_exception_fp_ieee_underflow 0
		.amdhsa_exception_fp_ieee_inexact 0
		.amdhsa_exception_int_div_zero 0
	.end_amdhsa_kernel
	.section	.text._ZN7rocprim17ROCPRIM_400000_NS6detail17trampoline_kernelINS0_14default_configENS1_32segmented_reduce_config_selectorIN3c104HalfEEEZNS1_21segmented_reduce_implIS3_PKS6_PS6_PKlS6_N6hipcub16HIPCUB_304000_NS6detail27convert_result_type_wrapperISA_SB_N2at6native12_GLOBAL__N_19CustomMaxEEEEE10hipError_tPvRmT0_T1_jT2_SS_T4_T3_P12ihipStream_tbEUlT_E_NS1_11comp_targetILNS1_3genE10ELNS1_11target_archE1201ELNS1_3gpuE5ELNS1_3repE0EEENS1_30default_config_static_selectorELNS0_4arch9wavefront6targetE0EEEvSR_,"axG",@progbits,_ZN7rocprim17ROCPRIM_400000_NS6detail17trampoline_kernelINS0_14default_configENS1_32segmented_reduce_config_selectorIN3c104HalfEEEZNS1_21segmented_reduce_implIS3_PKS6_PS6_PKlS6_N6hipcub16HIPCUB_304000_NS6detail27convert_result_type_wrapperISA_SB_N2at6native12_GLOBAL__N_19CustomMaxEEEEE10hipError_tPvRmT0_T1_jT2_SS_T4_T3_P12ihipStream_tbEUlT_E_NS1_11comp_targetILNS1_3genE10ELNS1_11target_archE1201ELNS1_3gpuE5ELNS1_3repE0EEENS1_30default_config_static_selectorELNS0_4arch9wavefront6targetE0EEEvSR_,comdat
.Lfunc_end215:
	.size	_ZN7rocprim17ROCPRIM_400000_NS6detail17trampoline_kernelINS0_14default_configENS1_32segmented_reduce_config_selectorIN3c104HalfEEEZNS1_21segmented_reduce_implIS3_PKS6_PS6_PKlS6_N6hipcub16HIPCUB_304000_NS6detail27convert_result_type_wrapperISA_SB_N2at6native12_GLOBAL__N_19CustomMaxEEEEE10hipError_tPvRmT0_T1_jT2_SS_T4_T3_P12ihipStream_tbEUlT_E_NS1_11comp_targetILNS1_3genE10ELNS1_11target_archE1201ELNS1_3gpuE5ELNS1_3repE0EEENS1_30default_config_static_selectorELNS0_4arch9wavefront6targetE0EEEvSR_, .Lfunc_end215-_ZN7rocprim17ROCPRIM_400000_NS6detail17trampoline_kernelINS0_14default_configENS1_32segmented_reduce_config_selectorIN3c104HalfEEEZNS1_21segmented_reduce_implIS3_PKS6_PS6_PKlS6_N6hipcub16HIPCUB_304000_NS6detail27convert_result_type_wrapperISA_SB_N2at6native12_GLOBAL__N_19CustomMaxEEEEE10hipError_tPvRmT0_T1_jT2_SS_T4_T3_P12ihipStream_tbEUlT_E_NS1_11comp_targetILNS1_3genE10ELNS1_11target_archE1201ELNS1_3gpuE5ELNS1_3repE0EEENS1_30default_config_static_selectorELNS0_4arch9wavefront6targetE0EEEvSR_
                                        ; -- End function
	.set _ZN7rocprim17ROCPRIM_400000_NS6detail17trampoline_kernelINS0_14default_configENS1_32segmented_reduce_config_selectorIN3c104HalfEEEZNS1_21segmented_reduce_implIS3_PKS6_PS6_PKlS6_N6hipcub16HIPCUB_304000_NS6detail27convert_result_type_wrapperISA_SB_N2at6native12_GLOBAL__N_19CustomMaxEEEEE10hipError_tPvRmT0_T1_jT2_SS_T4_T3_P12ihipStream_tbEUlT_E_NS1_11comp_targetILNS1_3genE10ELNS1_11target_archE1201ELNS1_3gpuE5ELNS1_3repE0EEENS1_30default_config_static_selectorELNS0_4arch9wavefront6targetE0EEEvSR_.num_vgpr, 0
	.set _ZN7rocprim17ROCPRIM_400000_NS6detail17trampoline_kernelINS0_14default_configENS1_32segmented_reduce_config_selectorIN3c104HalfEEEZNS1_21segmented_reduce_implIS3_PKS6_PS6_PKlS6_N6hipcub16HIPCUB_304000_NS6detail27convert_result_type_wrapperISA_SB_N2at6native12_GLOBAL__N_19CustomMaxEEEEE10hipError_tPvRmT0_T1_jT2_SS_T4_T3_P12ihipStream_tbEUlT_E_NS1_11comp_targetILNS1_3genE10ELNS1_11target_archE1201ELNS1_3gpuE5ELNS1_3repE0EEENS1_30default_config_static_selectorELNS0_4arch9wavefront6targetE0EEEvSR_.num_agpr, 0
	.set _ZN7rocprim17ROCPRIM_400000_NS6detail17trampoline_kernelINS0_14default_configENS1_32segmented_reduce_config_selectorIN3c104HalfEEEZNS1_21segmented_reduce_implIS3_PKS6_PS6_PKlS6_N6hipcub16HIPCUB_304000_NS6detail27convert_result_type_wrapperISA_SB_N2at6native12_GLOBAL__N_19CustomMaxEEEEE10hipError_tPvRmT0_T1_jT2_SS_T4_T3_P12ihipStream_tbEUlT_E_NS1_11comp_targetILNS1_3genE10ELNS1_11target_archE1201ELNS1_3gpuE5ELNS1_3repE0EEENS1_30default_config_static_selectorELNS0_4arch9wavefront6targetE0EEEvSR_.numbered_sgpr, 0
	.set _ZN7rocprim17ROCPRIM_400000_NS6detail17trampoline_kernelINS0_14default_configENS1_32segmented_reduce_config_selectorIN3c104HalfEEEZNS1_21segmented_reduce_implIS3_PKS6_PS6_PKlS6_N6hipcub16HIPCUB_304000_NS6detail27convert_result_type_wrapperISA_SB_N2at6native12_GLOBAL__N_19CustomMaxEEEEE10hipError_tPvRmT0_T1_jT2_SS_T4_T3_P12ihipStream_tbEUlT_E_NS1_11comp_targetILNS1_3genE10ELNS1_11target_archE1201ELNS1_3gpuE5ELNS1_3repE0EEENS1_30default_config_static_selectorELNS0_4arch9wavefront6targetE0EEEvSR_.num_named_barrier, 0
	.set _ZN7rocprim17ROCPRIM_400000_NS6detail17trampoline_kernelINS0_14default_configENS1_32segmented_reduce_config_selectorIN3c104HalfEEEZNS1_21segmented_reduce_implIS3_PKS6_PS6_PKlS6_N6hipcub16HIPCUB_304000_NS6detail27convert_result_type_wrapperISA_SB_N2at6native12_GLOBAL__N_19CustomMaxEEEEE10hipError_tPvRmT0_T1_jT2_SS_T4_T3_P12ihipStream_tbEUlT_E_NS1_11comp_targetILNS1_3genE10ELNS1_11target_archE1201ELNS1_3gpuE5ELNS1_3repE0EEENS1_30default_config_static_selectorELNS0_4arch9wavefront6targetE0EEEvSR_.private_seg_size, 0
	.set _ZN7rocprim17ROCPRIM_400000_NS6detail17trampoline_kernelINS0_14default_configENS1_32segmented_reduce_config_selectorIN3c104HalfEEEZNS1_21segmented_reduce_implIS3_PKS6_PS6_PKlS6_N6hipcub16HIPCUB_304000_NS6detail27convert_result_type_wrapperISA_SB_N2at6native12_GLOBAL__N_19CustomMaxEEEEE10hipError_tPvRmT0_T1_jT2_SS_T4_T3_P12ihipStream_tbEUlT_E_NS1_11comp_targetILNS1_3genE10ELNS1_11target_archE1201ELNS1_3gpuE5ELNS1_3repE0EEENS1_30default_config_static_selectorELNS0_4arch9wavefront6targetE0EEEvSR_.uses_vcc, 0
	.set _ZN7rocprim17ROCPRIM_400000_NS6detail17trampoline_kernelINS0_14default_configENS1_32segmented_reduce_config_selectorIN3c104HalfEEEZNS1_21segmented_reduce_implIS3_PKS6_PS6_PKlS6_N6hipcub16HIPCUB_304000_NS6detail27convert_result_type_wrapperISA_SB_N2at6native12_GLOBAL__N_19CustomMaxEEEEE10hipError_tPvRmT0_T1_jT2_SS_T4_T3_P12ihipStream_tbEUlT_E_NS1_11comp_targetILNS1_3genE10ELNS1_11target_archE1201ELNS1_3gpuE5ELNS1_3repE0EEENS1_30default_config_static_selectorELNS0_4arch9wavefront6targetE0EEEvSR_.uses_flat_scratch, 0
	.set _ZN7rocprim17ROCPRIM_400000_NS6detail17trampoline_kernelINS0_14default_configENS1_32segmented_reduce_config_selectorIN3c104HalfEEEZNS1_21segmented_reduce_implIS3_PKS6_PS6_PKlS6_N6hipcub16HIPCUB_304000_NS6detail27convert_result_type_wrapperISA_SB_N2at6native12_GLOBAL__N_19CustomMaxEEEEE10hipError_tPvRmT0_T1_jT2_SS_T4_T3_P12ihipStream_tbEUlT_E_NS1_11comp_targetILNS1_3genE10ELNS1_11target_archE1201ELNS1_3gpuE5ELNS1_3repE0EEENS1_30default_config_static_selectorELNS0_4arch9wavefront6targetE0EEEvSR_.has_dyn_sized_stack, 0
	.set _ZN7rocprim17ROCPRIM_400000_NS6detail17trampoline_kernelINS0_14default_configENS1_32segmented_reduce_config_selectorIN3c104HalfEEEZNS1_21segmented_reduce_implIS3_PKS6_PS6_PKlS6_N6hipcub16HIPCUB_304000_NS6detail27convert_result_type_wrapperISA_SB_N2at6native12_GLOBAL__N_19CustomMaxEEEEE10hipError_tPvRmT0_T1_jT2_SS_T4_T3_P12ihipStream_tbEUlT_E_NS1_11comp_targetILNS1_3genE10ELNS1_11target_archE1201ELNS1_3gpuE5ELNS1_3repE0EEENS1_30default_config_static_selectorELNS0_4arch9wavefront6targetE0EEEvSR_.has_recursion, 0
	.set _ZN7rocprim17ROCPRIM_400000_NS6detail17trampoline_kernelINS0_14default_configENS1_32segmented_reduce_config_selectorIN3c104HalfEEEZNS1_21segmented_reduce_implIS3_PKS6_PS6_PKlS6_N6hipcub16HIPCUB_304000_NS6detail27convert_result_type_wrapperISA_SB_N2at6native12_GLOBAL__N_19CustomMaxEEEEE10hipError_tPvRmT0_T1_jT2_SS_T4_T3_P12ihipStream_tbEUlT_E_NS1_11comp_targetILNS1_3genE10ELNS1_11target_archE1201ELNS1_3gpuE5ELNS1_3repE0EEENS1_30default_config_static_selectorELNS0_4arch9wavefront6targetE0EEEvSR_.has_indirect_call, 0
	.section	.AMDGPU.csdata,"",@progbits
; Kernel info:
; codeLenInByte = 0
; TotalNumSgprs: 0
; NumVgprs: 0
; ScratchSize: 0
; MemoryBound: 0
; FloatMode: 240
; IeeeMode: 1
; LDSByteSize: 0 bytes/workgroup (compile time only)
; SGPRBlocks: 0
; VGPRBlocks: 0
; NumSGPRsForWavesPerEU: 1
; NumVGPRsForWavesPerEU: 1
; Occupancy: 16
; WaveLimiterHint : 0
; COMPUTE_PGM_RSRC2:SCRATCH_EN: 0
; COMPUTE_PGM_RSRC2:USER_SGPR: 6
; COMPUTE_PGM_RSRC2:TRAP_HANDLER: 0
; COMPUTE_PGM_RSRC2:TGID_X_EN: 1
; COMPUTE_PGM_RSRC2:TGID_Y_EN: 0
; COMPUTE_PGM_RSRC2:TGID_Z_EN: 0
; COMPUTE_PGM_RSRC2:TIDIG_COMP_CNT: 0
	.section	.text._ZN7rocprim17ROCPRIM_400000_NS6detail17trampoline_kernelINS0_14default_configENS1_32segmented_reduce_config_selectorIN3c104HalfEEEZNS1_21segmented_reduce_implIS3_PKS6_PS6_PKlS6_N6hipcub16HIPCUB_304000_NS6detail27convert_result_type_wrapperISA_SB_N2at6native12_GLOBAL__N_19CustomMaxEEEEE10hipError_tPvRmT0_T1_jT2_SS_T4_T3_P12ihipStream_tbEUlT_E_NS1_11comp_targetILNS1_3genE4ELNS1_11target_archE910ELNS1_3gpuE8ELNS1_3repE0EEENS1_30default_config_static_selectorELNS0_4arch9wavefront6targetE0EEEvSR_,"axG",@progbits,_ZN7rocprim17ROCPRIM_400000_NS6detail17trampoline_kernelINS0_14default_configENS1_32segmented_reduce_config_selectorIN3c104HalfEEEZNS1_21segmented_reduce_implIS3_PKS6_PS6_PKlS6_N6hipcub16HIPCUB_304000_NS6detail27convert_result_type_wrapperISA_SB_N2at6native12_GLOBAL__N_19CustomMaxEEEEE10hipError_tPvRmT0_T1_jT2_SS_T4_T3_P12ihipStream_tbEUlT_E_NS1_11comp_targetILNS1_3genE4ELNS1_11target_archE910ELNS1_3gpuE8ELNS1_3repE0EEENS1_30default_config_static_selectorELNS0_4arch9wavefront6targetE0EEEvSR_,comdat
	.globl	_ZN7rocprim17ROCPRIM_400000_NS6detail17trampoline_kernelINS0_14default_configENS1_32segmented_reduce_config_selectorIN3c104HalfEEEZNS1_21segmented_reduce_implIS3_PKS6_PS6_PKlS6_N6hipcub16HIPCUB_304000_NS6detail27convert_result_type_wrapperISA_SB_N2at6native12_GLOBAL__N_19CustomMaxEEEEE10hipError_tPvRmT0_T1_jT2_SS_T4_T3_P12ihipStream_tbEUlT_E_NS1_11comp_targetILNS1_3genE4ELNS1_11target_archE910ELNS1_3gpuE8ELNS1_3repE0EEENS1_30default_config_static_selectorELNS0_4arch9wavefront6targetE0EEEvSR_ ; -- Begin function _ZN7rocprim17ROCPRIM_400000_NS6detail17trampoline_kernelINS0_14default_configENS1_32segmented_reduce_config_selectorIN3c104HalfEEEZNS1_21segmented_reduce_implIS3_PKS6_PS6_PKlS6_N6hipcub16HIPCUB_304000_NS6detail27convert_result_type_wrapperISA_SB_N2at6native12_GLOBAL__N_19CustomMaxEEEEE10hipError_tPvRmT0_T1_jT2_SS_T4_T3_P12ihipStream_tbEUlT_E_NS1_11comp_targetILNS1_3genE4ELNS1_11target_archE910ELNS1_3gpuE8ELNS1_3repE0EEENS1_30default_config_static_selectorELNS0_4arch9wavefront6targetE0EEEvSR_
	.p2align	8
	.type	_ZN7rocprim17ROCPRIM_400000_NS6detail17trampoline_kernelINS0_14default_configENS1_32segmented_reduce_config_selectorIN3c104HalfEEEZNS1_21segmented_reduce_implIS3_PKS6_PS6_PKlS6_N6hipcub16HIPCUB_304000_NS6detail27convert_result_type_wrapperISA_SB_N2at6native12_GLOBAL__N_19CustomMaxEEEEE10hipError_tPvRmT0_T1_jT2_SS_T4_T3_P12ihipStream_tbEUlT_E_NS1_11comp_targetILNS1_3genE4ELNS1_11target_archE910ELNS1_3gpuE8ELNS1_3repE0EEENS1_30default_config_static_selectorELNS0_4arch9wavefront6targetE0EEEvSR_,@function
_ZN7rocprim17ROCPRIM_400000_NS6detail17trampoline_kernelINS0_14default_configENS1_32segmented_reduce_config_selectorIN3c104HalfEEEZNS1_21segmented_reduce_implIS3_PKS6_PS6_PKlS6_N6hipcub16HIPCUB_304000_NS6detail27convert_result_type_wrapperISA_SB_N2at6native12_GLOBAL__N_19CustomMaxEEEEE10hipError_tPvRmT0_T1_jT2_SS_T4_T3_P12ihipStream_tbEUlT_E_NS1_11comp_targetILNS1_3genE4ELNS1_11target_archE910ELNS1_3gpuE8ELNS1_3repE0EEENS1_30default_config_static_selectorELNS0_4arch9wavefront6targetE0EEEvSR_: ; @_ZN7rocprim17ROCPRIM_400000_NS6detail17trampoline_kernelINS0_14default_configENS1_32segmented_reduce_config_selectorIN3c104HalfEEEZNS1_21segmented_reduce_implIS3_PKS6_PS6_PKlS6_N6hipcub16HIPCUB_304000_NS6detail27convert_result_type_wrapperISA_SB_N2at6native12_GLOBAL__N_19CustomMaxEEEEE10hipError_tPvRmT0_T1_jT2_SS_T4_T3_P12ihipStream_tbEUlT_E_NS1_11comp_targetILNS1_3genE4ELNS1_11target_archE910ELNS1_3gpuE8ELNS1_3repE0EEENS1_30default_config_static_selectorELNS0_4arch9wavefront6targetE0EEEvSR_
; %bb.0:
	.section	.rodata,"a",@progbits
	.p2align	6, 0x0
	.amdhsa_kernel _ZN7rocprim17ROCPRIM_400000_NS6detail17trampoline_kernelINS0_14default_configENS1_32segmented_reduce_config_selectorIN3c104HalfEEEZNS1_21segmented_reduce_implIS3_PKS6_PS6_PKlS6_N6hipcub16HIPCUB_304000_NS6detail27convert_result_type_wrapperISA_SB_N2at6native12_GLOBAL__N_19CustomMaxEEEEE10hipError_tPvRmT0_T1_jT2_SS_T4_T3_P12ihipStream_tbEUlT_E_NS1_11comp_targetILNS1_3genE4ELNS1_11target_archE910ELNS1_3gpuE8ELNS1_3repE0EEENS1_30default_config_static_selectorELNS0_4arch9wavefront6targetE0EEEvSR_
		.amdhsa_group_segment_fixed_size 0
		.amdhsa_private_segment_fixed_size 0
		.amdhsa_kernarg_size 48
		.amdhsa_user_sgpr_count 6
		.amdhsa_user_sgpr_private_segment_buffer 1
		.amdhsa_user_sgpr_dispatch_ptr 0
		.amdhsa_user_sgpr_queue_ptr 0
		.amdhsa_user_sgpr_kernarg_segment_ptr 1
		.amdhsa_user_sgpr_dispatch_id 0
		.amdhsa_user_sgpr_flat_scratch_init 0
		.amdhsa_user_sgpr_private_segment_size 0
		.amdhsa_wavefront_size32 1
		.amdhsa_uses_dynamic_stack 0
		.amdhsa_system_sgpr_private_segment_wavefront_offset 0
		.amdhsa_system_sgpr_workgroup_id_x 1
		.amdhsa_system_sgpr_workgroup_id_y 0
		.amdhsa_system_sgpr_workgroup_id_z 0
		.amdhsa_system_sgpr_workgroup_info 0
		.amdhsa_system_vgpr_workitem_id 0
		.amdhsa_next_free_vgpr 1
		.amdhsa_next_free_sgpr 1
		.amdhsa_reserve_vcc 0
		.amdhsa_reserve_flat_scratch 0
		.amdhsa_float_round_mode_32 0
		.amdhsa_float_round_mode_16_64 0
		.amdhsa_float_denorm_mode_32 3
		.amdhsa_float_denorm_mode_16_64 3
		.amdhsa_dx10_clamp 1
		.amdhsa_ieee_mode 1
		.amdhsa_fp16_overflow 0
		.amdhsa_workgroup_processor_mode 1
		.amdhsa_memory_ordered 1
		.amdhsa_forward_progress 1
		.amdhsa_shared_vgpr_count 0
		.amdhsa_exception_fp_ieee_invalid_op 0
		.amdhsa_exception_fp_denorm_src 0
		.amdhsa_exception_fp_ieee_div_zero 0
		.amdhsa_exception_fp_ieee_overflow 0
		.amdhsa_exception_fp_ieee_underflow 0
		.amdhsa_exception_fp_ieee_inexact 0
		.amdhsa_exception_int_div_zero 0
	.end_amdhsa_kernel
	.section	.text._ZN7rocprim17ROCPRIM_400000_NS6detail17trampoline_kernelINS0_14default_configENS1_32segmented_reduce_config_selectorIN3c104HalfEEEZNS1_21segmented_reduce_implIS3_PKS6_PS6_PKlS6_N6hipcub16HIPCUB_304000_NS6detail27convert_result_type_wrapperISA_SB_N2at6native12_GLOBAL__N_19CustomMaxEEEEE10hipError_tPvRmT0_T1_jT2_SS_T4_T3_P12ihipStream_tbEUlT_E_NS1_11comp_targetILNS1_3genE4ELNS1_11target_archE910ELNS1_3gpuE8ELNS1_3repE0EEENS1_30default_config_static_selectorELNS0_4arch9wavefront6targetE0EEEvSR_,"axG",@progbits,_ZN7rocprim17ROCPRIM_400000_NS6detail17trampoline_kernelINS0_14default_configENS1_32segmented_reduce_config_selectorIN3c104HalfEEEZNS1_21segmented_reduce_implIS3_PKS6_PS6_PKlS6_N6hipcub16HIPCUB_304000_NS6detail27convert_result_type_wrapperISA_SB_N2at6native12_GLOBAL__N_19CustomMaxEEEEE10hipError_tPvRmT0_T1_jT2_SS_T4_T3_P12ihipStream_tbEUlT_E_NS1_11comp_targetILNS1_3genE4ELNS1_11target_archE910ELNS1_3gpuE8ELNS1_3repE0EEENS1_30default_config_static_selectorELNS0_4arch9wavefront6targetE0EEEvSR_,comdat
.Lfunc_end216:
	.size	_ZN7rocprim17ROCPRIM_400000_NS6detail17trampoline_kernelINS0_14default_configENS1_32segmented_reduce_config_selectorIN3c104HalfEEEZNS1_21segmented_reduce_implIS3_PKS6_PS6_PKlS6_N6hipcub16HIPCUB_304000_NS6detail27convert_result_type_wrapperISA_SB_N2at6native12_GLOBAL__N_19CustomMaxEEEEE10hipError_tPvRmT0_T1_jT2_SS_T4_T3_P12ihipStream_tbEUlT_E_NS1_11comp_targetILNS1_3genE4ELNS1_11target_archE910ELNS1_3gpuE8ELNS1_3repE0EEENS1_30default_config_static_selectorELNS0_4arch9wavefront6targetE0EEEvSR_, .Lfunc_end216-_ZN7rocprim17ROCPRIM_400000_NS6detail17trampoline_kernelINS0_14default_configENS1_32segmented_reduce_config_selectorIN3c104HalfEEEZNS1_21segmented_reduce_implIS3_PKS6_PS6_PKlS6_N6hipcub16HIPCUB_304000_NS6detail27convert_result_type_wrapperISA_SB_N2at6native12_GLOBAL__N_19CustomMaxEEEEE10hipError_tPvRmT0_T1_jT2_SS_T4_T3_P12ihipStream_tbEUlT_E_NS1_11comp_targetILNS1_3genE4ELNS1_11target_archE910ELNS1_3gpuE8ELNS1_3repE0EEENS1_30default_config_static_selectorELNS0_4arch9wavefront6targetE0EEEvSR_
                                        ; -- End function
	.set _ZN7rocprim17ROCPRIM_400000_NS6detail17trampoline_kernelINS0_14default_configENS1_32segmented_reduce_config_selectorIN3c104HalfEEEZNS1_21segmented_reduce_implIS3_PKS6_PS6_PKlS6_N6hipcub16HIPCUB_304000_NS6detail27convert_result_type_wrapperISA_SB_N2at6native12_GLOBAL__N_19CustomMaxEEEEE10hipError_tPvRmT0_T1_jT2_SS_T4_T3_P12ihipStream_tbEUlT_E_NS1_11comp_targetILNS1_3genE4ELNS1_11target_archE910ELNS1_3gpuE8ELNS1_3repE0EEENS1_30default_config_static_selectorELNS0_4arch9wavefront6targetE0EEEvSR_.num_vgpr, 0
	.set _ZN7rocprim17ROCPRIM_400000_NS6detail17trampoline_kernelINS0_14default_configENS1_32segmented_reduce_config_selectorIN3c104HalfEEEZNS1_21segmented_reduce_implIS3_PKS6_PS6_PKlS6_N6hipcub16HIPCUB_304000_NS6detail27convert_result_type_wrapperISA_SB_N2at6native12_GLOBAL__N_19CustomMaxEEEEE10hipError_tPvRmT0_T1_jT2_SS_T4_T3_P12ihipStream_tbEUlT_E_NS1_11comp_targetILNS1_3genE4ELNS1_11target_archE910ELNS1_3gpuE8ELNS1_3repE0EEENS1_30default_config_static_selectorELNS0_4arch9wavefront6targetE0EEEvSR_.num_agpr, 0
	.set _ZN7rocprim17ROCPRIM_400000_NS6detail17trampoline_kernelINS0_14default_configENS1_32segmented_reduce_config_selectorIN3c104HalfEEEZNS1_21segmented_reduce_implIS3_PKS6_PS6_PKlS6_N6hipcub16HIPCUB_304000_NS6detail27convert_result_type_wrapperISA_SB_N2at6native12_GLOBAL__N_19CustomMaxEEEEE10hipError_tPvRmT0_T1_jT2_SS_T4_T3_P12ihipStream_tbEUlT_E_NS1_11comp_targetILNS1_3genE4ELNS1_11target_archE910ELNS1_3gpuE8ELNS1_3repE0EEENS1_30default_config_static_selectorELNS0_4arch9wavefront6targetE0EEEvSR_.numbered_sgpr, 0
	.set _ZN7rocprim17ROCPRIM_400000_NS6detail17trampoline_kernelINS0_14default_configENS1_32segmented_reduce_config_selectorIN3c104HalfEEEZNS1_21segmented_reduce_implIS3_PKS6_PS6_PKlS6_N6hipcub16HIPCUB_304000_NS6detail27convert_result_type_wrapperISA_SB_N2at6native12_GLOBAL__N_19CustomMaxEEEEE10hipError_tPvRmT0_T1_jT2_SS_T4_T3_P12ihipStream_tbEUlT_E_NS1_11comp_targetILNS1_3genE4ELNS1_11target_archE910ELNS1_3gpuE8ELNS1_3repE0EEENS1_30default_config_static_selectorELNS0_4arch9wavefront6targetE0EEEvSR_.num_named_barrier, 0
	.set _ZN7rocprim17ROCPRIM_400000_NS6detail17trampoline_kernelINS0_14default_configENS1_32segmented_reduce_config_selectorIN3c104HalfEEEZNS1_21segmented_reduce_implIS3_PKS6_PS6_PKlS6_N6hipcub16HIPCUB_304000_NS6detail27convert_result_type_wrapperISA_SB_N2at6native12_GLOBAL__N_19CustomMaxEEEEE10hipError_tPvRmT0_T1_jT2_SS_T4_T3_P12ihipStream_tbEUlT_E_NS1_11comp_targetILNS1_3genE4ELNS1_11target_archE910ELNS1_3gpuE8ELNS1_3repE0EEENS1_30default_config_static_selectorELNS0_4arch9wavefront6targetE0EEEvSR_.private_seg_size, 0
	.set _ZN7rocprim17ROCPRIM_400000_NS6detail17trampoline_kernelINS0_14default_configENS1_32segmented_reduce_config_selectorIN3c104HalfEEEZNS1_21segmented_reduce_implIS3_PKS6_PS6_PKlS6_N6hipcub16HIPCUB_304000_NS6detail27convert_result_type_wrapperISA_SB_N2at6native12_GLOBAL__N_19CustomMaxEEEEE10hipError_tPvRmT0_T1_jT2_SS_T4_T3_P12ihipStream_tbEUlT_E_NS1_11comp_targetILNS1_3genE4ELNS1_11target_archE910ELNS1_3gpuE8ELNS1_3repE0EEENS1_30default_config_static_selectorELNS0_4arch9wavefront6targetE0EEEvSR_.uses_vcc, 0
	.set _ZN7rocprim17ROCPRIM_400000_NS6detail17trampoline_kernelINS0_14default_configENS1_32segmented_reduce_config_selectorIN3c104HalfEEEZNS1_21segmented_reduce_implIS3_PKS6_PS6_PKlS6_N6hipcub16HIPCUB_304000_NS6detail27convert_result_type_wrapperISA_SB_N2at6native12_GLOBAL__N_19CustomMaxEEEEE10hipError_tPvRmT0_T1_jT2_SS_T4_T3_P12ihipStream_tbEUlT_E_NS1_11comp_targetILNS1_3genE4ELNS1_11target_archE910ELNS1_3gpuE8ELNS1_3repE0EEENS1_30default_config_static_selectorELNS0_4arch9wavefront6targetE0EEEvSR_.uses_flat_scratch, 0
	.set _ZN7rocprim17ROCPRIM_400000_NS6detail17trampoline_kernelINS0_14default_configENS1_32segmented_reduce_config_selectorIN3c104HalfEEEZNS1_21segmented_reduce_implIS3_PKS6_PS6_PKlS6_N6hipcub16HIPCUB_304000_NS6detail27convert_result_type_wrapperISA_SB_N2at6native12_GLOBAL__N_19CustomMaxEEEEE10hipError_tPvRmT0_T1_jT2_SS_T4_T3_P12ihipStream_tbEUlT_E_NS1_11comp_targetILNS1_3genE4ELNS1_11target_archE910ELNS1_3gpuE8ELNS1_3repE0EEENS1_30default_config_static_selectorELNS0_4arch9wavefront6targetE0EEEvSR_.has_dyn_sized_stack, 0
	.set _ZN7rocprim17ROCPRIM_400000_NS6detail17trampoline_kernelINS0_14default_configENS1_32segmented_reduce_config_selectorIN3c104HalfEEEZNS1_21segmented_reduce_implIS3_PKS6_PS6_PKlS6_N6hipcub16HIPCUB_304000_NS6detail27convert_result_type_wrapperISA_SB_N2at6native12_GLOBAL__N_19CustomMaxEEEEE10hipError_tPvRmT0_T1_jT2_SS_T4_T3_P12ihipStream_tbEUlT_E_NS1_11comp_targetILNS1_3genE4ELNS1_11target_archE910ELNS1_3gpuE8ELNS1_3repE0EEENS1_30default_config_static_selectorELNS0_4arch9wavefront6targetE0EEEvSR_.has_recursion, 0
	.set _ZN7rocprim17ROCPRIM_400000_NS6detail17trampoline_kernelINS0_14default_configENS1_32segmented_reduce_config_selectorIN3c104HalfEEEZNS1_21segmented_reduce_implIS3_PKS6_PS6_PKlS6_N6hipcub16HIPCUB_304000_NS6detail27convert_result_type_wrapperISA_SB_N2at6native12_GLOBAL__N_19CustomMaxEEEEE10hipError_tPvRmT0_T1_jT2_SS_T4_T3_P12ihipStream_tbEUlT_E_NS1_11comp_targetILNS1_3genE4ELNS1_11target_archE910ELNS1_3gpuE8ELNS1_3repE0EEENS1_30default_config_static_selectorELNS0_4arch9wavefront6targetE0EEEvSR_.has_indirect_call, 0
	.section	.AMDGPU.csdata,"",@progbits
; Kernel info:
; codeLenInByte = 0
; TotalNumSgprs: 0
; NumVgprs: 0
; ScratchSize: 0
; MemoryBound: 0
; FloatMode: 240
; IeeeMode: 1
; LDSByteSize: 0 bytes/workgroup (compile time only)
; SGPRBlocks: 0
; VGPRBlocks: 0
; NumSGPRsForWavesPerEU: 1
; NumVGPRsForWavesPerEU: 1
; Occupancy: 16
; WaveLimiterHint : 0
; COMPUTE_PGM_RSRC2:SCRATCH_EN: 0
; COMPUTE_PGM_RSRC2:USER_SGPR: 6
; COMPUTE_PGM_RSRC2:TRAP_HANDLER: 0
; COMPUTE_PGM_RSRC2:TGID_X_EN: 1
; COMPUTE_PGM_RSRC2:TGID_Y_EN: 0
; COMPUTE_PGM_RSRC2:TGID_Z_EN: 0
; COMPUTE_PGM_RSRC2:TIDIG_COMP_CNT: 0
	.section	.text._ZN7rocprim17ROCPRIM_400000_NS6detail17trampoline_kernelINS0_14default_configENS1_32segmented_reduce_config_selectorIN3c104HalfEEEZNS1_21segmented_reduce_implIS3_PKS6_PS6_PKlS6_N6hipcub16HIPCUB_304000_NS6detail27convert_result_type_wrapperISA_SB_N2at6native12_GLOBAL__N_19CustomMaxEEEEE10hipError_tPvRmT0_T1_jT2_SS_T4_T3_P12ihipStream_tbEUlT_E_NS1_11comp_targetILNS1_3genE3ELNS1_11target_archE908ELNS1_3gpuE7ELNS1_3repE0EEENS1_30default_config_static_selectorELNS0_4arch9wavefront6targetE0EEEvSR_,"axG",@progbits,_ZN7rocprim17ROCPRIM_400000_NS6detail17trampoline_kernelINS0_14default_configENS1_32segmented_reduce_config_selectorIN3c104HalfEEEZNS1_21segmented_reduce_implIS3_PKS6_PS6_PKlS6_N6hipcub16HIPCUB_304000_NS6detail27convert_result_type_wrapperISA_SB_N2at6native12_GLOBAL__N_19CustomMaxEEEEE10hipError_tPvRmT0_T1_jT2_SS_T4_T3_P12ihipStream_tbEUlT_E_NS1_11comp_targetILNS1_3genE3ELNS1_11target_archE908ELNS1_3gpuE7ELNS1_3repE0EEENS1_30default_config_static_selectorELNS0_4arch9wavefront6targetE0EEEvSR_,comdat
	.globl	_ZN7rocprim17ROCPRIM_400000_NS6detail17trampoline_kernelINS0_14default_configENS1_32segmented_reduce_config_selectorIN3c104HalfEEEZNS1_21segmented_reduce_implIS3_PKS6_PS6_PKlS6_N6hipcub16HIPCUB_304000_NS6detail27convert_result_type_wrapperISA_SB_N2at6native12_GLOBAL__N_19CustomMaxEEEEE10hipError_tPvRmT0_T1_jT2_SS_T4_T3_P12ihipStream_tbEUlT_E_NS1_11comp_targetILNS1_3genE3ELNS1_11target_archE908ELNS1_3gpuE7ELNS1_3repE0EEENS1_30default_config_static_selectorELNS0_4arch9wavefront6targetE0EEEvSR_ ; -- Begin function _ZN7rocprim17ROCPRIM_400000_NS6detail17trampoline_kernelINS0_14default_configENS1_32segmented_reduce_config_selectorIN3c104HalfEEEZNS1_21segmented_reduce_implIS3_PKS6_PS6_PKlS6_N6hipcub16HIPCUB_304000_NS6detail27convert_result_type_wrapperISA_SB_N2at6native12_GLOBAL__N_19CustomMaxEEEEE10hipError_tPvRmT0_T1_jT2_SS_T4_T3_P12ihipStream_tbEUlT_E_NS1_11comp_targetILNS1_3genE3ELNS1_11target_archE908ELNS1_3gpuE7ELNS1_3repE0EEENS1_30default_config_static_selectorELNS0_4arch9wavefront6targetE0EEEvSR_
	.p2align	8
	.type	_ZN7rocprim17ROCPRIM_400000_NS6detail17trampoline_kernelINS0_14default_configENS1_32segmented_reduce_config_selectorIN3c104HalfEEEZNS1_21segmented_reduce_implIS3_PKS6_PS6_PKlS6_N6hipcub16HIPCUB_304000_NS6detail27convert_result_type_wrapperISA_SB_N2at6native12_GLOBAL__N_19CustomMaxEEEEE10hipError_tPvRmT0_T1_jT2_SS_T4_T3_P12ihipStream_tbEUlT_E_NS1_11comp_targetILNS1_3genE3ELNS1_11target_archE908ELNS1_3gpuE7ELNS1_3repE0EEENS1_30default_config_static_selectorELNS0_4arch9wavefront6targetE0EEEvSR_,@function
_ZN7rocprim17ROCPRIM_400000_NS6detail17trampoline_kernelINS0_14default_configENS1_32segmented_reduce_config_selectorIN3c104HalfEEEZNS1_21segmented_reduce_implIS3_PKS6_PS6_PKlS6_N6hipcub16HIPCUB_304000_NS6detail27convert_result_type_wrapperISA_SB_N2at6native12_GLOBAL__N_19CustomMaxEEEEE10hipError_tPvRmT0_T1_jT2_SS_T4_T3_P12ihipStream_tbEUlT_E_NS1_11comp_targetILNS1_3genE3ELNS1_11target_archE908ELNS1_3gpuE7ELNS1_3repE0EEENS1_30default_config_static_selectorELNS0_4arch9wavefront6targetE0EEEvSR_: ; @_ZN7rocprim17ROCPRIM_400000_NS6detail17trampoline_kernelINS0_14default_configENS1_32segmented_reduce_config_selectorIN3c104HalfEEEZNS1_21segmented_reduce_implIS3_PKS6_PS6_PKlS6_N6hipcub16HIPCUB_304000_NS6detail27convert_result_type_wrapperISA_SB_N2at6native12_GLOBAL__N_19CustomMaxEEEEE10hipError_tPvRmT0_T1_jT2_SS_T4_T3_P12ihipStream_tbEUlT_E_NS1_11comp_targetILNS1_3genE3ELNS1_11target_archE908ELNS1_3gpuE7ELNS1_3repE0EEENS1_30default_config_static_selectorELNS0_4arch9wavefront6targetE0EEEvSR_
; %bb.0:
	.section	.rodata,"a",@progbits
	.p2align	6, 0x0
	.amdhsa_kernel _ZN7rocprim17ROCPRIM_400000_NS6detail17trampoline_kernelINS0_14default_configENS1_32segmented_reduce_config_selectorIN3c104HalfEEEZNS1_21segmented_reduce_implIS3_PKS6_PS6_PKlS6_N6hipcub16HIPCUB_304000_NS6detail27convert_result_type_wrapperISA_SB_N2at6native12_GLOBAL__N_19CustomMaxEEEEE10hipError_tPvRmT0_T1_jT2_SS_T4_T3_P12ihipStream_tbEUlT_E_NS1_11comp_targetILNS1_3genE3ELNS1_11target_archE908ELNS1_3gpuE7ELNS1_3repE0EEENS1_30default_config_static_selectorELNS0_4arch9wavefront6targetE0EEEvSR_
		.amdhsa_group_segment_fixed_size 0
		.amdhsa_private_segment_fixed_size 0
		.amdhsa_kernarg_size 48
		.amdhsa_user_sgpr_count 6
		.amdhsa_user_sgpr_private_segment_buffer 1
		.amdhsa_user_sgpr_dispatch_ptr 0
		.amdhsa_user_sgpr_queue_ptr 0
		.amdhsa_user_sgpr_kernarg_segment_ptr 1
		.amdhsa_user_sgpr_dispatch_id 0
		.amdhsa_user_sgpr_flat_scratch_init 0
		.amdhsa_user_sgpr_private_segment_size 0
		.amdhsa_wavefront_size32 1
		.amdhsa_uses_dynamic_stack 0
		.amdhsa_system_sgpr_private_segment_wavefront_offset 0
		.amdhsa_system_sgpr_workgroup_id_x 1
		.amdhsa_system_sgpr_workgroup_id_y 0
		.amdhsa_system_sgpr_workgroup_id_z 0
		.amdhsa_system_sgpr_workgroup_info 0
		.amdhsa_system_vgpr_workitem_id 0
		.amdhsa_next_free_vgpr 1
		.amdhsa_next_free_sgpr 1
		.amdhsa_reserve_vcc 0
		.amdhsa_reserve_flat_scratch 0
		.amdhsa_float_round_mode_32 0
		.amdhsa_float_round_mode_16_64 0
		.amdhsa_float_denorm_mode_32 3
		.amdhsa_float_denorm_mode_16_64 3
		.amdhsa_dx10_clamp 1
		.amdhsa_ieee_mode 1
		.amdhsa_fp16_overflow 0
		.amdhsa_workgroup_processor_mode 1
		.amdhsa_memory_ordered 1
		.amdhsa_forward_progress 1
		.amdhsa_shared_vgpr_count 0
		.amdhsa_exception_fp_ieee_invalid_op 0
		.amdhsa_exception_fp_denorm_src 0
		.amdhsa_exception_fp_ieee_div_zero 0
		.amdhsa_exception_fp_ieee_overflow 0
		.amdhsa_exception_fp_ieee_underflow 0
		.amdhsa_exception_fp_ieee_inexact 0
		.amdhsa_exception_int_div_zero 0
	.end_amdhsa_kernel
	.section	.text._ZN7rocprim17ROCPRIM_400000_NS6detail17trampoline_kernelINS0_14default_configENS1_32segmented_reduce_config_selectorIN3c104HalfEEEZNS1_21segmented_reduce_implIS3_PKS6_PS6_PKlS6_N6hipcub16HIPCUB_304000_NS6detail27convert_result_type_wrapperISA_SB_N2at6native12_GLOBAL__N_19CustomMaxEEEEE10hipError_tPvRmT0_T1_jT2_SS_T4_T3_P12ihipStream_tbEUlT_E_NS1_11comp_targetILNS1_3genE3ELNS1_11target_archE908ELNS1_3gpuE7ELNS1_3repE0EEENS1_30default_config_static_selectorELNS0_4arch9wavefront6targetE0EEEvSR_,"axG",@progbits,_ZN7rocprim17ROCPRIM_400000_NS6detail17trampoline_kernelINS0_14default_configENS1_32segmented_reduce_config_selectorIN3c104HalfEEEZNS1_21segmented_reduce_implIS3_PKS6_PS6_PKlS6_N6hipcub16HIPCUB_304000_NS6detail27convert_result_type_wrapperISA_SB_N2at6native12_GLOBAL__N_19CustomMaxEEEEE10hipError_tPvRmT0_T1_jT2_SS_T4_T3_P12ihipStream_tbEUlT_E_NS1_11comp_targetILNS1_3genE3ELNS1_11target_archE908ELNS1_3gpuE7ELNS1_3repE0EEENS1_30default_config_static_selectorELNS0_4arch9wavefront6targetE0EEEvSR_,comdat
.Lfunc_end217:
	.size	_ZN7rocprim17ROCPRIM_400000_NS6detail17trampoline_kernelINS0_14default_configENS1_32segmented_reduce_config_selectorIN3c104HalfEEEZNS1_21segmented_reduce_implIS3_PKS6_PS6_PKlS6_N6hipcub16HIPCUB_304000_NS6detail27convert_result_type_wrapperISA_SB_N2at6native12_GLOBAL__N_19CustomMaxEEEEE10hipError_tPvRmT0_T1_jT2_SS_T4_T3_P12ihipStream_tbEUlT_E_NS1_11comp_targetILNS1_3genE3ELNS1_11target_archE908ELNS1_3gpuE7ELNS1_3repE0EEENS1_30default_config_static_selectorELNS0_4arch9wavefront6targetE0EEEvSR_, .Lfunc_end217-_ZN7rocprim17ROCPRIM_400000_NS6detail17trampoline_kernelINS0_14default_configENS1_32segmented_reduce_config_selectorIN3c104HalfEEEZNS1_21segmented_reduce_implIS3_PKS6_PS6_PKlS6_N6hipcub16HIPCUB_304000_NS6detail27convert_result_type_wrapperISA_SB_N2at6native12_GLOBAL__N_19CustomMaxEEEEE10hipError_tPvRmT0_T1_jT2_SS_T4_T3_P12ihipStream_tbEUlT_E_NS1_11comp_targetILNS1_3genE3ELNS1_11target_archE908ELNS1_3gpuE7ELNS1_3repE0EEENS1_30default_config_static_selectorELNS0_4arch9wavefront6targetE0EEEvSR_
                                        ; -- End function
	.set _ZN7rocprim17ROCPRIM_400000_NS6detail17trampoline_kernelINS0_14default_configENS1_32segmented_reduce_config_selectorIN3c104HalfEEEZNS1_21segmented_reduce_implIS3_PKS6_PS6_PKlS6_N6hipcub16HIPCUB_304000_NS6detail27convert_result_type_wrapperISA_SB_N2at6native12_GLOBAL__N_19CustomMaxEEEEE10hipError_tPvRmT0_T1_jT2_SS_T4_T3_P12ihipStream_tbEUlT_E_NS1_11comp_targetILNS1_3genE3ELNS1_11target_archE908ELNS1_3gpuE7ELNS1_3repE0EEENS1_30default_config_static_selectorELNS0_4arch9wavefront6targetE0EEEvSR_.num_vgpr, 0
	.set _ZN7rocprim17ROCPRIM_400000_NS6detail17trampoline_kernelINS0_14default_configENS1_32segmented_reduce_config_selectorIN3c104HalfEEEZNS1_21segmented_reduce_implIS3_PKS6_PS6_PKlS6_N6hipcub16HIPCUB_304000_NS6detail27convert_result_type_wrapperISA_SB_N2at6native12_GLOBAL__N_19CustomMaxEEEEE10hipError_tPvRmT0_T1_jT2_SS_T4_T3_P12ihipStream_tbEUlT_E_NS1_11comp_targetILNS1_3genE3ELNS1_11target_archE908ELNS1_3gpuE7ELNS1_3repE0EEENS1_30default_config_static_selectorELNS0_4arch9wavefront6targetE0EEEvSR_.num_agpr, 0
	.set _ZN7rocprim17ROCPRIM_400000_NS6detail17trampoline_kernelINS0_14default_configENS1_32segmented_reduce_config_selectorIN3c104HalfEEEZNS1_21segmented_reduce_implIS3_PKS6_PS6_PKlS6_N6hipcub16HIPCUB_304000_NS6detail27convert_result_type_wrapperISA_SB_N2at6native12_GLOBAL__N_19CustomMaxEEEEE10hipError_tPvRmT0_T1_jT2_SS_T4_T3_P12ihipStream_tbEUlT_E_NS1_11comp_targetILNS1_3genE3ELNS1_11target_archE908ELNS1_3gpuE7ELNS1_3repE0EEENS1_30default_config_static_selectorELNS0_4arch9wavefront6targetE0EEEvSR_.numbered_sgpr, 0
	.set _ZN7rocprim17ROCPRIM_400000_NS6detail17trampoline_kernelINS0_14default_configENS1_32segmented_reduce_config_selectorIN3c104HalfEEEZNS1_21segmented_reduce_implIS3_PKS6_PS6_PKlS6_N6hipcub16HIPCUB_304000_NS6detail27convert_result_type_wrapperISA_SB_N2at6native12_GLOBAL__N_19CustomMaxEEEEE10hipError_tPvRmT0_T1_jT2_SS_T4_T3_P12ihipStream_tbEUlT_E_NS1_11comp_targetILNS1_3genE3ELNS1_11target_archE908ELNS1_3gpuE7ELNS1_3repE0EEENS1_30default_config_static_selectorELNS0_4arch9wavefront6targetE0EEEvSR_.num_named_barrier, 0
	.set _ZN7rocprim17ROCPRIM_400000_NS6detail17trampoline_kernelINS0_14default_configENS1_32segmented_reduce_config_selectorIN3c104HalfEEEZNS1_21segmented_reduce_implIS3_PKS6_PS6_PKlS6_N6hipcub16HIPCUB_304000_NS6detail27convert_result_type_wrapperISA_SB_N2at6native12_GLOBAL__N_19CustomMaxEEEEE10hipError_tPvRmT0_T1_jT2_SS_T4_T3_P12ihipStream_tbEUlT_E_NS1_11comp_targetILNS1_3genE3ELNS1_11target_archE908ELNS1_3gpuE7ELNS1_3repE0EEENS1_30default_config_static_selectorELNS0_4arch9wavefront6targetE0EEEvSR_.private_seg_size, 0
	.set _ZN7rocprim17ROCPRIM_400000_NS6detail17trampoline_kernelINS0_14default_configENS1_32segmented_reduce_config_selectorIN3c104HalfEEEZNS1_21segmented_reduce_implIS3_PKS6_PS6_PKlS6_N6hipcub16HIPCUB_304000_NS6detail27convert_result_type_wrapperISA_SB_N2at6native12_GLOBAL__N_19CustomMaxEEEEE10hipError_tPvRmT0_T1_jT2_SS_T4_T3_P12ihipStream_tbEUlT_E_NS1_11comp_targetILNS1_3genE3ELNS1_11target_archE908ELNS1_3gpuE7ELNS1_3repE0EEENS1_30default_config_static_selectorELNS0_4arch9wavefront6targetE0EEEvSR_.uses_vcc, 0
	.set _ZN7rocprim17ROCPRIM_400000_NS6detail17trampoline_kernelINS0_14default_configENS1_32segmented_reduce_config_selectorIN3c104HalfEEEZNS1_21segmented_reduce_implIS3_PKS6_PS6_PKlS6_N6hipcub16HIPCUB_304000_NS6detail27convert_result_type_wrapperISA_SB_N2at6native12_GLOBAL__N_19CustomMaxEEEEE10hipError_tPvRmT0_T1_jT2_SS_T4_T3_P12ihipStream_tbEUlT_E_NS1_11comp_targetILNS1_3genE3ELNS1_11target_archE908ELNS1_3gpuE7ELNS1_3repE0EEENS1_30default_config_static_selectorELNS0_4arch9wavefront6targetE0EEEvSR_.uses_flat_scratch, 0
	.set _ZN7rocprim17ROCPRIM_400000_NS6detail17trampoline_kernelINS0_14default_configENS1_32segmented_reduce_config_selectorIN3c104HalfEEEZNS1_21segmented_reduce_implIS3_PKS6_PS6_PKlS6_N6hipcub16HIPCUB_304000_NS6detail27convert_result_type_wrapperISA_SB_N2at6native12_GLOBAL__N_19CustomMaxEEEEE10hipError_tPvRmT0_T1_jT2_SS_T4_T3_P12ihipStream_tbEUlT_E_NS1_11comp_targetILNS1_3genE3ELNS1_11target_archE908ELNS1_3gpuE7ELNS1_3repE0EEENS1_30default_config_static_selectorELNS0_4arch9wavefront6targetE0EEEvSR_.has_dyn_sized_stack, 0
	.set _ZN7rocprim17ROCPRIM_400000_NS6detail17trampoline_kernelINS0_14default_configENS1_32segmented_reduce_config_selectorIN3c104HalfEEEZNS1_21segmented_reduce_implIS3_PKS6_PS6_PKlS6_N6hipcub16HIPCUB_304000_NS6detail27convert_result_type_wrapperISA_SB_N2at6native12_GLOBAL__N_19CustomMaxEEEEE10hipError_tPvRmT0_T1_jT2_SS_T4_T3_P12ihipStream_tbEUlT_E_NS1_11comp_targetILNS1_3genE3ELNS1_11target_archE908ELNS1_3gpuE7ELNS1_3repE0EEENS1_30default_config_static_selectorELNS0_4arch9wavefront6targetE0EEEvSR_.has_recursion, 0
	.set _ZN7rocprim17ROCPRIM_400000_NS6detail17trampoline_kernelINS0_14default_configENS1_32segmented_reduce_config_selectorIN3c104HalfEEEZNS1_21segmented_reduce_implIS3_PKS6_PS6_PKlS6_N6hipcub16HIPCUB_304000_NS6detail27convert_result_type_wrapperISA_SB_N2at6native12_GLOBAL__N_19CustomMaxEEEEE10hipError_tPvRmT0_T1_jT2_SS_T4_T3_P12ihipStream_tbEUlT_E_NS1_11comp_targetILNS1_3genE3ELNS1_11target_archE908ELNS1_3gpuE7ELNS1_3repE0EEENS1_30default_config_static_selectorELNS0_4arch9wavefront6targetE0EEEvSR_.has_indirect_call, 0
	.section	.AMDGPU.csdata,"",@progbits
; Kernel info:
; codeLenInByte = 0
; TotalNumSgprs: 0
; NumVgprs: 0
; ScratchSize: 0
; MemoryBound: 0
; FloatMode: 240
; IeeeMode: 1
; LDSByteSize: 0 bytes/workgroup (compile time only)
; SGPRBlocks: 0
; VGPRBlocks: 0
; NumSGPRsForWavesPerEU: 1
; NumVGPRsForWavesPerEU: 1
; Occupancy: 16
; WaveLimiterHint : 0
; COMPUTE_PGM_RSRC2:SCRATCH_EN: 0
; COMPUTE_PGM_RSRC2:USER_SGPR: 6
; COMPUTE_PGM_RSRC2:TRAP_HANDLER: 0
; COMPUTE_PGM_RSRC2:TGID_X_EN: 1
; COMPUTE_PGM_RSRC2:TGID_Y_EN: 0
; COMPUTE_PGM_RSRC2:TGID_Z_EN: 0
; COMPUTE_PGM_RSRC2:TIDIG_COMP_CNT: 0
	.section	.text._ZN7rocprim17ROCPRIM_400000_NS6detail17trampoline_kernelINS0_14default_configENS1_32segmented_reduce_config_selectorIN3c104HalfEEEZNS1_21segmented_reduce_implIS3_PKS6_PS6_PKlS6_N6hipcub16HIPCUB_304000_NS6detail27convert_result_type_wrapperISA_SB_N2at6native12_GLOBAL__N_19CustomMaxEEEEE10hipError_tPvRmT0_T1_jT2_SS_T4_T3_P12ihipStream_tbEUlT_E_NS1_11comp_targetILNS1_3genE2ELNS1_11target_archE906ELNS1_3gpuE6ELNS1_3repE0EEENS1_30default_config_static_selectorELNS0_4arch9wavefront6targetE0EEEvSR_,"axG",@progbits,_ZN7rocprim17ROCPRIM_400000_NS6detail17trampoline_kernelINS0_14default_configENS1_32segmented_reduce_config_selectorIN3c104HalfEEEZNS1_21segmented_reduce_implIS3_PKS6_PS6_PKlS6_N6hipcub16HIPCUB_304000_NS6detail27convert_result_type_wrapperISA_SB_N2at6native12_GLOBAL__N_19CustomMaxEEEEE10hipError_tPvRmT0_T1_jT2_SS_T4_T3_P12ihipStream_tbEUlT_E_NS1_11comp_targetILNS1_3genE2ELNS1_11target_archE906ELNS1_3gpuE6ELNS1_3repE0EEENS1_30default_config_static_selectorELNS0_4arch9wavefront6targetE0EEEvSR_,comdat
	.globl	_ZN7rocprim17ROCPRIM_400000_NS6detail17trampoline_kernelINS0_14default_configENS1_32segmented_reduce_config_selectorIN3c104HalfEEEZNS1_21segmented_reduce_implIS3_PKS6_PS6_PKlS6_N6hipcub16HIPCUB_304000_NS6detail27convert_result_type_wrapperISA_SB_N2at6native12_GLOBAL__N_19CustomMaxEEEEE10hipError_tPvRmT0_T1_jT2_SS_T4_T3_P12ihipStream_tbEUlT_E_NS1_11comp_targetILNS1_3genE2ELNS1_11target_archE906ELNS1_3gpuE6ELNS1_3repE0EEENS1_30default_config_static_selectorELNS0_4arch9wavefront6targetE0EEEvSR_ ; -- Begin function _ZN7rocprim17ROCPRIM_400000_NS6detail17trampoline_kernelINS0_14default_configENS1_32segmented_reduce_config_selectorIN3c104HalfEEEZNS1_21segmented_reduce_implIS3_PKS6_PS6_PKlS6_N6hipcub16HIPCUB_304000_NS6detail27convert_result_type_wrapperISA_SB_N2at6native12_GLOBAL__N_19CustomMaxEEEEE10hipError_tPvRmT0_T1_jT2_SS_T4_T3_P12ihipStream_tbEUlT_E_NS1_11comp_targetILNS1_3genE2ELNS1_11target_archE906ELNS1_3gpuE6ELNS1_3repE0EEENS1_30default_config_static_selectorELNS0_4arch9wavefront6targetE0EEEvSR_
	.p2align	8
	.type	_ZN7rocprim17ROCPRIM_400000_NS6detail17trampoline_kernelINS0_14default_configENS1_32segmented_reduce_config_selectorIN3c104HalfEEEZNS1_21segmented_reduce_implIS3_PKS6_PS6_PKlS6_N6hipcub16HIPCUB_304000_NS6detail27convert_result_type_wrapperISA_SB_N2at6native12_GLOBAL__N_19CustomMaxEEEEE10hipError_tPvRmT0_T1_jT2_SS_T4_T3_P12ihipStream_tbEUlT_E_NS1_11comp_targetILNS1_3genE2ELNS1_11target_archE906ELNS1_3gpuE6ELNS1_3repE0EEENS1_30default_config_static_selectorELNS0_4arch9wavefront6targetE0EEEvSR_,@function
_ZN7rocprim17ROCPRIM_400000_NS6detail17trampoline_kernelINS0_14default_configENS1_32segmented_reduce_config_selectorIN3c104HalfEEEZNS1_21segmented_reduce_implIS3_PKS6_PS6_PKlS6_N6hipcub16HIPCUB_304000_NS6detail27convert_result_type_wrapperISA_SB_N2at6native12_GLOBAL__N_19CustomMaxEEEEE10hipError_tPvRmT0_T1_jT2_SS_T4_T3_P12ihipStream_tbEUlT_E_NS1_11comp_targetILNS1_3genE2ELNS1_11target_archE906ELNS1_3gpuE6ELNS1_3repE0EEENS1_30default_config_static_selectorELNS0_4arch9wavefront6targetE0EEEvSR_: ; @_ZN7rocprim17ROCPRIM_400000_NS6detail17trampoline_kernelINS0_14default_configENS1_32segmented_reduce_config_selectorIN3c104HalfEEEZNS1_21segmented_reduce_implIS3_PKS6_PS6_PKlS6_N6hipcub16HIPCUB_304000_NS6detail27convert_result_type_wrapperISA_SB_N2at6native12_GLOBAL__N_19CustomMaxEEEEE10hipError_tPvRmT0_T1_jT2_SS_T4_T3_P12ihipStream_tbEUlT_E_NS1_11comp_targetILNS1_3genE2ELNS1_11target_archE906ELNS1_3gpuE6ELNS1_3repE0EEENS1_30default_config_static_selectorELNS0_4arch9wavefront6targetE0EEEvSR_
; %bb.0:
	.section	.rodata,"a",@progbits
	.p2align	6, 0x0
	.amdhsa_kernel _ZN7rocprim17ROCPRIM_400000_NS6detail17trampoline_kernelINS0_14default_configENS1_32segmented_reduce_config_selectorIN3c104HalfEEEZNS1_21segmented_reduce_implIS3_PKS6_PS6_PKlS6_N6hipcub16HIPCUB_304000_NS6detail27convert_result_type_wrapperISA_SB_N2at6native12_GLOBAL__N_19CustomMaxEEEEE10hipError_tPvRmT0_T1_jT2_SS_T4_T3_P12ihipStream_tbEUlT_E_NS1_11comp_targetILNS1_3genE2ELNS1_11target_archE906ELNS1_3gpuE6ELNS1_3repE0EEENS1_30default_config_static_selectorELNS0_4arch9wavefront6targetE0EEEvSR_
		.amdhsa_group_segment_fixed_size 0
		.amdhsa_private_segment_fixed_size 0
		.amdhsa_kernarg_size 48
		.amdhsa_user_sgpr_count 6
		.amdhsa_user_sgpr_private_segment_buffer 1
		.amdhsa_user_sgpr_dispatch_ptr 0
		.amdhsa_user_sgpr_queue_ptr 0
		.amdhsa_user_sgpr_kernarg_segment_ptr 1
		.amdhsa_user_sgpr_dispatch_id 0
		.amdhsa_user_sgpr_flat_scratch_init 0
		.amdhsa_user_sgpr_private_segment_size 0
		.amdhsa_wavefront_size32 1
		.amdhsa_uses_dynamic_stack 0
		.amdhsa_system_sgpr_private_segment_wavefront_offset 0
		.amdhsa_system_sgpr_workgroup_id_x 1
		.amdhsa_system_sgpr_workgroup_id_y 0
		.amdhsa_system_sgpr_workgroup_id_z 0
		.amdhsa_system_sgpr_workgroup_info 0
		.amdhsa_system_vgpr_workitem_id 0
		.amdhsa_next_free_vgpr 1
		.amdhsa_next_free_sgpr 1
		.amdhsa_reserve_vcc 0
		.amdhsa_reserve_flat_scratch 0
		.amdhsa_float_round_mode_32 0
		.amdhsa_float_round_mode_16_64 0
		.amdhsa_float_denorm_mode_32 3
		.amdhsa_float_denorm_mode_16_64 3
		.amdhsa_dx10_clamp 1
		.amdhsa_ieee_mode 1
		.amdhsa_fp16_overflow 0
		.amdhsa_workgroup_processor_mode 1
		.amdhsa_memory_ordered 1
		.amdhsa_forward_progress 1
		.amdhsa_shared_vgpr_count 0
		.amdhsa_exception_fp_ieee_invalid_op 0
		.amdhsa_exception_fp_denorm_src 0
		.amdhsa_exception_fp_ieee_div_zero 0
		.amdhsa_exception_fp_ieee_overflow 0
		.amdhsa_exception_fp_ieee_underflow 0
		.amdhsa_exception_fp_ieee_inexact 0
		.amdhsa_exception_int_div_zero 0
	.end_amdhsa_kernel
	.section	.text._ZN7rocprim17ROCPRIM_400000_NS6detail17trampoline_kernelINS0_14default_configENS1_32segmented_reduce_config_selectorIN3c104HalfEEEZNS1_21segmented_reduce_implIS3_PKS6_PS6_PKlS6_N6hipcub16HIPCUB_304000_NS6detail27convert_result_type_wrapperISA_SB_N2at6native12_GLOBAL__N_19CustomMaxEEEEE10hipError_tPvRmT0_T1_jT2_SS_T4_T3_P12ihipStream_tbEUlT_E_NS1_11comp_targetILNS1_3genE2ELNS1_11target_archE906ELNS1_3gpuE6ELNS1_3repE0EEENS1_30default_config_static_selectorELNS0_4arch9wavefront6targetE0EEEvSR_,"axG",@progbits,_ZN7rocprim17ROCPRIM_400000_NS6detail17trampoline_kernelINS0_14default_configENS1_32segmented_reduce_config_selectorIN3c104HalfEEEZNS1_21segmented_reduce_implIS3_PKS6_PS6_PKlS6_N6hipcub16HIPCUB_304000_NS6detail27convert_result_type_wrapperISA_SB_N2at6native12_GLOBAL__N_19CustomMaxEEEEE10hipError_tPvRmT0_T1_jT2_SS_T4_T3_P12ihipStream_tbEUlT_E_NS1_11comp_targetILNS1_3genE2ELNS1_11target_archE906ELNS1_3gpuE6ELNS1_3repE0EEENS1_30default_config_static_selectorELNS0_4arch9wavefront6targetE0EEEvSR_,comdat
.Lfunc_end218:
	.size	_ZN7rocprim17ROCPRIM_400000_NS6detail17trampoline_kernelINS0_14default_configENS1_32segmented_reduce_config_selectorIN3c104HalfEEEZNS1_21segmented_reduce_implIS3_PKS6_PS6_PKlS6_N6hipcub16HIPCUB_304000_NS6detail27convert_result_type_wrapperISA_SB_N2at6native12_GLOBAL__N_19CustomMaxEEEEE10hipError_tPvRmT0_T1_jT2_SS_T4_T3_P12ihipStream_tbEUlT_E_NS1_11comp_targetILNS1_3genE2ELNS1_11target_archE906ELNS1_3gpuE6ELNS1_3repE0EEENS1_30default_config_static_selectorELNS0_4arch9wavefront6targetE0EEEvSR_, .Lfunc_end218-_ZN7rocprim17ROCPRIM_400000_NS6detail17trampoline_kernelINS0_14default_configENS1_32segmented_reduce_config_selectorIN3c104HalfEEEZNS1_21segmented_reduce_implIS3_PKS6_PS6_PKlS6_N6hipcub16HIPCUB_304000_NS6detail27convert_result_type_wrapperISA_SB_N2at6native12_GLOBAL__N_19CustomMaxEEEEE10hipError_tPvRmT0_T1_jT2_SS_T4_T3_P12ihipStream_tbEUlT_E_NS1_11comp_targetILNS1_3genE2ELNS1_11target_archE906ELNS1_3gpuE6ELNS1_3repE0EEENS1_30default_config_static_selectorELNS0_4arch9wavefront6targetE0EEEvSR_
                                        ; -- End function
	.set _ZN7rocprim17ROCPRIM_400000_NS6detail17trampoline_kernelINS0_14default_configENS1_32segmented_reduce_config_selectorIN3c104HalfEEEZNS1_21segmented_reduce_implIS3_PKS6_PS6_PKlS6_N6hipcub16HIPCUB_304000_NS6detail27convert_result_type_wrapperISA_SB_N2at6native12_GLOBAL__N_19CustomMaxEEEEE10hipError_tPvRmT0_T1_jT2_SS_T4_T3_P12ihipStream_tbEUlT_E_NS1_11comp_targetILNS1_3genE2ELNS1_11target_archE906ELNS1_3gpuE6ELNS1_3repE0EEENS1_30default_config_static_selectorELNS0_4arch9wavefront6targetE0EEEvSR_.num_vgpr, 0
	.set _ZN7rocprim17ROCPRIM_400000_NS6detail17trampoline_kernelINS0_14default_configENS1_32segmented_reduce_config_selectorIN3c104HalfEEEZNS1_21segmented_reduce_implIS3_PKS6_PS6_PKlS6_N6hipcub16HIPCUB_304000_NS6detail27convert_result_type_wrapperISA_SB_N2at6native12_GLOBAL__N_19CustomMaxEEEEE10hipError_tPvRmT0_T1_jT2_SS_T4_T3_P12ihipStream_tbEUlT_E_NS1_11comp_targetILNS1_3genE2ELNS1_11target_archE906ELNS1_3gpuE6ELNS1_3repE0EEENS1_30default_config_static_selectorELNS0_4arch9wavefront6targetE0EEEvSR_.num_agpr, 0
	.set _ZN7rocprim17ROCPRIM_400000_NS6detail17trampoline_kernelINS0_14default_configENS1_32segmented_reduce_config_selectorIN3c104HalfEEEZNS1_21segmented_reduce_implIS3_PKS6_PS6_PKlS6_N6hipcub16HIPCUB_304000_NS6detail27convert_result_type_wrapperISA_SB_N2at6native12_GLOBAL__N_19CustomMaxEEEEE10hipError_tPvRmT0_T1_jT2_SS_T4_T3_P12ihipStream_tbEUlT_E_NS1_11comp_targetILNS1_3genE2ELNS1_11target_archE906ELNS1_3gpuE6ELNS1_3repE0EEENS1_30default_config_static_selectorELNS0_4arch9wavefront6targetE0EEEvSR_.numbered_sgpr, 0
	.set _ZN7rocprim17ROCPRIM_400000_NS6detail17trampoline_kernelINS0_14default_configENS1_32segmented_reduce_config_selectorIN3c104HalfEEEZNS1_21segmented_reduce_implIS3_PKS6_PS6_PKlS6_N6hipcub16HIPCUB_304000_NS6detail27convert_result_type_wrapperISA_SB_N2at6native12_GLOBAL__N_19CustomMaxEEEEE10hipError_tPvRmT0_T1_jT2_SS_T4_T3_P12ihipStream_tbEUlT_E_NS1_11comp_targetILNS1_3genE2ELNS1_11target_archE906ELNS1_3gpuE6ELNS1_3repE0EEENS1_30default_config_static_selectorELNS0_4arch9wavefront6targetE0EEEvSR_.num_named_barrier, 0
	.set _ZN7rocprim17ROCPRIM_400000_NS6detail17trampoline_kernelINS0_14default_configENS1_32segmented_reduce_config_selectorIN3c104HalfEEEZNS1_21segmented_reduce_implIS3_PKS6_PS6_PKlS6_N6hipcub16HIPCUB_304000_NS6detail27convert_result_type_wrapperISA_SB_N2at6native12_GLOBAL__N_19CustomMaxEEEEE10hipError_tPvRmT0_T1_jT2_SS_T4_T3_P12ihipStream_tbEUlT_E_NS1_11comp_targetILNS1_3genE2ELNS1_11target_archE906ELNS1_3gpuE6ELNS1_3repE0EEENS1_30default_config_static_selectorELNS0_4arch9wavefront6targetE0EEEvSR_.private_seg_size, 0
	.set _ZN7rocprim17ROCPRIM_400000_NS6detail17trampoline_kernelINS0_14default_configENS1_32segmented_reduce_config_selectorIN3c104HalfEEEZNS1_21segmented_reduce_implIS3_PKS6_PS6_PKlS6_N6hipcub16HIPCUB_304000_NS6detail27convert_result_type_wrapperISA_SB_N2at6native12_GLOBAL__N_19CustomMaxEEEEE10hipError_tPvRmT0_T1_jT2_SS_T4_T3_P12ihipStream_tbEUlT_E_NS1_11comp_targetILNS1_3genE2ELNS1_11target_archE906ELNS1_3gpuE6ELNS1_3repE0EEENS1_30default_config_static_selectorELNS0_4arch9wavefront6targetE0EEEvSR_.uses_vcc, 0
	.set _ZN7rocprim17ROCPRIM_400000_NS6detail17trampoline_kernelINS0_14default_configENS1_32segmented_reduce_config_selectorIN3c104HalfEEEZNS1_21segmented_reduce_implIS3_PKS6_PS6_PKlS6_N6hipcub16HIPCUB_304000_NS6detail27convert_result_type_wrapperISA_SB_N2at6native12_GLOBAL__N_19CustomMaxEEEEE10hipError_tPvRmT0_T1_jT2_SS_T4_T3_P12ihipStream_tbEUlT_E_NS1_11comp_targetILNS1_3genE2ELNS1_11target_archE906ELNS1_3gpuE6ELNS1_3repE0EEENS1_30default_config_static_selectorELNS0_4arch9wavefront6targetE0EEEvSR_.uses_flat_scratch, 0
	.set _ZN7rocprim17ROCPRIM_400000_NS6detail17trampoline_kernelINS0_14default_configENS1_32segmented_reduce_config_selectorIN3c104HalfEEEZNS1_21segmented_reduce_implIS3_PKS6_PS6_PKlS6_N6hipcub16HIPCUB_304000_NS6detail27convert_result_type_wrapperISA_SB_N2at6native12_GLOBAL__N_19CustomMaxEEEEE10hipError_tPvRmT0_T1_jT2_SS_T4_T3_P12ihipStream_tbEUlT_E_NS1_11comp_targetILNS1_3genE2ELNS1_11target_archE906ELNS1_3gpuE6ELNS1_3repE0EEENS1_30default_config_static_selectorELNS0_4arch9wavefront6targetE0EEEvSR_.has_dyn_sized_stack, 0
	.set _ZN7rocprim17ROCPRIM_400000_NS6detail17trampoline_kernelINS0_14default_configENS1_32segmented_reduce_config_selectorIN3c104HalfEEEZNS1_21segmented_reduce_implIS3_PKS6_PS6_PKlS6_N6hipcub16HIPCUB_304000_NS6detail27convert_result_type_wrapperISA_SB_N2at6native12_GLOBAL__N_19CustomMaxEEEEE10hipError_tPvRmT0_T1_jT2_SS_T4_T3_P12ihipStream_tbEUlT_E_NS1_11comp_targetILNS1_3genE2ELNS1_11target_archE906ELNS1_3gpuE6ELNS1_3repE0EEENS1_30default_config_static_selectorELNS0_4arch9wavefront6targetE0EEEvSR_.has_recursion, 0
	.set _ZN7rocprim17ROCPRIM_400000_NS6detail17trampoline_kernelINS0_14default_configENS1_32segmented_reduce_config_selectorIN3c104HalfEEEZNS1_21segmented_reduce_implIS3_PKS6_PS6_PKlS6_N6hipcub16HIPCUB_304000_NS6detail27convert_result_type_wrapperISA_SB_N2at6native12_GLOBAL__N_19CustomMaxEEEEE10hipError_tPvRmT0_T1_jT2_SS_T4_T3_P12ihipStream_tbEUlT_E_NS1_11comp_targetILNS1_3genE2ELNS1_11target_archE906ELNS1_3gpuE6ELNS1_3repE0EEENS1_30default_config_static_selectorELNS0_4arch9wavefront6targetE0EEEvSR_.has_indirect_call, 0
	.section	.AMDGPU.csdata,"",@progbits
; Kernel info:
; codeLenInByte = 0
; TotalNumSgprs: 0
; NumVgprs: 0
; ScratchSize: 0
; MemoryBound: 0
; FloatMode: 240
; IeeeMode: 1
; LDSByteSize: 0 bytes/workgroup (compile time only)
; SGPRBlocks: 0
; VGPRBlocks: 0
; NumSGPRsForWavesPerEU: 1
; NumVGPRsForWavesPerEU: 1
; Occupancy: 16
; WaveLimiterHint : 0
; COMPUTE_PGM_RSRC2:SCRATCH_EN: 0
; COMPUTE_PGM_RSRC2:USER_SGPR: 6
; COMPUTE_PGM_RSRC2:TRAP_HANDLER: 0
; COMPUTE_PGM_RSRC2:TGID_X_EN: 1
; COMPUTE_PGM_RSRC2:TGID_Y_EN: 0
; COMPUTE_PGM_RSRC2:TGID_Z_EN: 0
; COMPUTE_PGM_RSRC2:TIDIG_COMP_CNT: 0
	.section	.text._ZN7rocprim17ROCPRIM_400000_NS6detail17trampoline_kernelINS0_14default_configENS1_32segmented_reduce_config_selectorIN3c104HalfEEEZNS1_21segmented_reduce_implIS3_PKS6_PS6_PKlS6_N6hipcub16HIPCUB_304000_NS6detail27convert_result_type_wrapperISA_SB_N2at6native12_GLOBAL__N_19CustomMaxEEEEE10hipError_tPvRmT0_T1_jT2_SS_T4_T3_P12ihipStream_tbEUlT_E_NS1_11comp_targetILNS1_3genE9ELNS1_11target_archE1100ELNS1_3gpuE3ELNS1_3repE0EEENS1_30default_config_static_selectorELNS0_4arch9wavefront6targetE0EEEvSR_,"axG",@progbits,_ZN7rocprim17ROCPRIM_400000_NS6detail17trampoline_kernelINS0_14default_configENS1_32segmented_reduce_config_selectorIN3c104HalfEEEZNS1_21segmented_reduce_implIS3_PKS6_PS6_PKlS6_N6hipcub16HIPCUB_304000_NS6detail27convert_result_type_wrapperISA_SB_N2at6native12_GLOBAL__N_19CustomMaxEEEEE10hipError_tPvRmT0_T1_jT2_SS_T4_T3_P12ihipStream_tbEUlT_E_NS1_11comp_targetILNS1_3genE9ELNS1_11target_archE1100ELNS1_3gpuE3ELNS1_3repE0EEENS1_30default_config_static_selectorELNS0_4arch9wavefront6targetE0EEEvSR_,comdat
	.globl	_ZN7rocprim17ROCPRIM_400000_NS6detail17trampoline_kernelINS0_14default_configENS1_32segmented_reduce_config_selectorIN3c104HalfEEEZNS1_21segmented_reduce_implIS3_PKS6_PS6_PKlS6_N6hipcub16HIPCUB_304000_NS6detail27convert_result_type_wrapperISA_SB_N2at6native12_GLOBAL__N_19CustomMaxEEEEE10hipError_tPvRmT0_T1_jT2_SS_T4_T3_P12ihipStream_tbEUlT_E_NS1_11comp_targetILNS1_3genE9ELNS1_11target_archE1100ELNS1_3gpuE3ELNS1_3repE0EEENS1_30default_config_static_selectorELNS0_4arch9wavefront6targetE0EEEvSR_ ; -- Begin function _ZN7rocprim17ROCPRIM_400000_NS6detail17trampoline_kernelINS0_14default_configENS1_32segmented_reduce_config_selectorIN3c104HalfEEEZNS1_21segmented_reduce_implIS3_PKS6_PS6_PKlS6_N6hipcub16HIPCUB_304000_NS6detail27convert_result_type_wrapperISA_SB_N2at6native12_GLOBAL__N_19CustomMaxEEEEE10hipError_tPvRmT0_T1_jT2_SS_T4_T3_P12ihipStream_tbEUlT_E_NS1_11comp_targetILNS1_3genE9ELNS1_11target_archE1100ELNS1_3gpuE3ELNS1_3repE0EEENS1_30default_config_static_selectorELNS0_4arch9wavefront6targetE0EEEvSR_
	.p2align	8
	.type	_ZN7rocprim17ROCPRIM_400000_NS6detail17trampoline_kernelINS0_14default_configENS1_32segmented_reduce_config_selectorIN3c104HalfEEEZNS1_21segmented_reduce_implIS3_PKS6_PS6_PKlS6_N6hipcub16HIPCUB_304000_NS6detail27convert_result_type_wrapperISA_SB_N2at6native12_GLOBAL__N_19CustomMaxEEEEE10hipError_tPvRmT0_T1_jT2_SS_T4_T3_P12ihipStream_tbEUlT_E_NS1_11comp_targetILNS1_3genE9ELNS1_11target_archE1100ELNS1_3gpuE3ELNS1_3repE0EEENS1_30default_config_static_selectorELNS0_4arch9wavefront6targetE0EEEvSR_,@function
_ZN7rocprim17ROCPRIM_400000_NS6detail17trampoline_kernelINS0_14default_configENS1_32segmented_reduce_config_selectorIN3c104HalfEEEZNS1_21segmented_reduce_implIS3_PKS6_PS6_PKlS6_N6hipcub16HIPCUB_304000_NS6detail27convert_result_type_wrapperISA_SB_N2at6native12_GLOBAL__N_19CustomMaxEEEEE10hipError_tPvRmT0_T1_jT2_SS_T4_T3_P12ihipStream_tbEUlT_E_NS1_11comp_targetILNS1_3genE9ELNS1_11target_archE1100ELNS1_3gpuE3ELNS1_3repE0EEENS1_30default_config_static_selectorELNS0_4arch9wavefront6targetE0EEEvSR_: ; @_ZN7rocprim17ROCPRIM_400000_NS6detail17trampoline_kernelINS0_14default_configENS1_32segmented_reduce_config_selectorIN3c104HalfEEEZNS1_21segmented_reduce_implIS3_PKS6_PS6_PKlS6_N6hipcub16HIPCUB_304000_NS6detail27convert_result_type_wrapperISA_SB_N2at6native12_GLOBAL__N_19CustomMaxEEEEE10hipError_tPvRmT0_T1_jT2_SS_T4_T3_P12ihipStream_tbEUlT_E_NS1_11comp_targetILNS1_3genE9ELNS1_11target_archE1100ELNS1_3gpuE3ELNS1_3repE0EEENS1_30default_config_static_selectorELNS0_4arch9wavefront6targetE0EEEvSR_
; %bb.0:
	.section	.rodata,"a",@progbits
	.p2align	6, 0x0
	.amdhsa_kernel _ZN7rocprim17ROCPRIM_400000_NS6detail17trampoline_kernelINS0_14default_configENS1_32segmented_reduce_config_selectorIN3c104HalfEEEZNS1_21segmented_reduce_implIS3_PKS6_PS6_PKlS6_N6hipcub16HIPCUB_304000_NS6detail27convert_result_type_wrapperISA_SB_N2at6native12_GLOBAL__N_19CustomMaxEEEEE10hipError_tPvRmT0_T1_jT2_SS_T4_T3_P12ihipStream_tbEUlT_E_NS1_11comp_targetILNS1_3genE9ELNS1_11target_archE1100ELNS1_3gpuE3ELNS1_3repE0EEENS1_30default_config_static_selectorELNS0_4arch9wavefront6targetE0EEEvSR_
		.amdhsa_group_segment_fixed_size 0
		.amdhsa_private_segment_fixed_size 0
		.amdhsa_kernarg_size 48
		.amdhsa_user_sgpr_count 6
		.amdhsa_user_sgpr_private_segment_buffer 1
		.amdhsa_user_sgpr_dispatch_ptr 0
		.amdhsa_user_sgpr_queue_ptr 0
		.amdhsa_user_sgpr_kernarg_segment_ptr 1
		.amdhsa_user_sgpr_dispatch_id 0
		.amdhsa_user_sgpr_flat_scratch_init 0
		.amdhsa_user_sgpr_private_segment_size 0
		.amdhsa_wavefront_size32 1
		.amdhsa_uses_dynamic_stack 0
		.amdhsa_system_sgpr_private_segment_wavefront_offset 0
		.amdhsa_system_sgpr_workgroup_id_x 1
		.amdhsa_system_sgpr_workgroup_id_y 0
		.amdhsa_system_sgpr_workgroup_id_z 0
		.amdhsa_system_sgpr_workgroup_info 0
		.amdhsa_system_vgpr_workitem_id 0
		.amdhsa_next_free_vgpr 1
		.amdhsa_next_free_sgpr 1
		.amdhsa_reserve_vcc 0
		.amdhsa_reserve_flat_scratch 0
		.amdhsa_float_round_mode_32 0
		.amdhsa_float_round_mode_16_64 0
		.amdhsa_float_denorm_mode_32 3
		.amdhsa_float_denorm_mode_16_64 3
		.amdhsa_dx10_clamp 1
		.amdhsa_ieee_mode 1
		.amdhsa_fp16_overflow 0
		.amdhsa_workgroup_processor_mode 1
		.amdhsa_memory_ordered 1
		.amdhsa_forward_progress 1
		.amdhsa_shared_vgpr_count 0
		.amdhsa_exception_fp_ieee_invalid_op 0
		.amdhsa_exception_fp_denorm_src 0
		.amdhsa_exception_fp_ieee_div_zero 0
		.amdhsa_exception_fp_ieee_overflow 0
		.amdhsa_exception_fp_ieee_underflow 0
		.amdhsa_exception_fp_ieee_inexact 0
		.amdhsa_exception_int_div_zero 0
	.end_amdhsa_kernel
	.section	.text._ZN7rocprim17ROCPRIM_400000_NS6detail17trampoline_kernelINS0_14default_configENS1_32segmented_reduce_config_selectorIN3c104HalfEEEZNS1_21segmented_reduce_implIS3_PKS6_PS6_PKlS6_N6hipcub16HIPCUB_304000_NS6detail27convert_result_type_wrapperISA_SB_N2at6native12_GLOBAL__N_19CustomMaxEEEEE10hipError_tPvRmT0_T1_jT2_SS_T4_T3_P12ihipStream_tbEUlT_E_NS1_11comp_targetILNS1_3genE9ELNS1_11target_archE1100ELNS1_3gpuE3ELNS1_3repE0EEENS1_30default_config_static_selectorELNS0_4arch9wavefront6targetE0EEEvSR_,"axG",@progbits,_ZN7rocprim17ROCPRIM_400000_NS6detail17trampoline_kernelINS0_14default_configENS1_32segmented_reduce_config_selectorIN3c104HalfEEEZNS1_21segmented_reduce_implIS3_PKS6_PS6_PKlS6_N6hipcub16HIPCUB_304000_NS6detail27convert_result_type_wrapperISA_SB_N2at6native12_GLOBAL__N_19CustomMaxEEEEE10hipError_tPvRmT0_T1_jT2_SS_T4_T3_P12ihipStream_tbEUlT_E_NS1_11comp_targetILNS1_3genE9ELNS1_11target_archE1100ELNS1_3gpuE3ELNS1_3repE0EEENS1_30default_config_static_selectorELNS0_4arch9wavefront6targetE0EEEvSR_,comdat
.Lfunc_end219:
	.size	_ZN7rocprim17ROCPRIM_400000_NS6detail17trampoline_kernelINS0_14default_configENS1_32segmented_reduce_config_selectorIN3c104HalfEEEZNS1_21segmented_reduce_implIS3_PKS6_PS6_PKlS6_N6hipcub16HIPCUB_304000_NS6detail27convert_result_type_wrapperISA_SB_N2at6native12_GLOBAL__N_19CustomMaxEEEEE10hipError_tPvRmT0_T1_jT2_SS_T4_T3_P12ihipStream_tbEUlT_E_NS1_11comp_targetILNS1_3genE9ELNS1_11target_archE1100ELNS1_3gpuE3ELNS1_3repE0EEENS1_30default_config_static_selectorELNS0_4arch9wavefront6targetE0EEEvSR_, .Lfunc_end219-_ZN7rocprim17ROCPRIM_400000_NS6detail17trampoline_kernelINS0_14default_configENS1_32segmented_reduce_config_selectorIN3c104HalfEEEZNS1_21segmented_reduce_implIS3_PKS6_PS6_PKlS6_N6hipcub16HIPCUB_304000_NS6detail27convert_result_type_wrapperISA_SB_N2at6native12_GLOBAL__N_19CustomMaxEEEEE10hipError_tPvRmT0_T1_jT2_SS_T4_T3_P12ihipStream_tbEUlT_E_NS1_11comp_targetILNS1_3genE9ELNS1_11target_archE1100ELNS1_3gpuE3ELNS1_3repE0EEENS1_30default_config_static_selectorELNS0_4arch9wavefront6targetE0EEEvSR_
                                        ; -- End function
	.set _ZN7rocprim17ROCPRIM_400000_NS6detail17trampoline_kernelINS0_14default_configENS1_32segmented_reduce_config_selectorIN3c104HalfEEEZNS1_21segmented_reduce_implIS3_PKS6_PS6_PKlS6_N6hipcub16HIPCUB_304000_NS6detail27convert_result_type_wrapperISA_SB_N2at6native12_GLOBAL__N_19CustomMaxEEEEE10hipError_tPvRmT0_T1_jT2_SS_T4_T3_P12ihipStream_tbEUlT_E_NS1_11comp_targetILNS1_3genE9ELNS1_11target_archE1100ELNS1_3gpuE3ELNS1_3repE0EEENS1_30default_config_static_selectorELNS0_4arch9wavefront6targetE0EEEvSR_.num_vgpr, 0
	.set _ZN7rocprim17ROCPRIM_400000_NS6detail17trampoline_kernelINS0_14default_configENS1_32segmented_reduce_config_selectorIN3c104HalfEEEZNS1_21segmented_reduce_implIS3_PKS6_PS6_PKlS6_N6hipcub16HIPCUB_304000_NS6detail27convert_result_type_wrapperISA_SB_N2at6native12_GLOBAL__N_19CustomMaxEEEEE10hipError_tPvRmT0_T1_jT2_SS_T4_T3_P12ihipStream_tbEUlT_E_NS1_11comp_targetILNS1_3genE9ELNS1_11target_archE1100ELNS1_3gpuE3ELNS1_3repE0EEENS1_30default_config_static_selectorELNS0_4arch9wavefront6targetE0EEEvSR_.num_agpr, 0
	.set _ZN7rocprim17ROCPRIM_400000_NS6detail17trampoline_kernelINS0_14default_configENS1_32segmented_reduce_config_selectorIN3c104HalfEEEZNS1_21segmented_reduce_implIS3_PKS6_PS6_PKlS6_N6hipcub16HIPCUB_304000_NS6detail27convert_result_type_wrapperISA_SB_N2at6native12_GLOBAL__N_19CustomMaxEEEEE10hipError_tPvRmT0_T1_jT2_SS_T4_T3_P12ihipStream_tbEUlT_E_NS1_11comp_targetILNS1_3genE9ELNS1_11target_archE1100ELNS1_3gpuE3ELNS1_3repE0EEENS1_30default_config_static_selectorELNS0_4arch9wavefront6targetE0EEEvSR_.numbered_sgpr, 0
	.set _ZN7rocprim17ROCPRIM_400000_NS6detail17trampoline_kernelINS0_14default_configENS1_32segmented_reduce_config_selectorIN3c104HalfEEEZNS1_21segmented_reduce_implIS3_PKS6_PS6_PKlS6_N6hipcub16HIPCUB_304000_NS6detail27convert_result_type_wrapperISA_SB_N2at6native12_GLOBAL__N_19CustomMaxEEEEE10hipError_tPvRmT0_T1_jT2_SS_T4_T3_P12ihipStream_tbEUlT_E_NS1_11comp_targetILNS1_3genE9ELNS1_11target_archE1100ELNS1_3gpuE3ELNS1_3repE0EEENS1_30default_config_static_selectorELNS0_4arch9wavefront6targetE0EEEvSR_.num_named_barrier, 0
	.set _ZN7rocprim17ROCPRIM_400000_NS6detail17trampoline_kernelINS0_14default_configENS1_32segmented_reduce_config_selectorIN3c104HalfEEEZNS1_21segmented_reduce_implIS3_PKS6_PS6_PKlS6_N6hipcub16HIPCUB_304000_NS6detail27convert_result_type_wrapperISA_SB_N2at6native12_GLOBAL__N_19CustomMaxEEEEE10hipError_tPvRmT0_T1_jT2_SS_T4_T3_P12ihipStream_tbEUlT_E_NS1_11comp_targetILNS1_3genE9ELNS1_11target_archE1100ELNS1_3gpuE3ELNS1_3repE0EEENS1_30default_config_static_selectorELNS0_4arch9wavefront6targetE0EEEvSR_.private_seg_size, 0
	.set _ZN7rocprim17ROCPRIM_400000_NS6detail17trampoline_kernelINS0_14default_configENS1_32segmented_reduce_config_selectorIN3c104HalfEEEZNS1_21segmented_reduce_implIS3_PKS6_PS6_PKlS6_N6hipcub16HIPCUB_304000_NS6detail27convert_result_type_wrapperISA_SB_N2at6native12_GLOBAL__N_19CustomMaxEEEEE10hipError_tPvRmT0_T1_jT2_SS_T4_T3_P12ihipStream_tbEUlT_E_NS1_11comp_targetILNS1_3genE9ELNS1_11target_archE1100ELNS1_3gpuE3ELNS1_3repE0EEENS1_30default_config_static_selectorELNS0_4arch9wavefront6targetE0EEEvSR_.uses_vcc, 0
	.set _ZN7rocprim17ROCPRIM_400000_NS6detail17trampoline_kernelINS0_14default_configENS1_32segmented_reduce_config_selectorIN3c104HalfEEEZNS1_21segmented_reduce_implIS3_PKS6_PS6_PKlS6_N6hipcub16HIPCUB_304000_NS6detail27convert_result_type_wrapperISA_SB_N2at6native12_GLOBAL__N_19CustomMaxEEEEE10hipError_tPvRmT0_T1_jT2_SS_T4_T3_P12ihipStream_tbEUlT_E_NS1_11comp_targetILNS1_3genE9ELNS1_11target_archE1100ELNS1_3gpuE3ELNS1_3repE0EEENS1_30default_config_static_selectorELNS0_4arch9wavefront6targetE0EEEvSR_.uses_flat_scratch, 0
	.set _ZN7rocprim17ROCPRIM_400000_NS6detail17trampoline_kernelINS0_14default_configENS1_32segmented_reduce_config_selectorIN3c104HalfEEEZNS1_21segmented_reduce_implIS3_PKS6_PS6_PKlS6_N6hipcub16HIPCUB_304000_NS6detail27convert_result_type_wrapperISA_SB_N2at6native12_GLOBAL__N_19CustomMaxEEEEE10hipError_tPvRmT0_T1_jT2_SS_T4_T3_P12ihipStream_tbEUlT_E_NS1_11comp_targetILNS1_3genE9ELNS1_11target_archE1100ELNS1_3gpuE3ELNS1_3repE0EEENS1_30default_config_static_selectorELNS0_4arch9wavefront6targetE0EEEvSR_.has_dyn_sized_stack, 0
	.set _ZN7rocprim17ROCPRIM_400000_NS6detail17trampoline_kernelINS0_14default_configENS1_32segmented_reduce_config_selectorIN3c104HalfEEEZNS1_21segmented_reduce_implIS3_PKS6_PS6_PKlS6_N6hipcub16HIPCUB_304000_NS6detail27convert_result_type_wrapperISA_SB_N2at6native12_GLOBAL__N_19CustomMaxEEEEE10hipError_tPvRmT0_T1_jT2_SS_T4_T3_P12ihipStream_tbEUlT_E_NS1_11comp_targetILNS1_3genE9ELNS1_11target_archE1100ELNS1_3gpuE3ELNS1_3repE0EEENS1_30default_config_static_selectorELNS0_4arch9wavefront6targetE0EEEvSR_.has_recursion, 0
	.set _ZN7rocprim17ROCPRIM_400000_NS6detail17trampoline_kernelINS0_14default_configENS1_32segmented_reduce_config_selectorIN3c104HalfEEEZNS1_21segmented_reduce_implIS3_PKS6_PS6_PKlS6_N6hipcub16HIPCUB_304000_NS6detail27convert_result_type_wrapperISA_SB_N2at6native12_GLOBAL__N_19CustomMaxEEEEE10hipError_tPvRmT0_T1_jT2_SS_T4_T3_P12ihipStream_tbEUlT_E_NS1_11comp_targetILNS1_3genE9ELNS1_11target_archE1100ELNS1_3gpuE3ELNS1_3repE0EEENS1_30default_config_static_selectorELNS0_4arch9wavefront6targetE0EEEvSR_.has_indirect_call, 0
	.section	.AMDGPU.csdata,"",@progbits
; Kernel info:
; codeLenInByte = 0
; TotalNumSgprs: 0
; NumVgprs: 0
; ScratchSize: 0
; MemoryBound: 0
; FloatMode: 240
; IeeeMode: 1
; LDSByteSize: 0 bytes/workgroup (compile time only)
; SGPRBlocks: 0
; VGPRBlocks: 0
; NumSGPRsForWavesPerEU: 1
; NumVGPRsForWavesPerEU: 1
; Occupancy: 16
; WaveLimiterHint : 0
; COMPUTE_PGM_RSRC2:SCRATCH_EN: 0
; COMPUTE_PGM_RSRC2:USER_SGPR: 6
; COMPUTE_PGM_RSRC2:TRAP_HANDLER: 0
; COMPUTE_PGM_RSRC2:TGID_X_EN: 1
; COMPUTE_PGM_RSRC2:TGID_Y_EN: 0
; COMPUTE_PGM_RSRC2:TGID_Z_EN: 0
; COMPUTE_PGM_RSRC2:TIDIG_COMP_CNT: 0
	.section	.text._ZN7rocprim17ROCPRIM_400000_NS6detail17trampoline_kernelINS0_14default_configENS1_32segmented_reduce_config_selectorIN3c104HalfEEEZNS1_21segmented_reduce_implIS3_PKS6_PS6_PKlS6_N6hipcub16HIPCUB_304000_NS6detail27convert_result_type_wrapperISA_SB_N2at6native12_GLOBAL__N_19CustomMaxEEEEE10hipError_tPvRmT0_T1_jT2_SS_T4_T3_P12ihipStream_tbEUlT_E_NS1_11comp_targetILNS1_3genE8ELNS1_11target_archE1030ELNS1_3gpuE2ELNS1_3repE0EEENS1_30default_config_static_selectorELNS0_4arch9wavefront6targetE0EEEvSR_,"axG",@progbits,_ZN7rocprim17ROCPRIM_400000_NS6detail17trampoline_kernelINS0_14default_configENS1_32segmented_reduce_config_selectorIN3c104HalfEEEZNS1_21segmented_reduce_implIS3_PKS6_PS6_PKlS6_N6hipcub16HIPCUB_304000_NS6detail27convert_result_type_wrapperISA_SB_N2at6native12_GLOBAL__N_19CustomMaxEEEEE10hipError_tPvRmT0_T1_jT2_SS_T4_T3_P12ihipStream_tbEUlT_E_NS1_11comp_targetILNS1_3genE8ELNS1_11target_archE1030ELNS1_3gpuE2ELNS1_3repE0EEENS1_30default_config_static_selectorELNS0_4arch9wavefront6targetE0EEEvSR_,comdat
	.globl	_ZN7rocprim17ROCPRIM_400000_NS6detail17trampoline_kernelINS0_14default_configENS1_32segmented_reduce_config_selectorIN3c104HalfEEEZNS1_21segmented_reduce_implIS3_PKS6_PS6_PKlS6_N6hipcub16HIPCUB_304000_NS6detail27convert_result_type_wrapperISA_SB_N2at6native12_GLOBAL__N_19CustomMaxEEEEE10hipError_tPvRmT0_T1_jT2_SS_T4_T3_P12ihipStream_tbEUlT_E_NS1_11comp_targetILNS1_3genE8ELNS1_11target_archE1030ELNS1_3gpuE2ELNS1_3repE0EEENS1_30default_config_static_selectorELNS0_4arch9wavefront6targetE0EEEvSR_ ; -- Begin function _ZN7rocprim17ROCPRIM_400000_NS6detail17trampoline_kernelINS0_14default_configENS1_32segmented_reduce_config_selectorIN3c104HalfEEEZNS1_21segmented_reduce_implIS3_PKS6_PS6_PKlS6_N6hipcub16HIPCUB_304000_NS6detail27convert_result_type_wrapperISA_SB_N2at6native12_GLOBAL__N_19CustomMaxEEEEE10hipError_tPvRmT0_T1_jT2_SS_T4_T3_P12ihipStream_tbEUlT_E_NS1_11comp_targetILNS1_3genE8ELNS1_11target_archE1030ELNS1_3gpuE2ELNS1_3repE0EEENS1_30default_config_static_selectorELNS0_4arch9wavefront6targetE0EEEvSR_
	.p2align	8
	.type	_ZN7rocprim17ROCPRIM_400000_NS6detail17trampoline_kernelINS0_14default_configENS1_32segmented_reduce_config_selectorIN3c104HalfEEEZNS1_21segmented_reduce_implIS3_PKS6_PS6_PKlS6_N6hipcub16HIPCUB_304000_NS6detail27convert_result_type_wrapperISA_SB_N2at6native12_GLOBAL__N_19CustomMaxEEEEE10hipError_tPvRmT0_T1_jT2_SS_T4_T3_P12ihipStream_tbEUlT_E_NS1_11comp_targetILNS1_3genE8ELNS1_11target_archE1030ELNS1_3gpuE2ELNS1_3repE0EEENS1_30default_config_static_selectorELNS0_4arch9wavefront6targetE0EEEvSR_,@function
_ZN7rocprim17ROCPRIM_400000_NS6detail17trampoline_kernelINS0_14default_configENS1_32segmented_reduce_config_selectorIN3c104HalfEEEZNS1_21segmented_reduce_implIS3_PKS6_PS6_PKlS6_N6hipcub16HIPCUB_304000_NS6detail27convert_result_type_wrapperISA_SB_N2at6native12_GLOBAL__N_19CustomMaxEEEEE10hipError_tPvRmT0_T1_jT2_SS_T4_T3_P12ihipStream_tbEUlT_E_NS1_11comp_targetILNS1_3genE8ELNS1_11target_archE1030ELNS1_3gpuE2ELNS1_3repE0EEENS1_30default_config_static_selectorELNS0_4arch9wavefront6targetE0EEEvSR_: ; @_ZN7rocprim17ROCPRIM_400000_NS6detail17trampoline_kernelINS0_14default_configENS1_32segmented_reduce_config_selectorIN3c104HalfEEEZNS1_21segmented_reduce_implIS3_PKS6_PS6_PKlS6_N6hipcub16HIPCUB_304000_NS6detail27convert_result_type_wrapperISA_SB_N2at6native12_GLOBAL__N_19CustomMaxEEEEE10hipError_tPvRmT0_T1_jT2_SS_T4_T3_P12ihipStream_tbEUlT_E_NS1_11comp_targetILNS1_3genE8ELNS1_11target_archE1030ELNS1_3gpuE2ELNS1_3repE0EEENS1_30default_config_static_selectorELNS0_4arch9wavefront6targetE0EEEvSR_
; %bb.0:
	s_clause 0x2
	s_load_dwordx8 s[12:19], s[4:5], 0x0
	s_load_dword s8, s[4:5], 0x28
	s_load_dwordx2 s[0:1], s[4:5], 0x20
	s_mov_b32 s7, 0
	s_mov_b32 s22, s7
	s_waitcnt lgkmcnt(0)
	s_lshl_b64 s[2:3], s[16:17], 3
	s_lshr_b32 s9, s8, 16
	s_add_u32 s4, s18, s2
	s_addc_u32 s5, s19, s3
	s_add_u32 s8, s0, s2
	s_addc_u32 s10, s1, s3
	s_lshl_b64 s[0:1], s[6:7], 3
	s_add_u32 s2, s4, s0
	s_addc_u32 s3, s5, s1
	s_add_u32 s0, s8, s0
	s_addc_u32 s1, s10, s1
	s_load_dwordx2 s[18:19], s[2:3], 0x0
	s_load_dwordx2 s[10:11], s[0:1], 0x0
	s_mov_b32 s1, -1
	s_waitcnt lgkmcnt(0)
	v_cmp_gt_i64_e64 s0, s[10:11], s[18:19]
	s_and_b32 vcc_lo, exec_lo, s0
	v_cmp_eq_u32_e64 s0, 0, v0
	s_cbranch_vccnz .LBB220_2
; %bb.1:
	s_mov_b32 s1, 0
	s_and_b32 s22, s0, exec_lo
.LBB220_2:
	s_andn2_b32 vcc_lo, exec_lo, s1
	s_cbranch_vccnz .LBB220_68
; %bb.3:
	s_add_u32 s0, s18, 0x800
	s_addc_u32 s1, s19, 0
	v_cmp_le_i64_e64 s2, s[0:1], s[10:11]
	s_and_b32 vcc_lo, exec_lo, s2
	s_cbranch_vccz .LBB220_69
; %bb.4:
	v_lshlrev_b32_e32 v12, 1, v0
	s_lshl_b64 s[2:3], s[18:19], 1
	s_add_u32 s4, s12, s2
	s_addc_u32 s5, s13, s3
	v_add_co_u32 v1, s8, s4, v12
	v_add_co_ci_u32_e64 v2, null, s5, 0, s8
	v_add_co_u32 v1, vcc_lo, 0x800, v1
	v_add_co_ci_u32_e64 v2, null, 0, v2, vcc_lo
	s_clause 0x7
	global_load_ushort v11, v12, s[4:5]
	global_load_ushort v10, v12, s[4:5] offset:512
	global_load_ushort v9, v12, s[4:5] offset:1024
	;; [unrolled: 1-line block ×3, first 2 shown]
	global_load_ushort v7, v[1:2], off
	global_load_ushort v5, v[1:2], off offset:512
	global_load_ushort v4, v[1:2], off offset:1024
	;; [unrolled: 1-line block ×3, first 2 shown]
	s_mov_b32 s4, exec_lo
	s_waitcnt vmcnt(7)
	v_mov_b32_e32 v6, v11
	v_cmpx_o_f16_e32 v11, v11
	s_cbranch_execz .LBB220_8
; %bb.5:
	s_waitcnt vmcnt(6)
	v_mov_b32_e32 v6, v10
	s_mov_b32 s5, exec_lo
	v_cmpx_o_f16_e32 v10, v10
; %bb.6:
	v_cmp_gt_f16_e32 vcc_lo, v10, v11
	v_cndmask_b32_e32 v6, v11, v10, vcc_lo
; %bb.7:
	s_or_b32 exec_lo, exec_lo, s5
.LBB220_8:
	s_or_b32 exec_lo, exec_lo, s4
	s_mov_b32 s4, exec_lo
	v_cmpx_o_f16_e32 v6, v6
	s_cbranch_execz .LBB220_12
; %bb.9:
	s_waitcnt vmcnt(5)
	v_mov_b32_e32 v1, v9
	s_mov_b32 s5, exec_lo
	v_cmpx_o_f16_e32 v9, v9
; %bb.10:
	v_cmp_lt_f16_e32 vcc_lo, v6, v9
	v_cndmask_b32_e32 v1, v6, v9, vcc_lo
; %bb.11:
	s_or_b32 exec_lo, exec_lo, s5
	v_mov_b32_e32 v6, v1
.LBB220_12:
	s_or_b32 exec_lo, exec_lo, s4
	s_mov_b32 s4, exec_lo
	v_cmpx_o_f16_e32 v6, v6
	s_cbranch_execz .LBB220_16
; %bb.13:
	s_waitcnt vmcnt(4)
	v_mov_b32_e32 v1, v8
	s_mov_b32 s5, exec_lo
	v_cmpx_o_f16_e32 v8, v8
; %bb.14:
	v_cmp_lt_f16_e32 vcc_lo, v6, v8
	v_cndmask_b32_e32 v1, v6, v8, vcc_lo
; %bb.15:
	s_or_b32 exec_lo, exec_lo, s5
	v_mov_b32_e32 v6, v1
.LBB220_16:
	;; [unrolled: 16-line block ×6, first 2 shown]
	s_or_b32 exec_lo, exec_lo, s4
	s_add_u32 s4, s18, 0x1000
	s_addc_u32 s5, s19, 0
	v_cmp_ge_i64_e64 s4, s[4:5], s[10:11]
	s_and_b32 vcc_lo, exec_lo, s4
	s_cbranch_vccnz .LBB220_70
; %bb.33:
	s_add_u32 s2, s12, s2
	s_addc_u32 s3, s13, s3
	v_add_co_u32 v1, s2, s2, v12
	v_add_co_ci_u32_e64 v2, null, s3, 0, s2
	v_add_co_u32 v1, vcc_lo, 0x1000, v1
	v_add_co_ci_u32_e64 v2, null, 0, v2, vcc_lo
.LBB220_34:                             ; =>This Inner Loop Header: Depth=1
	v_add_co_u32 v13, vcc_lo, 0x800, v1
	v_add_co_ci_u32_e64 v14, null, 0, v2, vcc_lo
	s_clause 0x7
	global_load_ushort v11, v[1:2], off
	global_load_ushort v10, v[1:2], off offset:512
	global_load_ushort v9, v[1:2], off offset:1024
	;; [unrolled: 1-line block ×3, first 2 shown]
	global_load_ushort v7, v[13:14], off
	global_load_ushort v5, v[13:14], off offset:512
	global_load_ushort v4, v[13:14], off offset:1024
	;; [unrolled: 1-line block ×3, first 2 shown]
	v_mov_b32_e32 v13, v6
	s_mov_b32 s2, exec_lo
	v_cmpx_o_f16_e32 v6, v6
	s_cbranch_execz .LBB220_38
; %bb.35:                               ;   in Loop: Header=BB220_34 Depth=1
	s_waitcnt vmcnt(7)
	v_mov_b32_e32 v13, v11
	s_mov_b32 s3, exec_lo
	v_cmpx_o_f16_e32 v11, v11
; %bb.36:                               ;   in Loop: Header=BB220_34 Depth=1
	v_cmp_gt_f16_e32 vcc_lo, v11, v6
	v_cndmask_b32_e32 v13, v6, v11, vcc_lo
; %bb.37:                               ;   in Loop: Header=BB220_34 Depth=1
	s_or_b32 exec_lo, exec_lo, s3
	v_mov_b32_e32 v6, v13
.LBB220_38:                             ;   in Loop: Header=BB220_34 Depth=1
	s_or_b32 exec_lo, exec_lo, s2
	s_mov_b32 s2, exec_lo
	v_cmpx_o_f16_e32 v13, v13
	s_cbranch_execz .LBB220_42
; %bb.39:                               ;   in Loop: Header=BB220_34 Depth=1
	s_waitcnt vmcnt(6)
	v_mov_b32_e32 v14, v10
	s_mov_b32 s3, exec_lo
	v_cmpx_o_f16_e32 v10, v10
; %bb.40:                               ;   in Loop: Header=BB220_34 Depth=1
	v_cmp_lt_f16_e32 vcc_lo, v13, v10
	v_cndmask_b32_e32 v14, v6, v10, vcc_lo
; %bb.41:                               ;   in Loop: Header=BB220_34 Depth=1
	s_or_b32 exec_lo, exec_lo, s3
	v_mov_b32_e32 v13, v14
	v_mov_b32_e32 v6, v14
.LBB220_42:                             ;   in Loop: Header=BB220_34 Depth=1
	s_or_b32 exec_lo, exec_lo, s2
	s_mov_b32 s2, exec_lo
	v_cmpx_o_f16_e32 v13, v13
	s_cbranch_execz .LBB220_46
; %bb.43:                               ;   in Loop: Header=BB220_34 Depth=1
	s_waitcnt vmcnt(5)
	v_mov_b32_e32 v14, v9
	s_mov_b32 s3, exec_lo
	v_cmpx_o_f16_e32 v9, v9
; %bb.44:                               ;   in Loop: Header=BB220_34 Depth=1
	v_cmp_lt_f16_e32 vcc_lo, v13, v9
	v_cndmask_b32_e32 v14, v6, v9, vcc_lo
; %bb.45:                               ;   in Loop: Header=BB220_34 Depth=1
	s_or_b32 exec_lo, exec_lo, s3
	v_mov_b32_e32 v13, v14
	v_mov_b32_e32 v6, v14
.LBB220_46:                             ;   in Loop: Header=BB220_34 Depth=1
	s_or_b32 exec_lo, exec_lo, s2
	s_mov_b32 s2, exec_lo
	v_cmpx_o_f16_e32 v13, v13
	s_cbranch_execz .LBB220_50
; %bb.47:                               ;   in Loop: Header=BB220_34 Depth=1
	s_waitcnt vmcnt(4)
	v_mov_b32_e32 v14, v8
	s_mov_b32 s3, exec_lo
	v_cmpx_o_f16_e32 v8, v8
; %bb.48:                               ;   in Loop: Header=BB220_34 Depth=1
	v_cmp_lt_f16_e32 vcc_lo, v13, v8
	v_cndmask_b32_e32 v14, v6, v8, vcc_lo
; %bb.49:                               ;   in Loop: Header=BB220_34 Depth=1
	s_or_b32 exec_lo, exec_lo, s3
	v_mov_b32_e32 v13, v14
	v_mov_b32_e32 v6, v14
.LBB220_50:                             ;   in Loop: Header=BB220_34 Depth=1
	s_or_b32 exec_lo, exec_lo, s2
	s_mov_b32 s2, exec_lo
	v_cmpx_o_f16_e32 v13, v13
	s_cbranch_execz .LBB220_54
; %bb.51:                               ;   in Loop: Header=BB220_34 Depth=1
	s_waitcnt vmcnt(3)
	v_mov_b32_e32 v14, v7
	s_mov_b32 s3, exec_lo
	v_cmpx_o_f16_e32 v7, v7
; %bb.52:                               ;   in Loop: Header=BB220_34 Depth=1
	v_cmp_lt_f16_e32 vcc_lo, v13, v7
	v_cndmask_b32_e32 v14, v6, v7, vcc_lo
; %bb.53:                               ;   in Loop: Header=BB220_34 Depth=1
	s_or_b32 exec_lo, exec_lo, s3
	v_mov_b32_e32 v13, v14
	v_mov_b32_e32 v6, v14
.LBB220_54:                             ;   in Loop: Header=BB220_34 Depth=1
	s_or_b32 exec_lo, exec_lo, s2
	s_mov_b32 s2, exec_lo
	v_cmpx_o_f16_e32 v13, v13
	s_cbranch_execz .LBB220_58
; %bb.55:                               ;   in Loop: Header=BB220_34 Depth=1
	s_waitcnt vmcnt(2)
	v_mov_b32_e32 v14, v5
	s_mov_b32 s3, exec_lo
	v_cmpx_o_f16_e32 v5, v5
; %bb.56:                               ;   in Loop: Header=BB220_34 Depth=1
	v_cmp_lt_f16_e32 vcc_lo, v13, v5
	v_cndmask_b32_e32 v14, v6, v5, vcc_lo
; %bb.57:                               ;   in Loop: Header=BB220_34 Depth=1
	s_or_b32 exec_lo, exec_lo, s3
	v_mov_b32_e32 v13, v14
	v_mov_b32_e32 v6, v14
.LBB220_58:                             ;   in Loop: Header=BB220_34 Depth=1
	s_or_b32 exec_lo, exec_lo, s2
	s_mov_b32 s2, exec_lo
	v_cmpx_o_f16_e32 v13, v13
	s_cbranch_execz .LBB220_62
; %bb.59:                               ;   in Loop: Header=BB220_34 Depth=1
	s_waitcnt vmcnt(1)
	v_mov_b32_e32 v14, v4
	s_mov_b32 s3, exec_lo
	v_cmpx_o_f16_e32 v4, v4
; %bb.60:                               ;   in Loop: Header=BB220_34 Depth=1
	v_cmp_lt_f16_e32 vcc_lo, v13, v4
	v_cndmask_b32_e32 v14, v6, v4, vcc_lo
; %bb.61:                               ;   in Loop: Header=BB220_34 Depth=1
	s_or_b32 exec_lo, exec_lo, s3
	v_mov_b32_e32 v13, v14
	v_mov_b32_e32 v6, v14
.LBB220_62:                             ;   in Loop: Header=BB220_34 Depth=1
	s_or_b32 exec_lo, exec_lo, s2
	s_mov_b32 s2, exec_lo
	v_cmpx_o_f16_e32 v13, v13
	s_cbranch_execz .LBB220_66
; %bb.63:                               ;   in Loop: Header=BB220_34 Depth=1
	s_waitcnt vmcnt(0)
	v_mov_b32_e32 v14, v3
	s_mov_b32 s3, exec_lo
	v_cmpx_o_f16_e32 v3, v3
; %bb.64:                               ;   in Loop: Header=BB220_34 Depth=1
	v_cmp_lt_f16_e32 vcc_lo, v13, v3
	v_cndmask_b32_e32 v14, v6, v3, vcc_lo
; %bb.65:                               ;   in Loop: Header=BB220_34 Depth=1
	s_or_b32 exec_lo, exec_lo, s3
	v_mov_b32_e32 v6, v14
.LBB220_66:                             ;   in Loop: Header=BB220_34 Depth=1
	s_or_b32 exec_lo, exec_lo, s2
	s_add_u32 s2, s0, 0x800
	s_addc_u32 s3, s1, 0
	s_add_u32 s0, s0, 0x1000
	s_addc_u32 s1, s1, 0
	v_add_co_u32 v1, vcc_lo, 0x1000, v1
	v_cmp_lt_i64_e64 s0, s[0:1], s[10:11]
	v_add_co_ci_u32_e64 v2, null, 0, v2, vcc_lo
	s_and_b32 vcc_lo, exec_lo, s0
	s_cbranch_vccz .LBB220_71
; %bb.67:                               ;   in Loop: Header=BB220_34 Depth=1
	s_mov_b64 s[0:1], s[2:3]
	s_branch .LBB220_34
.LBB220_68:
	v_mov_b32_e32 v1, s9
	s_and_saveexec_b32 s0, s22
	s_cbranch_execnz .LBB220_281
	s_branch .LBB220_282
.LBB220_69:
                                        ; implicit-def: $vgpr2
	s_cbranch_execnz .LBB220_172
	s_branch .LBB220_274
.LBB220_70:
	s_mov_b64 s[2:3], s[0:1]
.LBB220_71:
	s_sub_i32 s23, s10, s2
	s_lshl_b64 s[0:1], s[2:3], 1
	v_cmp_gt_u32_e64 s8, s23, v0
	s_add_u32 s20, s12, s0
	s_addc_u32 s21, s13, s1
	s_and_saveexec_b32 s0, s8
	s_cbranch_execz .LBB220_73
; %bb.72:
	global_load_ushort v11, v12, s[20:21]
.LBB220_73:
	s_or_b32 exec_lo, exec_lo, s0
	v_or_b32_e32 v1, 0x100, v0
	v_cmp_gt_u32_e64 s5, s23, v1
	s_and_saveexec_b32 s0, s5
	s_cbranch_execz .LBB220_75
; %bb.74:
	global_load_ushort v10, v12, s[20:21] offset:512
.LBB220_75:
	s_or_b32 exec_lo, exec_lo, s0
	v_or_b32_e32 v1, 0x200, v0
	v_cmp_gt_u32_e64 s4, s23, v1
	s_and_saveexec_b32 s0, s4
	s_cbranch_execz .LBB220_77
; %bb.76:
	global_load_ushort v9, v12, s[20:21] offset:1024
.LBB220_77:
	;; [unrolled: 8-line block ×3, first 2 shown]
	s_or_b32 exec_lo, exec_lo, s0
	v_or_b32_e32 v1, 0x400, v0
	v_cmp_gt_u32_e64 s2, s23, v1
	s_and_saveexec_b32 s0, s2
	s_cbranch_execz .LBB220_81
; %bb.80:
	v_lshlrev_b32_e32 v1, 1, v1
	global_load_ushort v7, v1, s[20:21]
.LBB220_81:
	s_or_b32 exec_lo, exec_lo, s0
	v_or_b32_e32 v1, 0x500, v0
	v_cmp_gt_u32_e64 s1, s23, v1
	s_and_saveexec_b32 s0, s1
	s_cbranch_execz .LBB220_83
; %bb.82:
	v_lshlrev_b32_e32 v1, 1, v1
	global_load_ushort v5, v1, s[20:21]
.LBB220_83:
	;; [unrolled: 9-line block ×3, first 2 shown]
	s_or_b32 exec_lo, exec_lo, s24
	v_or_b32_e32 v1, 0x700, v0
	v_cmp_gt_u32_e32 vcc_lo, s23, v1
	s_and_saveexec_b32 s23, vcc_lo
	s_cbranch_execnz .LBB220_94
; %bb.86:
	s_or_b32 exec_lo, exec_lo, s23
	s_and_saveexec_b32 s20, s8
	s_cbranch_execnz .LBB220_95
.LBB220_87:
	s_or_b32 exec_lo, exec_lo, s20
	s_and_saveexec_b32 s8, s5
	s_cbranch_execnz .LBB220_100
.LBB220_88:
	s_or_b32 exec_lo, exec_lo, s8
	s_and_saveexec_b32 s5, s4
	s_cbranch_execnz .LBB220_105
.LBB220_89:
	s_or_b32 exec_lo, exec_lo, s5
	s_and_saveexec_b32 s4, s3
	s_cbranch_execnz .LBB220_110
.LBB220_90:
	s_or_b32 exec_lo, exec_lo, s4
	s_and_saveexec_b32 s3, s2
	s_cbranch_execnz .LBB220_115
.LBB220_91:
	s_or_b32 exec_lo, exec_lo, s3
	s_and_saveexec_b32 s2, s1
	s_cbranch_execnz .LBB220_120
.LBB220_92:
	s_or_b32 exec_lo, exec_lo, s2
	s_and_saveexec_b32 s1, s0
	s_cbranch_execnz .LBB220_125
.LBB220_93:
	s_or_b32 exec_lo, exec_lo, s1
	s_and_saveexec_b32 s0, vcc_lo
	s_cbranch_execnz .LBB220_130
	s_branch .LBB220_135
.LBB220_94:
	v_lshlrev_b32_e32 v1, 1, v1
	global_load_ushort v3, v1, s[20:21]
	s_or_b32 exec_lo, exec_lo, s23
	s_and_saveexec_b32 s20, s8
	s_cbranch_execz .LBB220_87
.LBB220_95:
	s_mov_b32 s21, exec_lo
	v_cmpx_o_f16_e32 v6, v6
	s_cbranch_execz .LBB220_99
; %bb.96:
	s_mov_b32 s23, exec_lo
	s_waitcnt vmcnt(0)
	v_cmpx_o_f16_e32 v11, v11
; %bb.97:
	v_cmp_gt_f16_e64 s8, v11, v6
	v_cndmask_b32_e64 v11, v6, v11, s8
; %bb.98:
	s_or_b32 exec_lo, exec_lo, s23
	v_mov_b32_e32 v6, v11
.LBB220_99:
	s_or_b32 exec_lo, exec_lo, s21
	s_or_b32 exec_lo, exec_lo, s20
	s_and_saveexec_b32 s8, s5
	s_cbranch_execz .LBB220_88
.LBB220_100:
	s_mov_b32 s20, exec_lo
	v_cmpx_o_f16_e32 v6, v6
	s_cbranch_execz .LBB220_104
; %bb.101:
	s_mov_b32 s21, exec_lo
	s_waitcnt vmcnt(0)
	v_cmpx_o_f16_e32 v10, v10
; %bb.102:
	v_cmp_gt_f16_e64 s5, v10, v6
	v_cndmask_b32_e64 v10, v6, v10, s5
; %bb.103:
	s_or_b32 exec_lo, exec_lo, s21
	v_mov_b32_e32 v6, v10
.LBB220_104:
	s_or_b32 exec_lo, exec_lo, s20
	s_or_b32 exec_lo, exec_lo, s8
	s_and_saveexec_b32 s5, s4
	s_cbranch_execz .LBB220_89
.LBB220_105:
	s_mov_b32 s8, exec_lo
	v_cmpx_o_f16_e32 v6, v6
	s_cbranch_execz .LBB220_109
; %bb.106:
	s_mov_b32 s20, exec_lo
	s_waitcnt vmcnt(0)
	v_cmpx_o_f16_e32 v9, v9
; %bb.107:
	v_cmp_gt_f16_e64 s4, v9, v6
	v_cndmask_b32_e64 v9, v6, v9, s4
; %bb.108:
	s_or_b32 exec_lo, exec_lo, s20
	v_mov_b32_e32 v6, v9
.LBB220_109:
	s_or_b32 exec_lo, exec_lo, s8
	s_or_b32 exec_lo, exec_lo, s5
	s_and_saveexec_b32 s4, s3
	s_cbranch_execz .LBB220_90
.LBB220_110:
	s_mov_b32 s5, exec_lo
	v_cmpx_o_f16_e32 v6, v6
	s_cbranch_execz .LBB220_114
; %bb.111:
	s_mov_b32 s8, exec_lo
	s_waitcnt vmcnt(0)
	v_cmpx_o_f16_e32 v8, v8
; %bb.112:
	v_cmp_gt_f16_e64 s3, v8, v6
	v_cndmask_b32_e64 v8, v6, v8, s3
; %bb.113:
	s_or_b32 exec_lo, exec_lo, s8
	v_mov_b32_e32 v6, v8
.LBB220_114:
	s_or_b32 exec_lo, exec_lo, s5
	s_or_b32 exec_lo, exec_lo, s4
	s_and_saveexec_b32 s3, s2
	s_cbranch_execz .LBB220_91
.LBB220_115:
	s_mov_b32 s4, exec_lo
	v_cmpx_o_f16_e32 v6, v6
	s_cbranch_execz .LBB220_119
; %bb.116:
	s_mov_b32 s5, exec_lo
	s_waitcnt vmcnt(0)
	v_cmpx_o_f16_e32 v7, v7
; %bb.117:
	v_cmp_gt_f16_e64 s2, v7, v6
	v_cndmask_b32_e64 v7, v6, v7, s2
; %bb.118:
	s_or_b32 exec_lo, exec_lo, s5
	v_mov_b32_e32 v6, v7
.LBB220_119:
	s_or_b32 exec_lo, exec_lo, s4
	s_or_b32 exec_lo, exec_lo, s3
	s_and_saveexec_b32 s2, s1
	s_cbranch_execz .LBB220_92
.LBB220_120:
	s_mov_b32 s3, exec_lo
	v_cmpx_o_f16_e32 v6, v6
	s_cbranch_execz .LBB220_124
; %bb.121:
	s_mov_b32 s4, exec_lo
	s_waitcnt vmcnt(0)
	v_cmpx_o_f16_e32 v5, v5
; %bb.122:
	v_cmp_gt_f16_e64 s1, v5, v6
	v_cndmask_b32_e64 v5, v6, v5, s1
; %bb.123:
	s_or_b32 exec_lo, exec_lo, s4
	v_mov_b32_e32 v6, v5
.LBB220_124:
	s_or_b32 exec_lo, exec_lo, s3
	s_or_b32 exec_lo, exec_lo, s2
	s_and_saveexec_b32 s1, s0
	s_cbranch_execz .LBB220_93
.LBB220_125:
	s_mov_b32 s2, exec_lo
	v_cmpx_o_f16_e32 v6, v6
	s_cbranch_execz .LBB220_129
; %bb.126:
	s_mov_b32 s3, exec_lo
	s_waitcnt vmcnt(0)
	v_cmpx_o_f16_e32 v4, v4
; %bb.127:
	v_cmp_gt_f16_e64 s0, v4, v6
	v_cndmask_b32_e64 v4, v6, v4, s0
; %bb.128:
	s_or_b32 exec_lo, exec_lo, s3
	v_mov_b32_e32 v6, v4
.LBB220_129:
	s_or_b32 exec_lo, exec_lo, s2
	s_or_b32 exec_lo, exec_lo, s1
	s_and_saveexec_b32 s0, vcc_lo
	s_cbranch_execz .LBB220_135
.LBB220_130:
	s_mov_b32 s1, exec_lo
	v_cmpx_o_f16_e32 v6, v6
	s_cbranch_execz .LBB220_134
; %bb.131:
	s_mov_b32 s2, exec_lo
	s_waitcnt vmcnt(0)
	v_cmpx_o_f16_e32 v3, v3
; %bb.132:
	v_cmp_gt_f16_e32 vcc_lo, v3, v6
	v_cndmask_b32_e32 v3, v6, v3, vcc_lo
; %bb.133:
	s_or_b32 exec_lo, exec_lo, s2
	v_mov_b32_e32 v6, v3
.LBB220_134:
	s_or_b32 exec_lo, exec_lo, s1
.LBB220_135:
	s_or_b32 exec_lo, exec_lo, s0
	v_and_b32_e32 v1, 0xffff, v6
	s_mov_b32 s0, exec_lo
	v_mov_b32_dpp v1, v1 quad_perm:[1,0,3,2] row_mask:0xf bank_mask:0xf
	v_cmpx_o_f16_e32 v1, v1
	s_xor_b32 s0, exec_lo, s0
	s_cbranch_execz .LBB220_139
; %bb.136:
	s_mov_b32 s1, exec_lo
	v_cmpx_o_f16_e32 v6, v6
; %bb.137:
	v_cmp_gt_f16_e32 vcc_lo, v6, v1
	v_cndmask_b32_e32 v6, v1, v6, vcc_lo
; %bb.138:
	s_or_b32 exec_lo, exec_lo, s1
	v_mov_b32_e32 v1, v6
.LBB220_139:
	s_or_b32 exec_lo, exec_lo, s0
	v_and_b32_e32 v2, 0xffff, v1
	s_mov_b32 s0, exec_lo
	v_mov_b32_dpp v2, v2 quad_perm:[2,3,0,1] row_mask:0xf bank_mask:0xf
	v_cmpx_o_f16_e32 v2, v2
	s_cbranch_execz .LBB220_143
; %bb.140:
	s_mov_b32 s1, exec_lo
	v_cmpx_o_f16_e32 v1, v1
; %bb.141:
	v_cmp_gt_f16_e32 vcc_lo, v1, v2
	v_cndmask_b32_e32 v1, v2, v1, vcc_lo
; %bb.142:
	s_or_b32 exec_lo, exec_lo, s1
	v_mov_b32_e32 v2, v1
.LBB220_143:
	s_or_b32 exec_lo, exec_lo, s0
	v_and_b32_e32 v1, 0xffff, v2
	s_mov_b32 s0, exec_lo
	v_mov_b32_dpp v1, v1 row_ror:4 row_mask:0xf bank_mask:0xf
	v_cmpx_o_f16_e32 v1, v1
	s_cbranch_execz .LBB220_147
; %bb.144:
	s_mov_b32 s1, exec_lo
	v_cmpx_o_f16_e32 v2, v2
; %bb.145:
	v_cmp_gt_f16_e32 vcc_lo, v2, v1
	v_cndmask_b32_e32 v2, v1, v2, vcc_lo
; %bb.146:
	s_or_b32 exec_lo, exec_lo, s1
	v_mov_b32_e32 v1, v2
.LBB220_147:
	s_or_b32 exec_lo, exec_lo, s0
	v_and_b32_e32 v2, 0xffff, v1
	s_mov_b32 s0, exec_lo
	v_mov_b32_dpp v2, v2 row_ror:8 row_mask:0xf bank_mask:0xf
	v_cmpx_o_f16_e32 v2, v2
	s_cbranch_execz .LBB220_151
; %bb.148:
	s_mov_b32 s1, exec_lo
	v_cmpx_o_f16_e32 v1, v1
; %bb.149:
	v_cmp_gt_f16_e32 vcc_lo, v1, v2
	v_cndmask_b32_e32 v1, v2, v1, vcc_lo
; %bb.150:
	s_or_b32 exec_lo, exec_lo, s1
	v_mov_b32_e32 v2, v1
.LBB220_151:
	s_or_b32 exec_lo, exec_lo, s0
	v_and_b32_e32 v1, 0xffff, v2
	s_mov_b32 s0, exec_lo
	ds_swizzle_b32 v1, v1 offset:swizzle(BROADCAST,32,15)
	s_waitcnt lgkmcnt(0)
	v_cmpx_o_f16_e32 v1, v1
	s_cbranch_execz .LBB220_155
; %bb.152:
	s_mov_b32 s1, exec_lo
	v_cmpx_o_f16_e32 v2, v2
; %bb.153:
	v_cmp_gt_f16_e32 vcc_lo, v2, v1
	v_cndmask_b32_e32 v2, v1, v2, vcc_lo
; %bb.154:
	s_or_b32 exec_lo, exec_lo, s1
	v_mov_b32_e32 v1, v2
.LBB220_155:
	s_or_b32 exec_lo, exec_lo, s0
	v_and_b32_e32 v1, 0xffff, v1
	v_mov_b32_e32 v2, 0
	s_mov_b32 s0, exec_lo
	ds_bpermute_b32 v2, v2, v1 offset:124
	v_mbcnt_lo_u32_b32 v1, -1, 0
	v_cmpx_eq_u32_e32 0, v1
	s_cbranch_execz .LBB220_157
; %bb.156:
	s_waitcnt vmcnt(0)
	v_lshrrev_b32_e32 v3, 4, v0
	v_and_b32_e32 v3, 14, v3
	s_waitcnt lgkmcnt(0)
	ds_write_b16 v3, v2
.LBB220_157:
	s_or_b32 exec_lo, exec_lo, s0
	s_mov_b32 s0, exec_lo
	s_waitcnt vmcnt(0) lgkmcnt(0)
	s_barrier
	buffer_gl0_inv
	v_cmpx_gt_u32_e32 32, v0
	s_cbranch_execz .LBB220_171
; %bb.158:
	v_and_b32_e32 v3, 7, v1
	s_mov_b32 s1, exec_lo
	v_lshlrev_b32_e32 v2, 1, v3
	v_cmp_ne_u32_e32 vcc_lo, 7, v3
	ds_read_u16 v2, v2
	v_add_co_ci_u32_e64 v4, null, 0, v1, vcc_lo
	v_lshlrev_b32_e32 v4, 2, v4
	s_waitcnt lgkmcnt(0)
	v_and_b32_e32 v5, 0xffff, v2
	ds_bpermute_b32 v4, v4, v5
	v_cmpx_o_f16_e32 v2, v2
	s_cbranch_execz .LBB220_162
; %bb.159:
	s_mov_b32 s2, exec_lo
	s_waitcnt lgkmcnt(0)
	v_cmpx_o_f16_e32 v4, v4
; %bb.160:
	v_cmp_lt_f16_e32 vcc_lo, v2, v4
	v_cndmask_b32_e32 v4, v2, v4, vcc_lo
; %bb.161:
	s_or_b32 exec_lo, exec_lo, s2
	v_mov_b32_e32 v2, v4
.LBB220_162:
	s_or_b32 exec_lo, exec_lo, s1
	v_cmp_gt_u32_e32 vcc_lo, 6, v3
	s_waitcnt lgkmcnt(0)
	v_and_b32_e32 v4, 0xffff, v2
	s_mov_b32 s1, exec_lo
	v_cndmask_b32_e64 v3, 0, 2, vcc_lo
	v_add_lshl_u32 v3, v3, v1, 2
	v_lshlrev_b32_e32 v1, 2, v1
	ds_bpermute_b32 v3, v3, v4
	v_cmpx_o_f16_e32 v2, v2
	s_cbranch_execz .LBB220_166
; %bb.163:
	s_mov_b32 s2, exec_lo
	s_waitcnt lgkmcnt(0)
	v_cmpx_o_f16_e32 v3, v3
; %bb.164:
	v_cmp_lt_f16_e32 vcc_lo, v2, v3
	v_cndmask_b32_e32 v3, v2, v3, vcc_lo
; %bb.165:
	s_or_b32 exec_lo, exec_lo, s2
	v_mov_b32_e32 v2, v3
.LBB220_166:
	s_or_b32 exec_lo, exec_lo, s1
	v_or_b32_e32 v1, 16, v1
	s_waitcnt lgkmcnt(0)
	v_and_b32_e32 v3, 0xffff, v2
	s_mov_b32 s1, exec_lo
	ds_bpermute_b32 v1, v1, v3
	v_cmpx_o_f16_e32 v2, v2
	s_cbranch_execz .LBB220_170
; %bb.167:
	s_mov_b32 s2, exec_lo
	s_waitcnt lgkmcnt(0)
	v_cmpx_o_f16_e32 v1, v1
; %bb.168:
	v_cmp_lt_f16_e32 vcc_lo, v2, v1
	v_cndmask_b32_e32 v1, v2, v1, vcc_lo
; %bb.169:
	s_or_b32 exec_lo, exec_lo, s2
	v_mov_b32_e32 v2, v1
.LBB220_170:
	s_or_b32 exec_lo, exec_lo, s1
.LBB220_171:
	s_or_b32 exec_lo, exec_lo, s0
	s_branch .LBB220_274
.LBB220_172:
	s_sub_i32 s1, s10, s18
	s_mov_b32 s2, exec_lo
                                        ; implicit-def: $vgpr5
	v_cmpx_gt_u32_e64 s1, v0
	s_cbranch_execz .LBB220_182
; %bb.173:
	s_waitcnt lgkmcnt(0)
	v_add_co_u32 v1, s0, s18, v0
	v_add_co_ci_u32_e64 v2, null, s19, 0, s0
	s_mov_b32 s3, exec_lo
	v_lshlrev_b64 v[3:4], 1, v[1:2]
	v_add_co_u32 v3, vcc_lo, s12, v3
	v_add_co_ci_u32_e64 v4, null, s13, v4, vcc_lo
	v_add_co_u32 v1, vcc_lo, 0x100, v1
	v_add_co_ci_u32_e64 v2, null, 0, v2, vcc_lo
	global_load_ushort v5, v[3:4], off
	v_cmpx_gt_i64_e64 s[10:11], v[1:2]
	s_cbranch_execz .LBB220_181
; %bb.174:
	v_add_co_u32 v3, vcc_lo, 0x200, v3
	v_add_co_ci_u32_e64 v4, null, 0, v4, vcc_lo
	s_mov_b32 s4, 0
	s_inst_prefetch 0x1
	s_branch .LBB220_177
	.p2align	6
.LBB220_175:                            ;   in Loop: Header=BB220_177 Depth=1
	s_or_b32 exec_lo, exec_lo, s5
	v_mov_b32_e32 v5, v6
.LBB220_176:                            ;   in Loop: Header=BB220_177 Depth=1
	s_or_b32 exec_lo, exec_lo, s0
	v_add_co_u32 v1, vcc_lo, 0x100, v1
	v_add_co_ci_u32_e64 v2, null, 0, v2, vcc_lo
	v_add_co_u32 v3, s0, 0x200, v3
	v_add_co_ci_u32_e64 v4, null, 0, v4, s0
	v_cmp_le_i64_e32 vcc_lo, s[10:11], v[1:2]
	s_or_b32 s4, vcc_lo, s4
	s_andn2_b32 exec_lo, exec_lo, s4
	s_cbranch_execz .LBB220_180
.LBB220_177:                            ; =>This Inner Loop Header: Depth=1
	s_mov_b32 s0, exec_lo
	s_waitcnt vmcnt(0)
	v_cmpx_o_f16_e32 v5, v5
	s_cbranch_execz .LBB220_176
; %bb.178:                              ;   in Loop: Header=BB220_177 Depth=1
	global_load_ushort v6, v[3:4], off
	s_mov_b32 s5, exec_lo
	s_waitcnt vmcnt(0)
	v_cmpx_o_f16_e32 v6, v6
	s_cbranch_execz .LBB220_175
; %bb.179:                              ;   in Loop: Header=BB220_177 Depth=1
	v_cmp_lt_f16_e32 vcc_lo, v5, v6
	v_cndmask_b32_e32 v6, v5, v6, vcc_lo
	s_branch .LBB220_175
.LBB220_180:
	s_inst_prefetch 0x2
	s_or_b32 exec_lo, exec_lo, s4
.LBB220_181:
	s_or_b32 exec_lo, exec_lo, s3
.LBB220_182:
	s_or_b32 exec_lo, exec_lo, s2
	v_lshrrev_b32_e32 v3, 5, v0
	s_waitcnt lgkmcnt(0)
	v_mbcnt_lo_u32_b32 v1, -1, 0
	s_waitcnt vmcnt(0)
	v_and_b32_e32 v4, 0xffff, v5
	s_cmpk_lt_u32 s1, 0x100
	s_mov_b32 s0, -1
                                        ; implicit-def: $vgpr2
	s_cbranch_scc0 .LBB220_236
; %bb.183:
	v_cmp_ne_u32_e32 vcc_lo, 31, v1
	v_mov_b32_e32 v8, v4
	v_add_co_ci_u32_e64 v2, null, 0, v1, vcc_lo
	v_lshlrev_b32_e32 v2, 2, v2
	ds_bpermute_b32 v7, v2, v4
	v_and_b32_e32 v2, 0xe0, v0
	v_sub_nc_u32_e64 v6, s1, v2 clamp
	v_add_nc_u32_e32 v2, 1, v1
	v_cmp_lt_u32_e32 vcc_lo, v2, v6
	v_mov_b32_e32 v2, v5
	s_and_saveexec_b32 s0, vcc_lo
	s_cbranch_execz .LBB220_189
; %bb.184:
	v_mov_b32_e32 v2, v5
	s_mov_b32 s2, exec_lo
	v_cmpx_o_f16_e32 v5, v5
	s_cbranch_execz .LBB220_188
; %bb.185:
	s_mov_b32 s3, exec_lo
	s_waitcnt lgkmcnt(0)
	v_cmpx_o_f16_e32 v7, v7
; %bb.186:
	v_cmp_lt_f16_e32 vcc_lo, v5, v7
	v_cndmask_b32_e32 v7, v5, v7, vcc_lo
; %bb.187:
	s_or_b32 exec_lo, exec_lo, s3
	v_mov_b32_e32 v2, v7
.LBB220_188:
	s_or_b32 exec_lo, exec_lo, s2
	v_and_b32_e32 v8, 0xffff, v2
.LBB220_189:
	s_or_b32 exec_lo, exec_lo, s0
	v_cmp_gt_u32_e32 vcc_lo, 30, v1
	v_add_nc_u32_e32 v9, 2, v1
	s_mov_b32 s0, exec_lo
	s_waitcnt lgkmcnt(0)
	v_cndmask_b32_e64 v7, 0, 2, vcc_lo
	v_add_lshl_u32 v7, v7, v1, 2
	ds_bpermute_b32 v7, v7, v8
	v_cmpx_lt_u32_e64 v9, v6
	s_cbranch_execz .LBB220_195
; %bb.190:
	s_mov_b32 s2, exec_lo
	v_cmpx_o_f16_e32 v2, v2
	s_cbranch_execz .LBB220_194
; %bb.191:
	s_mov_b32 s3, exec_lo
	s_waitcnt lgkmcnt(0)
	v_cmpx_o_f16_e32 v7, v7
; %bb.192:
	v_cmp_lt_f16_e32 vcc_lo, v2, v7
	v_cndmask_b32_e32 v7, v2, v7, vcc_lo
; %bb.193:
	s_or_b32 exec_lo, exec_lo, s3
	v_mov_b32_e32 v2, v7
.LBB220_194:
	s_or_b32 exec_lo, exec_lo, s2
	v_and_b32_e32 v8, 0xffff, v2
.LBB220_195:
	s_or_b32 exec_lo, exec_lo, s0
	v_cmp_gt_u32_e32 vcc_lo, 28, v1
	v_add_nc_u32_e32 v9, 4, v1
	s_mov_b32 s0, exec_lo
	s_waitcnt lgkmcnt(0)
	v_cndmask_b32_e64 v7, 0, 4, vcc_lo
	v_add_lshl_u32 v7, v7, v1, 2
	ds_bpermute_b32 v7, v7, v8
	v_cmpx_lt_u32_e64 v9, v6
	s_cbranch_execz .LBB220_201
; %bb.196:
	s_mov_b32 s2, exec_lo
	v_cmpx_o_f16_e32 v2, v2
	s_cbranch_execz .LBB220_200
; %bb.197:
	s_mov_b32 s3, exec_lo
	s_waitcnt lgkmcnt(0)
	v_cmpx_o_f16_e32 v7, v7
; %bb.198:
	v_cmp_lt_f16_e32 vcc_lo, v2, v7
	v_cndmask_b32_e32 v7, v2, v7, vcc_lo
; %bb.199:
	s_or_b32 exec_lo, exec_lo, s3
	v_mov_b32_e32 v2, v7
.LBB220_200:
	s_or_b32 exec_lo, exec_lo, s2
	v_and_b32_e32 v8, 0xffff, v2
.LBB220_201:
	;; [unrolled: 28-line block ×3, first 2 shown]
	s_or_b32 exec_lo, exec_lo, s0
	s_waitcnt lgkmcnt(0)
	v_lshlrev_b32_e32 v7, 2, v1
	s_mov_b32 s0, exec_lo
	v_or_b32_e32 v9, 64, v7
	ds_bpermute_b32 v8, v9, v8
	v_add_nc_u32_e32 v9, 16, v1
	v_cmpx_lt_u32_e64 v9, v6
	s_cbranch_execz .LBB220_213
; %bb.208:
	s_mov_b32 s2, exec_lo
	v_cmpx_o_f16_e32 v2, v2
	s_cbranch_execz .LBB220_212
; %bb.209:
	s_mov_b32 s3, exec_lo
	s_waitcnt lgkmcnt(0)
	v_cmpx_o_f16_e32 v8, v8
; %bb.210:
	v_cmp_lt_f16_e32 vcc_lo, v2, v8
	v_cndmask_b32_e32 v8, v2, v8, vcc_lo
; %bb.211:
	s_or_b32 exec_lo, exec_lo, s3
	v_mov_b32_e32 v2, v8
.LBB220_212:
	s_or_b32 exec_lo, exec_lo, s2
.LBB220_213:
	s_or_b32 exec_lo, exec_lo, s0
	s_mov_b32 s0, exec_lo
	v_cmpx_eq_u32_e32 0, v1
; %bb.214:
	v_lshlrev_b32_e32 v6, 1, v3
	ds_write_b16 v6, v2
; %bb.215:
	s_or_b32 exec_lo, exec_lo, s0
	s_mov_b32 s0, exec_lo
	s_waitcnt lgkmcnt(0)
	s_barrier
	buffer_gl0_inv
	v_cmpx_gt_u32_e32 8, v0
	s_cbranch_execz .LBB220_235
; %bb.216:
	v_lshlrev_b32_e32 v2, 1, v1
	v_and_b32_e32 v6, 7, v1
	s_add_i32 s1, s1, 31
	s_mov_b32 s2, exec_lo
	s_lshr_b32 s1, s1, 5
	ds_read_u16 v2, v2
	v_cmp_ne_u32_e32 vcc_lo, 7, v6
	v_add_nc_u32_e32 v10, 1, v6
	v_add_co_ci_u32_e64 v8, null, 0, v1, vcc_lo
	v_lshlrev_b32_e32 v9, 2, v8
	s_waitcnt lgkmcnt(0)
	v_and_b32_e32 v8, 0xffff, v2
	ds_bpermute_b32 v9, v9, v8
	v_cmpx_gt_u32_e64 s1, v10
	s_cbranch_execz .LBB220_222
; %bb.217:
	s_mov_b32 s3, exec_lo
	v_cmpx_o_f16_e32 v2, v2
	s_cbranch_execz .LBB220_221
; %bb.218:
	s_mov_b32 s4, exec_lo
	s_waitcnt lgkmcnt(0)
	v_cmpx_o_f16_e32 v9, v9
; %bb.219:
	v_cmp_lt_f16_e32 vcc_lo, v2, v9
	v_cndmask_b32_e32 v9, v2, v9, vcc_lo
; %bb.220:
	s_or_b32 exec_lo, exec_lo, s4
	v_mov_b32_e32 v2, v9
.LBB220_221:
	s_or_b32 exec_lo, exec_lo, s3
	v_and_b32_e32 v8, 0xffff, v2
.LBB220_222:
	s_or_b32 exec_lo, exec_lo, s2
	v_cmp_gt_u32_e32 vcc_lo, 6, v6
	v_add_nc_u32_e32 v10, 2, v6
	s_mov_b32 s2, exec_lo
	s_waitcnt lgkmcnt(0)
	v_cndmask_b32_e64 v9, 0, 2, vcc_lo
	v_add_lshl_u32 v9, v9, v1, 2
	ds_bpermute_b32 v9, v9, v8
	v_cmpx_gt_u32_e64 s1, v10
	s_cbranch_execz .LBB220_228
; %bb.223:
	s_mov_b32 s3, exec_lo
	v_cmpx_o_f16_e32 v2, v2
	s_cbranch_execz .LBB220_227
; %bb.224:
	s_mov_b32 s4, exec_lo
	s_waitcnt lgkmcnt(0)
	v_cmpx_o_f16_e32 v9, v9
; %bb.225:
	v_cmp_lt_f16_e32 vcc_lo, v2, v9
	v_cndmask_b32_e32 v9, v2, v9, vcc_lo
; %bb.226:
	s_or_b32 exec_lo, exec_lo, s4
	v_mov_b32_e32 v2, v9
.LBB220_227:
	s_or_b32 exec_lo, exec_lo, s3
	v_and_b32_e32 v8, 0xffff, v2
.LBB220_228:
	s_or_b32 exec_lo, exec_lo, s2
	v_or_b32_e32 v7, 16, v7
	v_add_nc_u32_e32 v6, 4, v6
	ds_bpermute_b32 v7, v7, v8
	v_cmp_gt_u32_e32 vcc_lo, s1, v6
	s_and_saveexec_b32 s1, vcc_lo
	s_cbranch_execz .LBB220_234
; %bb.229:
	s_mov_b32 s2, exec_lo
	v_cmpx_o_f16_e32 v2, v2
	s_cbranch_execz .LBB220_233
; %bb.230:
	s_mov_b32 s3, exec_lo
	s_waitcnt lgkmcnt(0)
	v_cmpx_o_f16_e32 v7, v7
; %bb.231:
	v_cmp_lt_f16_e32 vcc_lo, v2, v7
	v_cndmask_b32_e32 v7, v2, v7, vcc_lo
; %bb.232:
	s_or_b32 exec_lo, exec_lo, s3
	v_mov_b32_e32 v2, v7
.LBB220_233:
	s_or_b32 exec_lo, exec_lo, s2
.LBB220_234:
	s_or_b32 exec_lo, exec_lo, s1
.LBB220_235:
	s_or_b32 exec_lo, exec_lo, s0
	s_mov_b32 s0, 0
.LBB220_236:
	s_and_b32 vcc_lo, exec_lo, s0
	s_cbranch_vccz .LBB220_274
; %bb.237:
	v_mov_b32_dpp v2, v4 quad_perm:[1,0,3,2] row_mask:0xf bank_mask:0xf
	s_mov_b32 s0, exec_lo
	v_cmpx_o_f16_e32 v2, v2
	s_cbranch_execz .LBB220_241
; %bb.238:
	s_mov_b32 s1, exec_lo
	v_cmpx_o_f16_e32 v5, v5
; %bb.239:
	v_cmp_gt_f16_e32 vcc_lo, v5, v2
	v_cndmask_b32_e32 v5, v2, v5, vcc_lo
; %bb.240:
	s_or_b32 exec_lo, exec_lo, s1
	v_mov_b32_e32 v2, v5
.LBB220_241:
	s_or_b32 exec_lo, exec_lo, s0
	v_and_b32_e32 v4, 0xffff, v2
	s_mov_b32 s0, exec_lo
	v_mov_b32_dpp v4, v4 quad_perm:[2,3,0,1] row_mask:0xf bank_mask:0xf
	v_cmpx_o_f16_e32 v4, v4
	s_cbranch_execz .LBB220_245
; %bb.242:
	s_mov_b32 s1, exec_lo
	v_cmpx_o_f16_e32 v2, v2
; %bb.243:
	v_cmp_gt_f16_e32 vcc_lo, v2, v4
	v_cndmask_b32_e32 v2, v4, v2, vcc_lo
; %bb.244:
	s_or_b32 exec_lo, exec_lo, s1
	v_mov_b32_e32 v4, v2
.LBB220_245:
	s_or_b32 exec_lo, exec_lo, s0
	v_and_b32_e32 v2, 0xffff, v4
	s_mov_b32 s0, exec_lo
	v_mov_b32_dpp v2, v2 row_ror:4 row_mask:0xf bank_mask:0xf
	v_cmpx_o_f16_e32 v2, v2
	s_cbranch_execz .LBB220_249
; %bb.246:
	s_mov_b32 s1, exec_lo
	v_cmpx_o_f16_e32 v4, v4
; %bb.247:
	v_cmp_gt_f16_e32 vcc_lo, v4, v2
	v_cndmask_b32_e32 v4, v2, v4, vcc_lo
; %bb.248:
	s_or_b32 exec_lo, exec_lo, s1
	v_mov_b32_e32 v2, v4
.LBB220_249:
	s_or_b32 exec_lo, exec_lo, s0
	v_and_b32_e32 v4, 0xffff, v2
	s_mov_b32 s0, exec_lo
	v_mov_b32_dpp v4, v4 row_ror:8 row_mask:0xf bank_mask:0xf
	v_cmpx_o_f16_e32 v4, v4
	s_cbranch_execz .LBB220_253
; %bb.250:
	s_mov_b32 s1, exec_lo
	v_cmpx_o_f16_e32 v2, v2
; %bb.251:
	v_cmp_gt_f16_e32 vcc_lo, v2, v4
	v_cndmask_b32_e32 v2, v4, v2, vcc_lo
; %bb.252:
	s_or_b32 exec_lo, exec_lo, s1
	v_mov_b32_e32 v4, v2
.LBB220_253:
	s_or_b32 exec_lo, exec_lo, s0
	v_and_b32_e32 v2, 0xffff, v4
	s_mov_b32 s0, exec_lo
	ds_swizzle_b32 v2, v2 offset:swizzle(BROADCAST,32,15)
	s_waitcnt lgkmcnt(0)
	v_cmpx_o_f16_e32 v2, v2
	s_cbranch_execz .LBB220_257
; %bb.254:
	s_mov_b32 s1, exec_lo
	v_cmpx_o_f16_e32 v4, v4
; %bb.255:
	v_cmp_gt_f16_e32 vcc_lo, v4, v2
	v_cndmask_b32_e32 v4, v2, v4, vcc_lo
; %bb.256:
	s_or_b32 exec_lo, exec_lo, s1
	v_mov_b32_e32 v2, v4
.LBB220_257:
	s_or_b32 exec_lo, exec_lo, s0
	v_and_b32_e32 v2, 0xffff, v2
	v_mov_b32_e32 v4, 0
	s_mov_b32 s0, exec_lo
	ds_bpermute_b32 v2, v4, v2 offset:124
	v_cmpx_eq_u32_e32 0, v1
	s_cbranch_execz .LBB220_259
; %bb.258:
	v_lshlrev_b32_e32 v3, 1, v3
	s_waitcnt lgkmcnt(0)
	ds_write_b16 v3, v2
.LBB220_259:
	s_or_b32 exec_lo, exec_lo, s0
	s_mov_b32 s0, exec_lo
	s_waitcnt lgkmcnt(0)
	s_barrier
	buffer_gl0_inv
	v_cmpx_gt_u32_e32 32, v0
	s_cbranch_execz .LBB220_273
; %bb.260:
	v_and_b32_e32 v3, 7, v1
	s_mov_b32 s1, exec_lo
	v_lshlrev_b32_e32 v2, 1, v3
	v_cmp_ne_u32_e32 vcc_lo, 7, v3
	ds_read_u16 v2, v2
	v_add_co_ci_u32_e64 v4, null, 0, v1, vcc_lo
	v_lshlrev_b32_e32 v4, 2, v4
	s_waitcnt lgkmcnt(0)
	v_and_b32_e32 v5, 0xffff, v2
	ds_bpermute_b32 v4, v4, v5
	v_cmpx_o_f16_e32 v2, v2
	s_cbranch_execz .LBB220_264
; %bb.261:
	s_mov_b32 s2, exec_lo
	s_waitcnt lgkmcnt(0)
	v_cmpx_o_f16_e32 v4, v4
; %bb.262:
	v_cmp_lt_f16_e32 vcc_lo, v2, v4
	v_cndmask_b32_e32 v4, v2, v4, vcc_lo
; %bb.263:
	s_or_b32 exec_lo, exec_lo, s2
	v_mov_b32_e32 v2, v4
.LBB220_264:
	s_or_b32 exec_lo, exec_lo, s1
	v_cmp_gt_u32_e32 vcc_lo, 6, v3
	s_waitcnt lgkmcnt(0)
	v_and_b32_e32 v4, 0xffff, v2
	s_mov_b32 s1, exec_lo
	v_cndmask_b32_e64 v3, 0, 2, vcc_lo
	v_add_lshl_u32 v3, v3, v1, 2
	v_lshlrev_b32_e32 v1, 2, v1
	ds_bpermute_b32 v3, v3, v4
	v_cmpx_o_f16_e32 v2, v2
	s_cbranch_execz .LBB220_268
; %bb.265:
	s_mov_b32 s2, exec_lo
	s_waitcnt lgkmcnt(0)
	v_cmpx_o_f16_e32 v3, v3
; %bb.266:
	v_cmp_lt_f16_e32 vcc_lo, v2, v3
	v_cndmask_b32_e32 v3, v2, v3, vcc_lo
; %bb.267:
	s_or_b32 exec_lo, exec_lo, s2
	v_mov_b32_e32 v2, v3
.LBB220_268:
	s_or_b32 exec_lo, exec_lo, s1
	v_or_b32_e32 v1, 16, v1
	s_waitcnt lgkmcnt(0)
	v_and_b32_e32 v3, 0xffff, v2
	s_mov_b32 s1, exec_lo
	ds_bpermute_b32 v1, v1, v3
	v_cmpx_o_f16_e32 v2, v2
	s_cbranch_execz .LBB220_272
; %bb.269:
	s_mov_b32 s2, exec_lo
	s_waitcnt lgkmcnt(0)
	v_cmpx_o_f16_e32 v1, v1
; %bb.270:
	v_cmp_lt_f16_e32 vcc_lo, v2, v1
	v_cndmask_b32_e32 v1, v2, v1, vcc_lo
; %bb.271:
	s_or_b32 exec_lo, exec_lo, s2
	v_mov_b32_e32 v2, v1
.LBB220_272:
	s_or_b32 exec_lo, exec_lo, s1
.LBB220_273:
	s_or_b32 exec_lo, exec_lo, s0
.LBB220_274:
	s_mov_b32 s0, exec_lo
                                        ; implicit-def: $vgpr1
	v_cmpx_eq_u32_e32 0, v0
	s_cbranch_execz .LBB220_280
; %bb.275:
	v_cmp_u_f16_e64 s1, s9, s9
	s_waitcnt lgkmcnt(0)
	v_mov_b32_e32 v1, s9
	s_and_b32 vcc_lo, exec_lo, s1
	s_cbranch_vccnz .LBB220_279
; %bb.276:
	s_mov_b32 s1, exec_lo
	v_cmpx_o_f16_e32 v2, v2
; %bb.277:
	v_cmp_lt_f16_e32 vcc_lo, s9, v2
	v_cndmask_b32_e32 v2, s9, v2, vcc_lo
; %bb.278:
	s_or_b32 exec_lo, exec_lo, s1
	v_mov_b32_e32 v1, v2
.LBB220_279:
	s_or_b32 s22, s22, exec_lo
.LBB220_280:
	s_or_b32 exec_lo, exec_lo, s0
	s_and_saveexec_b32 s0, s22
	s_cbranch_execz .LBB220_282
.LBB220_281:
	s_lshl_b64 s[0:1], s[16:17], 1
	v_mov_b32_e32 v0, 0
	s_add_u32 s2, s14, s0
	s_addc_u32 s3, s15, s1
	s_lshl_b64 s[0:1], s[6:7], 1
	s_add_u32 s0, s2, s0
	s_addc_u32 s1, s3, s1
	s_waitcnt lgkmcnt(0)
	global_store_short v0, v1, s[0:1]
.LBB220_282:
	s_endpgm
	.section	.rodata,"a",@progbits
	.p2align	6, 0x0
	.amdhsa_kernel _ZN7rocprim17ROCPRIM_400000_NS6detail17trampoline_kernelINS0_14default_configENS1_32segmented_reduce_config_selectorIN3c104HalfEEEZNS1_21segmented_reduce_implIS3_PKS6_PS6_PKlS6_N6hipcub16HIPCUB_304000_NS6detail27convert_result_type_wrapperISA_SB_N2at6native12_GLOBAL__N_19CustomMaxEEEEE10hipError_tPvRmT0_T1_jT2_SS_T4_T3_P12ihipStream_tbEUlT_E_NS1_11comp_targetILNS1_3genE8ELNS1_11target_archE1030ELNS1_3gpuE2ELNS1_3repE0EEENS1_30default_config_static_selectorELNS0_4arch9wavefront6targetE0EEEvSR_
		.amdhsa_group_segment_fixed_size 16
		.amdhsa_private_segment_fixed_size 0
		.amdhsa_kernarg_size 48
		.amdhsa_user_sgpr_count 6
		.amdhsa_user_sgpr_private_segment_buffer 1
		.amdhsa_user_sgpr_dispatch_ptr 0
		.amdhsa_user_sgpr_queue_ptr 0
		.amdhsa_user_sgpr_kernarg_segment_ptr 1
		.amdhsa_user_sgpr_dispatch_id 0
		.amdhsa_user_sgpr_flat_scratch_init 0
		.amdhsa_user_sgpr_private_segment_size 0
		.amdhsa_wavefront_size32 1
		.amdhsa_uses_dynamic_stack 0
		.amdhsa_system_sgpr_private_segment_wavefront_offset 0
		.amdhsa_system_sgpr_workgroup_id_x 1
		.amdhsa_system_sgpr_workgroup_id_y 0
		.amdhsa_system_sgpr_workgroup_id_z 0
		.amdhsa_system_sgpr_workgroup_info 0
		.amdhsa_system_vgpr_workitem_id 0
		.amdhsa_next_free_vgpr 15
		.amdhsa_next_free_sgpr 25
		.amdhsa_reserve_vcc 1
		.amdhsa_reserve_flat_scratch 0
		.amdhsa_float_round_mode_32 0
		.amdhsa_float_round_mode_16_64 0
		.amdhsa_float_denorm_mode_32 3
		.amdhsa_float_denorm_mode_16_64 3
		.amdhsa_dx10_clamp 1
		.amdhsa_ieee_mode 1
		.amdhsa_fp16_overflow 0
		.amdhsa_workgroup_processor_mode 1
		.amdhsa_memory_ordered 1
		.amdhsa_forward_progress 1
		.amdhsa_shared_vgpr_count 0
		.amdhsa_exception_fp_ieee_invalid_op 0
		.amdhsa_exception_fp_denorm_src 0
		.amdhsa_exception_fp_ieee_div_zero 0
		.amdhsa_exception_fp_ieee_overflow 0
		.amdhsa_exception_fp_ieee_underflow 0
		.amdhsa_exception_fp_ieee_inexact 0
		.amdhsa_exception_int_div_zero 0
	.end_amdhsa_kernel
	.section	.text._ZN7rocprim17ROCPRIM_400000_NS6detail17trampoline_kernelINS0_14default_configENS1_32segmented_reduce_config_selectorIN3c104HalfEEEZNS1_21segmented_reduce_implIS3_PKS6_PS6_PKlS6_N6hipcub16HIPCUB_304000_NS6detail27convert_result_type_wrapperISA_SB_N2at6native12_GLOBAL__N_19CustomMaxEEEEE10hipError_tPvRmT0_T1_jT2_SS_T4_T3_P12ihipStream_tbEUlT_E_NS1_11comp_targetILNS1_3genE8ELNS1_11target_archE1030ELNS1_3gpuE2ELNS1_3repE0EEENS1_30default_config_static_selectorELNS0_4arch9wavefront6targetE0EEEvSR_,"axG",@progbits,_ZN7rocprim17ROCPRIM_400000_NS6detail17trampoline_kernelINS0_14default_configENS1_32segmented_reduce_config_selectorIN3c104HalfEEEZNS1_21segmented_reduce_implIS3_PKS6_PS6_PKlS6_N6hipcub16HIPCUB_304000_NS6detail27convert_result_type_wrapperISA_SB_N2at6native12_GLOBAL__N_19CustomMaxEEEEE10hipError_tPvRmT0_T1_jT2_SS_T4_T3_P12ihipStream_tbEUlT_E_NS1_11comp_targetILNS1_3genE8ELNS1_11target_archE1030ELNS1_3gpuE2ELNS1_3repE0EEENS1_30default_config_static_selectorELNS0_4arch9wavefront6targetE0EEEvSR_,comdat
.Lfunc_end220:
	.size	_ZN7rocprim17ROCPRIM_400000_NS6detail17trampoline_kernelINS0_14default_configENS1_32segmented_reduce_config_selectorIN3c104HalfEEEZNS1_21segmented_reduce_implIS3_PKS6_PS6_PKlS6_N6hipcub16HIPCUB_304000_NS6detail27convert_result_type_wrapperISA_SB_N2at6native12_GLOBAL__N_19CustomMaxEEEEE10hipError_tPvRmT0_T1_jT2_SS_T4_T3_P12ihipStream_tbEUlT_E_NS1_11comp_targetILNS1_3genE8ELNS1_11target_archE1030ELNS1_3gpuE2ELNS1_3repE0EEENS1_30default_config_static_selectorELNS0_4arch9wavefront6targetE0EEEvSR_, .Lfunc_end220-_ZN7rocprim17ROCPRIM_400000_NS6detail17trampoline_kernelINS0_14default_configENS1_32segmented_reduce_config_selectorIN3c104HalfEEEZNS1_21segmented_reduce_implIS3_PKS6_PS6_PKlS6_N6hipcub16HIPCUB_304000_NS6detail27convert_result_type_wrapperISA_SB_N2at6native12_GLOBAL__N_19CustomMaxEEEEE10hipError_tPvRmT0_T1_jT2_SS_T4_T3_P12ihipStream_tbEUlT_E_NS1_11comp_targetILNS1_3genE8ELNS1_11target_archE1030ELNS1_3gpuE2ELNS1_3repE0EEENS1_30default_config_static_selectorELNS0_4arch9wavefront6targetE0EEEvSR_
                                        ; -- End function
	.set _ZN7rocprim17ROCPRIM_400000_NS6detail17trampoline_kernelINS0_14default_configENS1_32segmented_reduce_config_selectorIN3c104HalfEEEZNS1_21segmented_reduce_implIS3_PKS6_PS6_PKlS6_N6hipcub16HIPCUB_304000_NS6detail27convert_result_type_wrapperISA_SB_N2at6native12_GLOBAL__N_19CustomMaxEEEEE10hipError_tPvRmT0_T1_jT2_SS_T4_T3_P12ihipStream_tbEUlT_E_NS1_11comp_targetILNS1_3genE8ELNS1_11target_archE1030ELNS1_3gpuE2ELNS1_3repE0EEENS1_30default_config_static_selectorELNS0_4arch9wavefront6targetE0EEEvSR_.num_vgpr, 15
	.set _ZN7rocprim17ROCPRIM_400000_NS6detail17trampoline_kernelINS0_14default_configENS1_32segmented_reduce_config_selectorIN3c104HalfEEEZNS1_21segmented_reduce_implIS3_PKS6_PS6_PKlS6_N6hipcub16HIPCUB_304000_NS6detail27convert_result_type_wrapperISA_SB_N2at6native12_GLOBAL__N_19CustomMaxEEEEE10hipError_tPvRmT0_T1_jT2_SS_T4_T3_P12ihipStream_tbEUlT_E_NS1_11comp_targetILNS1_3genE8ELNS1_11target_archE1030ELNS1_3gpuE2ELNS1_3repE0EEENS1_30default_config_static_selectorELNS0_4arch9wavefront6targetE0EEEvSR_.num_agpr, 0
	.set _ZN7rocprim17ROCPRIM_400000_NS6detail17trampoline_kernelINS0_14default_configENS1_32segmented_reduce_config_selectorIN3c104HalfEEEZNS1_21segmented_reduce_implIS3_PKS6_PS6_PKlS6_N6hipcub16HIPCUB_304000_NS6detail27convert_result_type_wrapperISA_SB_N2at6native12_GLOBAL__N_19CustomMaxEEEEE10hipError_tPvRmT0_T1_jT2_SS_T4_T3_P12ihipStream_tbEUlT_E_NS1_11comp_targetILNS1_3genE8ELNS1_11target_archE1030ELNS1_3gpuE2ELNS1_3repE0EEENS1_30default_config_static_selectorELNS0_4arch9wavefront6targetE0EEEvSR_.numbered_sgpr, 25
	.set _ZN7rocprim17ROCPRIM_400000_NS6detail17trampoline_kernelINS0_14default_configENS1_32segmented_reduce_config_selectorIN3c104HalfEEEZNS1_21segmented_reduce_implIS3_PKS6_PS6_PKlS6_N6hipcub16HIPCUB_304000_NS6detail27convert_result_type_wrapperISA_SB_N2at6native12_GLOBAL__N_19CustomMaxEEEEE10hipError_tPvRmT0_T1_jT2_SS_T4_T3_P12ihipStream_tbEUlT_E_NS1_11comp_targetILNS1_3genE8ELNS1_11target_archE1030ELNS1_3gpuE2ELNS1_3repE0EEENS1_30default_config_static_selectorELNS0_4arch9wavefront6targetE0EEEvSR_.num_named_barrier, 0
	.set _ZN7rocprim17ROCPRIM_400000_NS6detail17trampoline_kernelINS0_14default_configENS1_32segmented_reduce_config_selectorIN3c104HalfEEEZNS1_21segmented_reduce_implIS3_PKS6_PS6_PKlS6_N6hipcub16HIPCUB_304000_NS6detail27convert_result_type_wrapperISA_SB_N2at6native12_GLOBAL__N_19CustomMaxEEEEE10hipError_tPvRmT0_T1_jT2_SS_T4_T3_P12ihipStream_tbEUlT_E_NS1_11comp_targetILNS1_3genE8ELNS1_11target_archE1030ELNS1_3gpuE2ELNS1_3repE0EEENS1_30default_config_static_selectorELNS0_4arch9wavefront6targetE0EEEvSR_.private_seg_size, 0
	.set _ZN7rocprim17ROCPRIM_400000_NS6detail17trampoline_kernelINS0_14default_configENS1_32segmented_reduce_config_selectorIN3c104HalfEEEZNS1_21segmented_reduce_implIS3_PKS6_PS6_PKlS6_N6hipcub16HIPCUB_304000_NS6detail27convert_result_type_wrapperISA_SB_N2at6native12_GLOBAL__N_19CustomMaxEEEEE10hipError_tPvRmT0_T1_jT2_SS_T4_T3_P12ihipStream_tbEUlT_E_NS1_11comp_targetILNS1_3genE8ELNS1_11target_archE1030ELNS1_3gpuE2ELNS1_3repE0EEENS1_30default_config_static_selectorELNS0_4arch9wavefront6targetE0EEEvSR_.uses_vcc, 1
	.set _ZN7rocprim17ROCPRIM_400000_NS6detail17trampoline_kernelINS0_14default_configENS1_32segmented_reduce_config_selectorIN3c104HalfEEEZNS1_21segmented_reduce_implIS3_PKS6_PS6_PKlS6_N6hipcub16HIPCUB_304000_NS6detail27convert_result_type_wrapperISA_SB_N2at6native12_GLOBAL__N_19CustomMaxEEEEE10hipError_tPvRmT0_T1_jT2_SS_T4_T3_P12ihipStream_tbEUlT_E_NS1_11comp_targetILNS1_3genE8ELNS1_11target_archE1030ELNS1_3gpuE2ELNS1_3repE0EEENS1_30default_config_static_selectorELNS0_4arch9wavefront6targetE0EEEvSR_.uses_flat_scratch, 0
	.set _ZN7rocprim17ROCPRIM_400000_NS6detail17trampoline_kernelINS0_14default_configENS1_32segmented_reduce_config_selectorIN3c104HalfEEEZNS1_21segmented_reduce_implIS3_PKS6_PS6_PKlS6_N6hipcub16HIPCUB_304000_NS6detail27convert_result_type_wrapperISA_SB_N2at6native12_GLOBAL__N_19CustomMaxEEEEE10hipError_tPvRmT0_T1_jT2_SS_T4_T3_P12ihipStream_tbEUlT_E_NS1_11comp_targetILNS1_3genE8ELNS1_11target_archE1030ELNS1_3gpuE2ELNS1_3repE0EEENS1_30default_config_static_selectorELNS0_4arch9wavefront6targetE0EEEvSR_.has_dyn_sized_stack, 0
	.set _ZN7rocprim17ROCPRIM_400000_NS6detail17trampoline_kernelINS0_14default_configENS1_32segmented_reduce_config_selectorIN3c104HalfEEEZNS1_21segmented_reduce_implIS3_PKS6_PS6_PKlS6_N6hipcub16HIPCUB_304000_NS6detail27convert_result_type_wrapperISA_SB_N2at6native12_GLOBAL__N_19CustomMaxEEEEE10hipError_tPvRmT0_T1_jT2_SS_T4_T3_P12ihipStream_tbEUlT_E_NS1_11comp_targetILNS1_3genE8ELNS1_11target_archE1030ELNS1_3gpuE2ELNS1_3repE0EEENS1_30default_config_static_selectorELNS0_4arch9wavefront6targetE0EEEvSR_.has_recursion, 0
	.set _ZN7rocprim17ROCPRIM_400000_NS6detail17trampoline_kernelINS0_14default_configENS1_32segmented_reduce_config_selectorIN3c104HalfEEEZNS1_21segmented_reduce_implIS3_PKS6_PS6_PKlS6_N6hipcub16HIPCUB_304000_NS6detail27convert_result_type_wrapperISA_SB_N2at6native12_GLOBAL__N_19CustomMaxEEEEE10hipError_tPvRmT0_T1_jT2_SS_T4_T3_P12ihipStream_tbEUlT_E_NS1_11comp_targetILNS1_3genE8ELNS1_11target_archE1030ELNS1_3gpuE2ELNS1_3repE0EEENS1_30default_config_static_selectorELNS0_4arch9wavefront6targetE0EEEvSR_.has_indirect_call, 0
	.section	.AMDGPU.csdata,"",@progbits
; Kernel info:
; codeLenInByte = 4840
; TotalNumSgprs: 27
; NumVgprs: 15
; ScratchSize: 0
; MemoryBound: 0
; FloatMode: 240
; IeeeMode: 1
; LDSByteSize: 16 bytes/workgroup (compile time only)
; SGPRBlocks: 0
; VGPRBlocks: 1
; NumSGPRsForWavesPerEU: 27
; NumVGPRsForWavesPerEU: 15
; Occupancy: 16
; WaveLimiterHint : 1
; COMPUTE_PGM_RSRC2:SCRATCH_EN: 0
; COMPUTE_PGM_RSRC2:USER_SGPR: 6
; COMPUTE_PGM_RSRC2:TRAP_HANDLER: 0
; COMPUTE_PGM_RSRC2:TGID_X_EN: 1
; COMPUTE_PGM_RSRC2:TGID_Y_EN: 0
; COMPUTE_PGM_RSRC2:TGID_Z_EN: 0
; COMPUTE_PGM_RSRC2:TIDIG_COMP_CNT: 0
	.section	.text._ZN7rocprim17ROCPRIM_400000_NS6detail17trampoline_kernelINS0_14default_configENS1_32segmented_reduce_config_selectorIN3c104HalfEEEZNS1_21segmented_reduce_implIS3_PKS6_PS6_PKlS6_N6hipcub16HIPCUB_304000_NS6detail27convert_result_type_wrapperISA_SB_N2at6native12_GLOBAL__N_19CustomSumEEEEE10hipError_tPvRmT0_T1_jT2_SS_T4_T3_P12ihipStream_tbEUlT_E_NS1_11comp_targetILNS1_3genE0ELNS1_11target_archE4294967295ELNS1_3gpuE0ELNS1_3repE0EEENS1_30default_config_static_selectorELNS0_4arch9wavefront6targetE0EEEvSR_,"axG",@progbits,_ZN7rocprim17ROCPRIM_400000_NS6detail17trampoline_kernelINS0_14default_configENS1_32segmented_reduce_config_selectorIN3c104HalfEEEZNS1_21segmented_reduce_implIS3_PKS6_PS6_PKlS6_N6hipcub16HIPCUB_304000_NS6detail27convert_result_type_wrapperISA_SB_N2at6native12_GLOBAL__N_19CustomSumEEEEE10hipError_tPvRmT0_T1_jT2_SS_T4_T3_P12ihipStream_tbEUlT_E_NS1_11comp_targetILNS1_3genE0ELNS1_11target_archE4294967295ELNS1_3gpuE0ELNS1_3repE0EEENS1_30default_config_static_selectorELNS0_4arch9wavefront6targetE0EEEvSR_,comdat
	.globl	_ZN7rocprim17ROCPRIM_400000_NS6detail17trampoline_kernelINS0_14default_configENS1_32segmented_reduce_config_selectorIN3c104HalfEEEZNS1_21segmented_reduce_implIS3_PKS6_PS6_PKlS6_N6hipcub16HIPCUB_304000_NS6detail27convert_result_type_wrapperISA_SB_N2at6native12_GLOBAL__N_19CustomSumEEEEE10hipError_tPvRmT0_T1_jT2_SS_T4_T3_P12ihipStream_tbEUlT_E_NS1_11comp_targetILNS1_3genE0ELNS1_11target_archE4294967295ELNS1_3gpuE0ELNS1_3repE0EEENS1_30default_config_static_selectorELNS0_4arch9wavefront6targetE0EEEvSR_ ; -- Begin function _ZN7rocprim17ROCPRIM_400000_NS6detail17trampoline_kernelINS0_14default_configENS1_32segmented_reduce_config_selectorIN3c104HalfEEEZNS1_21segmented_reduce_implIS3_PKS6_PS6_PKlS6_N6hipcub16HIPCUB_304000_NS6detail27convert_result_type_wrapperISA_SB_N2at6native12_GLOBAL__N_19CustomSumEEEEE10hipError_tPvRmT0_T1_jT2_SS_T4_T3_P12ihipStream_tbEUlT_E_NS1_11comp_targetILNS1_3genE0ELNS1_11target_archE4294967295ELNS1_3gpuE0ELNS1_3repE0EEENS1_30default_config_static_selectorELNS0_4arch9wavefront6targetE0EEEvSR_
	.p2align	8
	.type	_ZN7rocprim17ROCPRIM_400000_NS6detail17trampoline_kernelINS0_14default_configENS1_32segmented_reduce_config_selectorIN3c104HalfEEEZNS1_21segmented_reduce_implIS3_PKS6_PS6_PKlS6_N6hipcub16HIPCUB_304000_NS6detail27convert_result_type_wrapperISA_SB_N2at6native12_GLOBAL__N_19CustomSumEEEEE10hipError_tPvRmT0_T1_jT2_SS_T4_T3_P12ihipStream_tbEUlT_E_NS1_11comp_targetILNS1_3genE0ELNS1_11target_archE4294967295ELNS1_3gpuE0ELNS1_3repE0EEENS1_30default_config_static_selectorELNS0_4arch9wavefront6targetE0EEEvSR_,@function
_ZN7rocprim17ROCPRIM_400000_NS6detail17trampoline_kernelINS0_14default_configENS1_32segmented_reduce_config_selectorIN3c104HalfEEEZNS1_21segmented_reduce_implIS3_PKS6_PS6_PKlS6_N6hipcub16HIPCUB_304000_NS6detail27convert_result_type_wrapperISA_SB_N2at6native12_GLOBAL__N_19CustomSumEEEEE10hipError_tPvRmT0_T1_jT2_SS_T4_T3_P12ihipStream_tbEUlT_E_NS1_11comp_targetILNS1_3genE0ELNS1_11target_archE4294967295ELNS1_3gpuE0ELNS1_3repE0EEENS1_30default_config_static_selectorELNS0_4arch9wavefront6targetE0EEEvSR_: ; @_ZN7rocprim17ROCPRIM_400000_NS6detail17trampoline_kernelINS0_14default_configENS1_32segmented_reduce_config_selectorIN3c104HalfEEEZNS1_21segmented_reduce_implIS3_PKS6_PS6_PKlS6_N6hipcub16HIPCUB_304000_NS6detail27convert_result_type_wrapperISA_SB_N2at6native12_GLOBAL__N_19CustomSumEEEEE10hipError_tPvRmT0_T1_jT2_SS_T4_T3_P12ihipStream_tbEUlT_E_NS1_11comp_targetILNS1_3genE0ELNS1_11target_archE4294967295ELNS1_3gpuE0ELNS1_3repE0EEENS1_30default_config_static_selectorELNS0_4arch9wavefront6targetE0EEEvSR_
; %bb.0:
	.section	.rodata,"a",@progbits
	.p2align	6, 0x0
	.amdhsa_kernel _ZN7rocprim17ROCPRIM_400000_NS6detail17trampoline_kernelINS0_14default_configENS1_32segmented_reduce_config_selectorIN3c104HalfEEEZNS1_21segmented_reduce_implIS3_PKS6_PS6_PKlS6_N6hipcub16HIPCUB_304000_NS6detail27convert_result_type_wrapperISA_SB_N2at6native12_GLOBAL__N_19CustomSumEEEEE10hipError_tPvRmT0_T1_jT2_SS_T4_T3_P12ihipStream_tbEUlT_E_NS1_11comp_targetILNS1_3genE0ELNS1_11target_archE4294967295ELNS1_3gpuE0ELNS1_3repE0EEENS1_30default_config_static_selectorELNS0_4arch9wavefront6targetE0EEEvSR_
		.amdhsa_group_segment_fixed_size 0
		.amdhsa_private_segment_fixed_size 0
		.amdhsa_kernarg_size 48
		.amdhsa_user_sgpr_count 6
		.amdhsa_user_sgpr_private_segment_buffer 1
		.amdhsa_user_sgpr_dispatch_ptr 0
		.amdhsa_user_sgpr_queue_ptr 0
		.amdhsa_user_sgpr_kernarg_segment_ptr 1
		.amdhsa_user_sgpr_dispatch_id 0
		.amdhsa_user_sgpr_flat_scratch_init 0
		.amdhsa_user_sgpr_private_segment_size 0
		.amdhsa_wavefront_size32 1
		.amdhsa_uses_dynamic_stack 0
		.amdhsa_system_sgpr_private_segment_wavefront_offset 0
		.amdhsa_system_sgpr_workgroup_id_x 1
		.amdhsa_system_sgpr_workgroup_id_y 0
		.amdhsa_system_sgpr_workgroup_id_z 0
		.amdhsa_system_sgpr_workgroup_info 0
		.amdhsa_system_vgpr_workitem_id 0
		.amdhsa_next_free_vgpr 1
		.amdhsa_next_free_sgpr 1
		.amdhsa_reserve_vcc 0
		.amdhsa_reserve_flat_scratch 0
		.amdhsa_float_round_mode_32 0
		.amdhsa_float_round_mode_16_64 0
		.amdhsa_float_denorm_mode_32 3
		.amdhsa_float_denorm_mode_16_64 3
		.amdhsa_dx10_clamp 1
		.amdhsa_ieee_mode 1
		.amdhsa_fp16_overflow 0
		.amdhsa_workgroup_processor_mode 1
		.amdhsa_memory_ordered 1
		.amdhsa_forward_progress 1
		.amdhsa_shared_vgpr_count 0
		.amdhsa_exception_fp_ieee_invalid_op 0
		.amdhsa_exception_fp_denorm_src 0
		.amdhsa_exception_fp_ieee_div_zero 0
		.amdhsa_exception_fp_ieee_overflow 0
		.amdhsa_exception_fp_ieee_underflow 0
		.amdhsa_exception_fp_ieee_inexact 0
		.amdhsa_exception_int_div_zero 0
	.end_amdhsa_kernel
	.section	.text._ZN7rocprim17ROCPRIM_400000_NS6detail17trampoline_kernelINS0_14default_configENS1_32segmented_reduce_config_selectorIN3c104HalfEEEZNS1_21segmented_reduce_implIS3_PKS6_PS6_PKlS6_N6hipcub16HIPCUB_304000_NS6detail27convert_result_type_wrapperISA_SB_N2at6native12_GLOBAL__N_19CustomSumEEEEE10hipError_tPvRmT0_T1_jT2_SS_T4_T3_P12ihipStream_tbEUlT_E_NS1_11comp_targetILNS1_3genE0ELNS1_11target_archE4294967295ELNS1_3gpuE0ELNS1_3repE0EEENS1_30default_config_static_selectorELNS0_4arch9wavefront6targetE0EEEvSR_,"axG",@progbits,_ZN7rocprim17ROCPRIM_400000_NS6detail17trampoline_kernelINS0_14default_configENS1_32segmented_reduce_config_selectorIN3c104HalfEEEZNS1_21segmented_reduce_implIS3_PKS6_PS6_PKlS6_N6hipcub16HIPCUB_304000_NS6detail27convert_result_type_wrapperISA_SB_N2at6native12_GLOBAL__N_19CustomSumEEEEE10hipError_tPvRmT0_T1_jT2_SS_T4_T3_P12ihipStream_tbEUlT_E_NS1_11comp_targetILNS1_3genE0ELNS1_11target_archE4294967295ELNS1_3gpuE0ELNS1_3repE0EEENS1_30default_config_static_selectorELNS0_4arch9wavefront6targetE0EEEvSR_,comdat
.Lfunc_end221:
	.size	_ZN7rocprim17ROCPRIM_400000_NS6detail17trampoline_kernelINS0_14default_configENS1_32segmented_reduce_config_selectorIN3c104HalfEEEZNS1_21segmented_reduce_implIS3_PKS6_PS6_PKlS6_N6hipcub16HIPCUB_304000_NS6detail27convert_result_type_wrapperISA_SB_N2at6native12_GLOBAL__N_19CustomSumEEEEE10hipError_tPvRmT0_T1_jT2_SS_T4_T3_P12ihipStream_tbEUlT_E_NS1_11comp_targetILNS1_3genE0ELNS1_11target_archE4294967295ELNS1_3gpuE0ELNS1_3repE0EEENS1_30default_config_static_selectorELNS0_4arch9wavefront6targetE0EEEvSR_, .Lfunc_end221-_ZN7rocprim17ROCPRIM_400000_NS6detail17trampoline_kernelINS0_14default_configENS1_32segmented_reduce_config_selectorIN3c104HalfEEEZNS1_21segmented_reduce_implIS3_PKS6_PS6_PKlS6_N6hipcub16HIPCUB_304000_NS6detail27convert_result_type_wrapperISA_SB_N2at6native12_GLOBAL__N_19CustomSumEEEEE10hipError_tPvRmT0_T1_jT2_SS_T4_T3_P12ihipStream_tbEUlT_E_NS1_11comp_targetILNS1_3genE0ELNS1_11target_archE4294967295ELNS1_3gpuE0ELNS1_3repE0EEENS1_30default_config_static_selectorELNS0_4arch9wavefront6targetE0EEEvSR_
                                        ; -- End function
	.set _ZN7rocprim17ROCPRIM_400000_NS6detail17trampoline_kernelINS0_14default_configENS1_32segmented_reduce_config_selectorIN3c104HalfEEEZNS1_21segmented_reduce_implIS3_PKS6_PS6_PKlS6_N6hipcub16HIPCUB_304000_NS6detail27convert_result_type_wrapperISA_SB_N2at6native12_GLOBAL__N_19CustomSumEEEEE10hipError_tPvRmT0_T1_jT2_SS_T4_T3_P12ihipStream_tbEUlT_E_NS1_11comp_targetILNS1_3genE0ELNS1_11target_archE4294967295ELNS1_3gpuE0ELNS1_3repE0EEENS1_30default_config_static_selectorELNS0_4arch9wavefront6targetE0EEEvSR_.num_vgpr, 0
	.set _ZN7rocprim17ROCPRIM_400000_NS6detail17trampoline_kernelINS0_14default_configENS1_32segmented_reduce_config_selectorIN3c104HalfEEEZNS1_21segmented_reduce_implIS3_PKS6_PS6_PKlS6_N6hipcub16HIPCUB_304000_NS6detail27convert_result_type_wrapperISA_SB_N2at6native12_GLOBAL__N_19CustomSumEEEEE10hipError_tPvRmT0_T1_jT2_SS_T4_T3_P12ihipStream_tbEUlT_E_NS1_11comp_targetILNS1_3genE0ELNS1_11target_archE4294967295ELNS1_3gpuE0ELNS1_3repE0EEENS1_30default_config_static_selectorELNS0_4arch9wavefront6targetE0EEEvSR_.num_agpr, 0
	.set _ZN7rocprim17ROCPRIM_400000_NS6detail17trampoline_kernelINS0_14default_configENS1_32segmented_reduce_config_selectorIN3c104HalfEEEZNS1_21segmented_reduce_implIS3_PKS6_PS6_PKlS6_N6hipcub16HIPCUB_304000_NS6detail27convert_result_type_wrapperISA_SB_N2at6native12_GLOBAL__N_19CustomSumEEEEE10hipError_tPvRmT0_T1_jT2_SS_T4_T3_P12ihipStream_tbEUlT_E_NS1_11comp_targetILNS1_3genE0ELNS1_11target_archE4294967295ELNS1_3gpuE0ELNS1_3repE0EEENS1_30default_config_static_selectorELNS0_4arch9wavefront6targetE0EEEvSR_.numbered_sgpr, 0
	.set _ZN7rocprim17ROCPRIM_400000_NS6detail17trampoline_kernelINS0_14default_configENS1_32segmented_reduce_config_selectorIN3c104HalfEEEZNS1_21segmented_reduce_implIS3_PKS6_PS6_PKlS6_N6hipcub16HIPCUB_304000_NS6detail27convert_result_type_wrapperISA_SB_N2at6native12_GLOBAL__N_19CustomSumEEEEE10hipError_tPvRmT0_T1_jT2_SS_T4_T3_P12ihipStream_tbEUlT_E_NS1_11comp_targetILNS1_3genE0ELNS1_11target_archE4294967295ELNS1_3gpuE0ELNS1_3repE0EEENS1_30default_config_static_selectorELNS0_4arch9wavefront6targetE0EEEvSR_.num_named_barrier, 0
	.set _ZN7rocprim17ROCPRIM_400000_NS6detail17trampoline_kernelINS0_14default_configENS1_32segmented_reduce_config_selectorIN3c104HalfEEEZNS1_21segmented_reduce_implIS3_PKS6_PS6_PKlS6_N6hipcub16HIPCUB_304000_NS6detail27convert_result_type_wrapperISA_SB_N2at6native12_GLOBAL__N_19CustomSumEEEEE10hipError_tPvRmT0_T1_jT2_SS_T4_T3_P12ihipStream_tbEUlT_E_NS1_11comp_targetILNS1_3genE0ELNS1_11target_archE4294967295ELNS1_3gpuE0ELNS1_3repE0EEENS1_30default_config_static_selectorELNS0_4arch9wavefront6targetE0EEEvSR_.private_seg_size, 0
	.set _ZN7rocprim17ROCPRIM_400000_NS6detail17trampoline_kernelINS0_14default_configENS1_32segmented_reduce_config_selectorIN3c104HalfEEEZNS1_21segmented_reduce_implIS3_PKS6_PS6_PKlS6_N6hipcub16HIPCUB_304000_NS6detail27convert_result_type_wrapperISA_SB_N2at6native12_GLOBAL__N_19CustomSumEEEEE10hipError_tPvRmT0_T1_jT2_SS_T4_T3_P12ihipStream_tbEUlT_E_NS1_11comp_targetILNS1_3genE0ELNS1_11target_archE4294967295ELNS1_3gpuE0ELNS1_3repE0EEENS1_30default_config_static_selectorELNS0_4arch9wavefront6targetE0EEEvSR_.uses_vcc, 0
	.set _ZN7rocprim17ROCPRIM_400000_NS6detail17trampoline_kernelINS0_14default_configENS1_32segmented_reduce_config_selectorIN3c104HalfEEEZNS1_21segmented_reduce_implIS3_PKS6_PS6_PKlS6_N6hipcub16HIPCUB_304000_NS6detail27convert_result_type_wrapperISA_SB_N2at6native12_GLOBAL__N_19CustomSumEEEEE10hipError_tPvRmT0_T1_jT2_SS_T4_T3_P12ihipStream_tbEUlT_E_NS1_11comp_targetILNS1_3genE0ELNS1_11target_archE4294967295ELNS1_3gpuE0ELNS1_3repE0EEENS1_30default_config_static_selectorELNS0_4arch9wavefront6targetE0EEEvSR_.uses_flat_scratch, 0
	.set _ZN7rocprim17ROCPRIM_400000_NS6detail17trampoline_kernelINS0_14default_configENS1_32segmented_reduce_config_selectorIN3c104HalfEEEZNS1_21segmented_reduce_implIS3_PKS6_PS6_PKlS6_N6hipcub16HIPCUB_304000_NS6detail27convert_result_type_wrapperISA_SB_N2at6native12_GLOBAL__N_19CustomSumEEEEE10hipError_tPvRmT0_T1_jT2_SS_T4_T3_P12ihipStream_tbEUlT_E_NS1_11comp_targetILNS1_3genE0ELNS1_11target_archE4294967295ELNS1_3gpuE0ELNS1_3repE0EEENS1_30default_config_static_selectorELNS0_4arch9wavefront6targetE0EEEvSR_.has_dyn_sized_stack, 0
	.set _ZN7rocprim17ROCPRIM_400000_NS6detail17trampoline_kernelINS0_14default_configENS1_32segmented_reduce_config_selectorIN3c104HalfEEEZNS1_21segmented_reduce_implIS3_PKS6_PS6_PKlS6_N6hipcub16HIPCUB_304000_NS6detail27convert_result_type_wrapperISA_SB_N2at6native12_GLOBAL__N_19CustomSumEEEEE10hipError_tPvRmT0_T1_jT2_SS_T4_T3_P12ihipStream_tbEUlT_E_NS1_11comp_targetILNS1_3genE0ELNS1_11target_archE4294967295ELNS1_3gpuE0ELNS1_3repE0EEENS1_30default_config_static_selectorELNS0_4arch9wavefront6targetE0EEEvSR_.has_recursion, 0
	.set _ZN7rocprim17ROCPRIM_400000_NS6detail17trampoline_kernelINS0_14default_configENS1_32segmented_reduce_config_selectorIN3c104HalfEEEZNS1_21segmented_reduce_implIS3_PKS6_PS6_PKlS6_N6hipcub16HIPCUB_304000_NS6detail27convert_result_type_wrapperISA_SB_N2at6native12_GLOBAL__N_19CustomSumEEEEE10hipError_tPvRmT0_T1_jT2_SS_T4_T3_P12ihipStream_tbEUlT_E_NS1_11comp_targetILNS1_3genE0ELNS1_11target_archE4294967295ELNS1_3gpuE0ELNS1_3repE0EEENS1_30default_config_static_selectorELNS0_4arch9wavefront6targetE0EEEvSR_.has_indirect_call, 0
	.section	.AMDGPU.csdata,"",@progbits
; Kernel info:
; codeLenInByte = 0
; TotalNumSgprs: 0
; NumVgprs: 0
; ScratchSize: 0
; MemoryBound: 0
; FloatMode: 240
; IeeeMode: 1
; LDSByteSize: 0 bytes/workgroup (compile time only)
; SGPRBlocks: 0
; VGPRBlocks: 0
; NumSGPRsForWavesPerEU: 1
; NumVGPRsForWavesPerEU: 1
; Occupancy: 16
; WaveLimiterHint : 0
; COMPUTE_PGM_RSRC2:SCRATCH_EN: 0
; COMPUTE_PGM_RSRC2:USER_SGPR: 6
; COMPUTE_PGM_RSRC2:TRAP_HANDLER: 0
; COMPUTE_PGM_RSRC2:TGID_X_EN: 1
; COMPUTE_PGM_RSRC2:TGID_Y_EN: 0
; COMPUTE_PGM_RSRC2:TGID_Z_EN: 0
; COMPUTE_PGM_RSRC2:TIDIG_COMP_CNT: 0
	.section	.text._ZN7rocprim17ROCPRIM_400000_NS6detail17trampoline_kernelINS0_14default_configENS1_32segmented_reduce_config_selectorIN3c104HalfEEEZNS1_21segmented_reduce_implIS3_PKS6_PS6_PKlS6_N6hipcub16HIPCUB_304000_NS6detail27convert_result_type_wrapperISA_SB_N2at6native12_GLOBAL__N_19CustomSumEEEEE10hipError_tPvRmT0_T1_jT2_SS_T4_T3_P12ihipStream_tbEUlT_E_NS1_11comp_targetILNS1_3genE5ELNS1_11target_archE942ELNS1_3gpuE9ELNS1_3repE0EEENS1_30default_config_static_selectorELNS0_4arch9wavefront6targetE0EEEvSR_,"axG",@progbits,_ZN7rocprim17ROCPRIM_400000_NS6detail17trampoline_kernelINS0_14default_configENS1_32segmented_reduce_config_selectorIN3c104HalfEEEZNS1_21segmented_reduce_implIS3_PKS6_PS6_PKlS6_N6hipcub16HIPCUB_304000_NS6detail27convert_result_type_wrapperISA_SB_N2at6native12_GLOBAL__N_19CustomSumEEEEE10hipError_tPvRmT0_T1_jT2_SS_T4_T3_P12ihipStream_tbEUlT_E_NS1_11comp_targetILNS1_3genE5ELNS1_11target_archE942ELNS1_3gpuE9ELNS1_3repE0EEENS1_30default_config_static_selectorELNS0_4arch9wavefront6targetE0EEEvSR_,comdat
	.globl	_ZN7rocprim17ROCPRIM_400000_NS6detail17trampoline_kernelINS0_14default_configENS1_32segmented_reduce_config_selectorIN3c104HalfEEEZNS1_21segmented_reduce_implIS3_PKS6_PS6_PKlS6_N6hipcub16HIPCUB_304000_NS6detail27convert_result_type_wrapperISA_SB_N2at6native12_GLOBAL__N_19CustomSumEEEEE10hipError_tPvRmT0_T1_jT2_SS_T4_T3_P12ihipStream_tbEUlT_E_NS1_11comp_targetILNS1_3genE5ELNS1_11target_archE942ELNS1_3gpuE9ELNS1_3repE0EEENS1_30default_config_static_selectorELNS0_4arch9wavefront6targetE0EEEvSR_ ; -- Begin function _ZN7rocprim17ROCPRIM_400000_NS6detail17trampoline_kernelINS0_14default_configENS1_32segmented_reduce_config_selectorIN3c104HalfEEEZNS1_21segmented_reduce_implIS3_PKS6_PS6_PKlS6_N6hipcub16HIPCUB_304000_NS6detail27convert_result_type_wrapperISA_SB_N2at6native12_GLOBAL__N_19CustomSumEEEEE10hipError_tPvRmT0_T1_jT2_SS_T4_T3_P12ihipStream_tbEUlT_E_NS1_11comp_targetILNS1_3genE5ELNS1_11target_archE942ELNS1_3gpuE9ELNS1_3repE0EEENS1_30default_config_static_selectorELNS0_4arch9wavefront6targetE0EEEvSR_
	.p2align	8
	.type	_ZN7rocprim17ROCPRIM_400000_NS6detail17trampoline_kernelINS0_14default_configENS1_32segmented_reduce_config_selectorIN3c104HalfEEEZNS1_21segmented_reduce_implIS3_PKS6_PS6_PKlS6_N6hipcub16HIPCUB_304000_NS6detail27convert_result_type_wrapperISA_SB_N2at6native12_GLOBAL__N_19CustomSumEEEEE10hipError_tPvRmT0_T1_jT2_SS_T4_T3_P12ihipStream_tbEUlT_E_NS1_11comp_targetILNS1_3genE5ELNS1_11target_archE942ELNS1_3gpuE9ELNS1_3repE0EEENS1_30default_config_static_selectorELNS0_4arch9wavefront6targetE0EEEvSR_,@function
_ZN7rocprim17ROCPRIM_400000_NS6detail17trampoline_kernelINS0_14default_configENS1_32segmented_reduce_config_selectorIN3c104HalfEEEZNS1_21segmented_reduce_implIS3_PKS6_PS6_PKlS6_N6hipcub16HIPCUB_304000_NS6detail27convert_result_type_wrapperISA_SB_N2at6native12_GLOBAL__N_19CustomSumEEEEE10hipError_tPvRmT0_T1_jT2_SS_T4_T3_P12ihipStream_tbEUlT_E_NS1_11comp_targetILNS1_3genE5ELNS1_11target_archE942ELNS1_3gpuE9ELNS1_3repE0EEENS1_30default_config_static_selectorELNS0_4arch9wavefront6targetE0EEEvSR_: ; @_ZN7rocprim17ROCPRIM_400000_NS6detail17trampoline_kernelINS0_14default_configENS1_32segmented_reduce_config_selectorIN3c104HalfEEEZNS1_21segmented_reduce_implIS3_PKS6_PS6_PKlS6_N6hipcub16HIPCUB_304000_NS6detail27convert_result_type_wrapperISA_SB_N2at6native12_GLOBAL__N_19CustomSumEEEEE10hipError_tPvRmT0_T1_jT2_SS_T4_T3_P12ihipStream_tbEUlT_E_NS1_11comp_targetILNS1_3genE5ELNS1_11target_archE942ELNS1_3gpuE9ELNS1_3repE0EEENS1_30default_config_static_selectorELNS0_4arch9wavefront6targetE0EEEvSR_
; %bb.0:
	.section	.rodata,"a",@progbits
	.p2align	6, 0x0
	.amdhsa_kernel _ZN7rocprim17ROCPRIM_400000_NS6detail17trampoline_kernelINS0_14default_configENS1_32segmented_reduce_config_selectorIN3c104HalfEEEZNS1_21segmented_reduce_implIS3_PKS6_PS6_PKlS6_N6hipcub16HIPCUB_304000_NS6detail27convert_result_type_wrapperISA_SB_N2at6native12_GLOBAL__N_19CustomSumEEEEE10hipError_tPvRmT0_T1_jT2_SS_T4_T3_P12ihipStream_tbEUlT_E_NS1_11comp_targetILNS1_3genE5ELNS1_11target_archE942ELNS1_3gpuE9ELNS1_3repE0EEENS1_30default_config_static_selectorELNS0_4arch9wavefront6targetE0EEEvSR_
		.amdhsa_group_segment_fixed_size 0
		.amdhsa_private_segment_fixed_size 0
		.amdhsa_kernarg_size 48
		.amdhsa_user_sgpr_count 6
		.amdhsa_user_sgpr_private_segment_buffer 1
		.amdhsa_user_sgpr_dispatch_ptr 0
		.amdhsa_user_sgpr_queue_ptr 0
		.amdhsa_user_sgpr_kernarg_segment_ptr 1
		.amdhsa_user_sgpr_dispatch_id 0
		.amdhsa_user_sgpr_flat_scratch_init 0
		.amdhsa_user_sgpr_private_segment_size 0
		.amdhsa_wavefront_size32 1
		.amdhsa_uses_dynamic_stack 0
		.amdhsa_system_sgpr_private_segment_wavefront_offset 0
		.amdhsa_system_sgpr_workgroup_id_x 1
		.amdhsa_system_sgpr_workgroup_id_y 0
		.amdhsa_system_sgpr_workgroup_id_z 0
		.amdhsa_system_sgpr_workgroup_info 0
		.amdhsa_system_vgpr_workitem_id 0
		.amdhsa_next_free_vgpr 1
		.amdhsa_next_free_sgpr 1
		.amdhsa_reserve_vcc 0
		.amdhsa_reserve_flat_scratch 0
		.amdhsa_float_round_mode_32 0
		.amdhsa_float_round_mode_16_64 0
		.amdhsa_float_denorm_mode_32 3
		.amdhsa_float_denorm_mode_16_64 3
		.amdhsa_dx10_clamp 1
		.amdhsa_ieee_mode 1
		.amdhsa_fp16_overflow 0
		.amdhsa_workgroup_processor_mode 1
		.amdhsa_memory_ordered 1
		.amdhsa_forward_progress 1
		.amdhsa_shared_vgpr_count 0
		.amdhsa_exception_fp_ieee_invalid_op 0
		.amdhsa_exception_fp_denorm_src 0
		.amdhsa_exception_fp_ieee_div_zero 0
		.amdhsa_exception_fp_ieee_overflow 0
		.amdhsa_exception_fp_ieee_underflow 0
		.amdhsa_exception_fp_ieee_inexact 0
		.amdhsa_exception_int_div_zero 0
	.end_amdhsa_kernel
	.section	.text._ZN7rocprim17ROCPRIM_400000_NS6detail17trampoline_kernelINS0_14default_configENS1_32segmented_reduce_config_selectorIN3c104HalfEEEZNS1_21segmented_reduce_implIS3_PKS6_PS6_PKlS6_N6hipcub16HIPCUB_304000_NS6detail27convert_result_type_wrapperISA_SB_N2at6native12_GLOBAL__N_19CustomSumEEEEE10hipError_tPvRmT0_T1_jT2_SS_T4_T3_P12ihipStream_tbEUlT_E_NS1_11comp_targetILNS1_3genE5ELNS1_11target_archE942ELNS1_3gpuE9ELNS1_3repE0EEENS1_30default_config_static_selectorELNS0_4arch9wavefront6targetE0EEEvSR_,"axG",@progbits,_ZN7rocprim17ROCPRIM_400000_NS6detail17trampoline_kernelINS0_14default_configENS1_32segmented_reduce_config_selectorIN3c104HalfEEEZNS1_21segmented_reduce_implIS3_PKS6_PS6_PKlS6_N6hipcub16HIPCUB_304000_NS6detail27convert_result_type_wrapperISA_SB_N2at6native12_GLOBAL__N_19CustomSumEEEEE10hipError_tPvRmT0_T1_jT2_SS_T4_T3_P12ihipStream_tbEUlT_E_NS1_11comp_targetILNS1_3genE5ELNS1_11target_archE942ELNS1_3gpuE9ELNS1_3repE0EEENS1_30default_config_static_selectorELNS0_4arch9wavefront6targetE0EEEvSR_,comdat
.Lfunc_end222:
	.size	_ZN7rocprim17ROCPRIM_400000_NS6detail17trampoline_kernelINS0_14default_configENS1_32segmented_reduce_config_selectorIN3c104HalfEEEZNS1_21segmented_reduce_implIS3_PKS6_PS6_PKlS6_N6hipcub16HIPCUB_304000_NS6detail27convert_result_type_wrapperISA_SB_N2at6native12_GLOBAL__N_19CustomSumEEEEE10hipError_tPvRmT0_T1_jT2_SS_T4_T3_P12ihipStream_tbEUlT_E_NS1_11comp_targetILNS1_3genE5ELNS1_11target_archE942ELNS1_3gpuE9ELNS1_3repE0EEENS1_30default_config_static_selectorELNS0_4arch9wavefront6targetE0EEEvSR_, .Lfunc_end222-_ZN7rocprim17ROCPRIM_400000_NS6detail17trampoline_kernelINS0_14default_configENS1_32segmented_reduce_config_selectorIN3c104HalfEEEZNS1_21segmented_reduce_implIS3_PKS6_PS6_PKlS6_N6hipcub16HIPCUB_304000_NS6detail27convert_result_type_wrapperISA_SB_N2at6native12_GLOBAL__N_19CustomSumEEEEE10hipError_tPvRmT0_T1_jT2_SS_T4_T3_P12ihipStream_tbEUlT_E_NS1_11comp_targetILNS1_3genE5ELNS1_11target_archE942ELNS1_3gpuE9ELNS1_3repE0EEENS1_30default_config_static_selectorELNS0_4arch9wavefront6targetE0EEEvSR_
                                        ; -- End function
	.set _ZN7rocprim17ROCPRIM_400000_NS6detail17trampoline_kernelINS0_14default_configENS1_32segmented_reduce_config_selectorIN3c104HalfEEEZNS1_21segmented_reduce_implIS3_PKS6_PS6_PKlS6_N6hipcub16HIPCUB_304000_NS6detail27convert_result_type_wrapperISA_SB_N2at6native12_GLOBAL__N_19CustomSumEEEEE10hipError_tPvRmT0_T1_jT2_SS_T4_T3_P12ihipStream_tbEUlT_E_NS1_11comp_targetILNS1_3genE5ELNS1_11target_archE942ELNS1_3gpuE9ELNS1_3repE0EEENS1_30default_config_static_selectorELNS0_4arch9wavefront6targetE0EEEvSR_.num_vgpr, 0
	.set _ZN7rocprim17ROCPRIM_400000_NS6detail17trampoline_kernelINS0_14default_configENS1_32segmented_reduce_config_selectorIN3c104HalfEEEZNS1_21segmented_reduce_implIS3_PKS6_PS6_PKlS6_N6hipcub16HIPCUB_304000_NS6detail27convert_result_type_wrapperISA_SB_N2at6native12_GLOBAL__N_19CustomSumEEEEE10hipError_tPvRmT0_T1_jT2_SS_T4_T3_P12ihipStream_tbEUlT_E_NS1_11comp_targetILNS1_3genE5ELNS1_11target_archE942ELNS1_3gpuE9ELNS1_3repE0EEENS1_30default_config_static_selectorELNS0_4arch9wavefront6targetE0EEEvSR_.num_agpr, 0
	.set _ZN7rocprim17ROCPRIM_400000_NS6detail17trampoline_kernelINS0_14default_configENS1_32segmented_reduce_config_selectorIN3c104HalfEEEZNS1_21segmented_reduce_implIS3_PKS6_PS6_PKlS6_N6hipcub16HIPCUB_304000_NS6detail27convert_result_type_wrapperISA_SB_N2at6native12_GLOBAL__N_19CustomSumEEEEE10hipError_tPvRmT0_T1_jT2_SS_T4_T3_P12ihipStream_tbEUlT_E_NS1_11comp_targetILNS1_3genE5ELNS1_11target_archE942ELNS1_3gpuE9ELNS1_3repE0EEENS1_30default_config_static_selectorELNS0_4arch9wavefront6targetE0EEEvSR_.numbered_sgpr, 0
	.set _ZN7rocprim17ROCPRIM_400000_NS6detail17trampoline_kernelINS0_14default_configENS1_32segmented_reduce_config_selectorIN3c104HalfEEEZNS1_21segmented_reduce_implIS3_PKS6_PS6_PKlS6_N6hipcub16HIPCUB_304000_NS6detail27convert_result_type_wrapperISA_SB_N2at6native12_GLOBAL__N_19CustomSumEEEEE10hipError_tPvRmT0_T1_jT2_SS_T4_T3_P12ihipStream_tbEUlT_E_NS1_11comp_targetILNS1_3genE5ELNS1_11target_archE942ELNS1_3gpuE9ELNS1_3repE0EEENS1_30default_config_static_selectorELNS0_4arch9wavefront6targetE0EEEvSR_.num_named_barrier, 0
	.set _ZN7rocprim17ROCPRIM_400000_NS6detail17trampoline_kernelINS0_14default_configENS1_32segmented_reduce_config_selectorIN3c104HalfEEEZNS1_21segmented_reduce_implIS3_PKS6_PS6_PKlS6_N6hipcub16HIPCUB_304000_NS6detail27convert_result_type_wrapperISA_SB_N2at6native12_GLOBAL__N_19CustomSumEEEEE10hipError_tPvRmT0_T1_jT2_SS_T4_T3_P12ihipStream_tbEUlT_E_NS1_11comp_targetILNS1_3genE5ELNS1_11target_archE942ELNS1_3gpuE9ELNS1_3repE0EEENS1_30default_config_static_selectorELNS0_4arch9wavefront6targetE0EEEvSR_.private_seg_size, 0
	.set _ZN7rocprim17ROCPRIM_400000_NS6detail17trampoline_kernelINS0_14default_configENS1_32segmented_reduce_config_selectorIN3c104HalfEEEZNS1_21segmented_reduce_implIS3_PKS6_PS6_PKlS6_N6hipcub16HIPCUB_304000_NS6detail27convert_result_type_wrapperISA_SB_N2at6native12_GLOBAL__N_19CustomSumEEEEE10hipError_tPvRmT0_T1_jT2_SS_T4_T3_P12ihipStream_tbEUlT_E_NS1_11comp_targetILNS1_3genE5ELNS1_11target_archE942ELNS1_3gpuE9ELNS1_3repE0EEENS1_30default_config_static_selectorELNS0_4arch9wavefront6targetE0EEEvSR_.uses_vcc, 0
	.set _ZN7rocprim17ROCPRIM_400000_NS6detail17trampoline_kernelINS0_14default_configENS1_32segmented_reduce_config_selectorIN3c104HalfEEEZNS1_21segmented_reduce_implIS3_PKS6_PS6_PKlS6_N6hipcub16HIPCUB_304000_NS6detail27convert_result_type_wrapperISA_SB_N2at6native12_GLOBAL__N_19CustomSumEEEEE10hipError_tPvRmT0_T1_jT2_SS_T4_T3_P12ihipStream_tbEUlT_E_NS1_11comp_targetILNS1_3genE5ELNS1_11target_archE942ELNS1_3gpuE9ELNS1_3repE0EEENS1_30default_config_static_selectorELNS0_4arch9wavefront6targetE0EEEvSR_.uses_flat_scratch, 0
	.set _ZN7rocprim17ROCPRIM_400000_NS6detail17trampoline_kernelINS0_14default_configENS1_32segmented_reduce_config_selectorIN3c104HalfEEEZNS1_21segmented_reduce_implIS3_PKS6_PS6_PKlS6_N6hipcub16HIPCUB_304000_NS6detail27convert_result_type_wrapperISA_SB_N2at6native12_GLOBAL__N_19CustomSumEEEEE10hipError_tPvRmT0_T1_jT2_SS_T4_T3_P12ihipStream_tbEUlT_E_NS1_11comp_targetILNS1_3genE5ELNS1_11target_archE942ELNS1_3gpuE9ELNS1_3repE0EEENS1_30default_config_static_selectorELNS0_4arch9wavefront6targetE0EEEvSR_.has_dyn_sized_stack, 0
	.set _ZN7rocprim17ROCPRIM_400000_NS6detail17trampoline_kernelINS0_14default_configENS1_32segmented_reduce_config_selectorIN3c104HalfEEEZNS1_21segmented_reduce_implIS3_PKS6_PS6_PKlS6_N6hipcub16HIPCUB_304000_NS6detail27convert_result_type_wrapperISA_SB_N2at6native12_GLOBAL__N_19CustomSumEEEEE10hipError_tPvRmT0_T1_jT2_SS_T4_T3_P12ihipStream_tbEUlT_E_NS1_11comp_targetILNS1_3genE5ELNS1_11target_archE942ELNS1_3gpuE9ELNS1_3repE0EEENS1_30default_config_static_selectorELNS0_4arch9wavefront6targetE0EEEvSR_.has_recursion, 0
	.set _ZN7rocprim17ROCPRIM_400000_NS6detail17trampoline_kernelINS0_14default_configENS1_32segmented_reduce_config_selectorIN3c104HalfEEEZNS1_21segmented_reduce_implIS3_PKS6_PS6_PKlS6_N6hipcub16HIPCUB_304000_NS6detail27convert_result_type_wrapperISA_SB_N2at6native12_GLOBAL__N_19CustomSumEEEEE10hipError_tPvRmT0_T1_jT2_SS_T4_T3_P12ihipStream_tbEUlT_E_NS1_11comp_targetILNS1_3genE5ELNS1_11target_archE942ELNS1_3gpuE9ELNS1_3repE0EEENS1_30default_config_static_selectorELNS0_4arch9wavefront6targetE0EEEvSR_.has_indirect_call, 0
	.section	.AMDGPU.csdata,"",@progbits
; Kernel info:
; codeLenInByte = 0
; TotalNumSgprs: 0
; NumVgprs: 0
; ScratchSize: 0
; MemoryBound: 0
; FloatMode: 240
; IeeeMode: 1
; LDSByteSize: 0 bytes/workgroup (compile time only)
; SGPRBlocks: 0
; VGPRBlocks: 0
; NumSGPRsForWavesPerEU: 1
; NumVGPRsForWavesPerEU: 1
; Occupancy: 16
; WaveLimiterHint : 0
; COMPUTE_PGM_RSRC2:SCRATCH_EN: 0
; COMPUTE_PGM_RSRC2:USER_SGPR: 6
; COMPUTE_PGM_RSRC2:TRAP_HANDLER: 0
; COMPUTE_PGM_RSRC2:TGID_X_EN: 1
; COMPUTE_PGM_RSRC2:TGID_Y_EN: 0
; COMPUTE_PGM_RSRC2:TGID_Z_EN: 0
; COMPUTE_PGM_RSRC2:TIDIG_COMP_CNT: 0
	.section	.text._ZN7rocprim17ROCPRIM_400000_NS6detail17trampoline_kernelINS0_14default_configENS1_32segmented_reduce_config_selectorIN3c104HalfEEEZNS1_21segmented_reduce_implIS3_PKS6_PS6_PKlS6_N6hipcub16HIPCUB_304000_NS6detail27convert_result_type_wrapperISA_SB_N2at6native12_GLOBAL__N_19CustomSumEEEEE10hipError_tPvRmT0_T1_jT2_SS_T4_T3_P12ihipStream_tbEUlT_E_NS1_11comp_targetILNS1_3genE10ELNS1_11target_archE1201ELNS1_3gpuE5ELNS1_3repE0EEENS1_30default_config_static_selectorELNS0_4arch9wavefront6targetE0EEEvSR_,"axG",@progbits,_ZN7rocprim17ROCPRIM_400000_NS6detail17trampoline_kernelINS0_14default_configENS1_32segmented_reduce_config_selectorIN3c104HalfEEEZNS1_21segmented_reduce_implIS3_PKS6_PS6_PKlS6_N6hipcub16HIPCUB_304000_NS6detail27convert_result_type_wrapperISA_SB_N2at6native12_GLOBAL__N_19CustomSumEEEEE10hipError_tPvRmT0_T1_jT2_SS_T4_T3_P12ihipStream_tbEUlT_E_NS1_11comp_targetILNS1_3genE10ELNS1_11target_archE1201ELNS1_3gpuE5ELNS1_3repE0EEENS1_30default_config_static_selectorELNS0_4arch9wavefront6targetE0EEEvSR_,comdat
	.globl	_ZN7rocprim17ROCPRIM_400000_NS6detail17trampoline_kernelINS0_14default_configENS1_32segmented_reduce_config_selectorIN3c104HalfEEEZNS1_21segmented_reduce_implIS3_PKS6_PS6_PKlS6_N6hipcub16HIPCUB_304000_NS6detail27convert_result_type_wrapperISA_SB_N2at6native12_GLOBAL__N_19CustomSumEEEEE10hipError_tPvRmT0_T1_jT2_SS_T4_T3_P12ihipStream_tbEUlT_E_NS1_11comp_targetILNS1_3genE10ELNS1_11target_archE1201ELNS1_3gpuE5ELNS1_3repE0EEENS1_30default_config_static_selectorELNS0_4arch9wavefront6targetE0EEEvSR_ ; -- Begin function _ZN7rocprim17ROCPRIM_400000_NS6detail17trampoline_kernelINS0_14default_configENS1_32segmented_reduce_config_selectorIN3c104HalfEEEZNS1_21segmented_reduce_implIS3_PKS6_PS6_PKlS6_N6hipcub16HIPCUB_304000_NS6detail27convert_result_type_wrapperISA_SB_N2at6native12_GLOBAL__N_19CustomSumEEEEE10hipError_tPvRmT0_T1_jT2_SS_T4_T3_P12ihipStream_tbEUlT_E_NS1_11comp_targetILNS1_3genE10ELNS1_11target_archE1201ELNS1_3gpuE5ELNS1_3repE0EEENS1_30default_config_static_selectorELNS0_4arch9wavefront6targetE0EEEvSR_
	.p2align	8
	.type	_ZN7rocprim17ROCPRIM_400000_NS6detail17trampoline_kernelINS0_14default_configENS1_32segmented_reduce_config_selectorIN3c104HalfEEEZNS1_21segmented_reduce_implIS3_PKS6_PS6_PKlS6_N6hipcub16HIPCUB_304000_NS6detail27convert_result_type_wrapperISA_SB_N2at6native12_GLOBAL__N_19CustomSumEEEEE10hipError_tPvRmT0_T1_jT2_SS_T4_T3_P12ihipStream_tbEUlT_E_NS1_11comp_targetILNS1_3genE10ELNS1_11target_archE1201ELNS1_3gpuE5ELNS1_3repE0EEENS1_30default_config_static_selectorELNS0_4arch9wavefront6targetE0EEEvSR_,@function
_ZN7rocprim17ROCPRIM_400000_NS6detail17trampoline_kernelINS0_14default_configENS1_32segmented_reduce_config_selectorIN3c104HalfEEEZNS1_21segmented_reduce_implIS3_PKS6_PS6_PKlS6_N6hipcub16HIPCUB_304000_NS6detail27convert_result_type_wrapperISA_SB_N2at6native12_GLOBAL__N_19CustomSumEEEEE10hipError_tPvRmT0_T1_jT2_SS_T4_T3_P12ihipStream_tbEUlT_E_NS1_11comp_targetILNS1_3genE10ELNS1_11target_archE1201ELNS1_3gpuE5ELNS1_3repE0EEENS1_30default_config_static_selectorELNS0_4arch9wavefront6targetE0EEEvSR_: ; @_ZN7rocprim17ROCPRIM_400000_NS6detail17trampoline_kernelINS0_14default_configENS1_32segmented_reduce_config_selectorIN3c104HalfEEEZNS1_21segmented_reduce_implIS3_PKS6_PS6_PKlS6_N6hipcub16HIPCUB_304000_NS6detail27convert_result_type_wrapperISA_SB_N2at6native12_GLOBAL__N_19CustomSumEEEEE10hipError_tPvRmT0_T1_jT2_SS_T4_T3_P12ihipStream_tbEUlT_E_NS1_11comp_targetILNS1_3genE10ELNS1_11target_archE1201ELNS1_3gpuE5ELNS1_3repE0EEENS1_30default_config_static_selectorELNS0_4arch9wavefront6targetE0EEEvSR_
; %bb.0:
	.section	.rodata,"a",@progbits
	.p2align	6, 0x0
	.amdhsa_kernel _ZN7rocprim17ROCPRIM_400000_NS6detail17trampoline_kernelINS0_14default_configENS1_32segmented_reduce_config_selectorIN3c104HalfEEEZNS1_21segmented_reduce_implIS3_PKS6_PS6_PKlS6_N6hipcub16HIPCUB_304000_NS6detail27convert_result_type_wrapperISA_SB_N2at6native12_GLOBAL__N_19CustomSumEEEEE10hipError_tPvRmT0_T1_jT2_SS_T4_T3_P12ihipStream_tbEUlT_E_NS1_11comp_targetILNS1_3genE10ELNS1_11target_archE1201ELNS1_3gpuE5ELNS1_3repE0EEENS1_30default_config_static_selectorELNS0_4arch9wavefront6targetE0EEEvSR_
		.amdhsa_group_segment_fixed_size 0
		.amdhsa_private_segment_fixed_size 0
		.amdhsa_kernarg_size 48
		.amdhsa_user_sgpr_count 6
		.amdhsa_user_sgpr_private_segment_buffer 1
		.amdhsa_user_sgpr_dispatch_ptr 0
		.amdhsa_user_sgpr_queue_ptr 0
		.amdhsa_user_sgpr_kernarg_segment_ptr 1
		.amdhsa_user_sgpr_dispatch_id 0
		.amdhsa_user_sgpr_flat_scratch_init 0
		.amdhsa_user_sgpr_private_segment_size 0
		.amdhsa_wavefront_size32 1
		.amdhsa_uses_dynamic_stack 0
		.amdhsa_system_sgpr_private_segment_wavefront_offset 0
		.amdhsa_system_sgpr_workgroup_id_x 1
		.amdhsa_system_sgpr_workgroup_id_y 0
		.amdhsa_system_sgpr_workgroup_id_z 0
		.amdhsa_system_sgpr_workgroup_info 0
		.amdhsa_system_vgpr_workitem_id 0
		.amdhsa_next_free_vgpr 1
		.amdhsa_next_free_sgpr 1
		.amdhsa_reserve_vcc 0
		.amdhsa_reserve_flat_scratch 0
		.amdhsa_float_round_mode_32 0
		.amdhsa_float_round_mode_16_64 0
		.amdhsa_float_denorm_mode_32 3
		.amdhsa_float_denorm_mode_16_64 3
		.amdhsa_dx10_clamp 1
		.amdhsa_ieee_mode 1
		.amdhsa_fp16_overflow 0
		.amdhsa_workgroup_processor_mode 1
		.amdhsa_memory_ordered 1
		.amdhsa_forward_progress 1
		.amdhsa_shared_vgpr_count 0
		.amdhsa_exception_fp_ieee_invalid_op 0
		.amdhsa_exception_fp_denorm_src 0
		.amdhsa_exception_fp_ieee_div_zero 0
		.amdhsa_exception_fp_ieee_overflow 0
		.amdhsa_exception_fp_ieee_underflow 0
		.amdhsa_exception_fp_ieee_inexact 0
		.amdhsa_exception_int_div_zero 0
	.end_amdhsa_kernel
	.section	.text._ZN7rocprim17ROCPRIM_400000_NS6detail17trampoline_kernelINS0_14default_configENS1_32segmented_reduce_config_selectorIN3c104HalfEEEZNS1_21segmented_reduce_implIS3_PKS6_PS6_PKlS6_N6hipcub16HIPCUB_304000_NS6detail27convert_result_type_wrapperISA_SB_N2at6native12_GLOBAL__N_19CustomSumEEEEE10hipError_tPvRmT0_T1_jT2_SS_T4_T3_P12ihipStream_tbEUlT_E_NS1_11comp_targetILNS1_3genE10ELNS1_11target_archE1201ELNS1_3gpuE5ELNS1_3repE0EEENS1_30default_config_static_selectorELNS0_4arch9wavefront6targetE0EEEvSR_,"axG",@progbits,_ZN7rocprim17ROCPRIM_400000_NS6detail17trampoline_kernelINS0_14default_configENS1_32segmented_reduce_config_selectorIN3c104HalfEEEZNS1_21segmented_reduce_implIS3_PKS6_PS6_PKlS6_N6hipcub16HIPCUB_304000_NS6detail27convert_result_type_wrapperISA_SB_N2at6native12_GLOBAL__N_19CustomSumEEEEE10hipError_tPvRmT0_T1_jT2_SS_T4_T3_P12ihipStream_tbEUlT_E_NS1_11comp_targetILNS1_3genE10ELNS1_11target_archE1201ELNS1_3gpuE5ELNS1_3repE0EEENS1_30default_config_static_selectorELNS0_4arch9wavefront6targetE0EEEvSR_,comdat
.Lfunc_end223:
	.size	_ZN7rocprim17ROCPRIM_400000_NS6detail17trampoline_kernelINS0_14default_configENS1_32segmented_reduce_config_selectorIN3c104HalfEEEZNS1_21segmented_reduce_implIS3_PKS6_PS6_PKlS6_N6hipcub16HIPCUB_304000_NS6detail27convert_result_type_wrapperISA_SB_N2at6native12_GLOBAL__N_19CustomSumEEEEE10hipError_tPvRmT0_T1_jT2_SS_T4_T3_P12ihipStream_tbEUlT_E_NS1_11comp_targetILNS1_3genE10ELNS1_11target_archE1201ELNS1_3gpuE5ELNS1_3repE0EEENS1_30default_config_static_selectorELNS0_4arch9wavefront6targetE0EEEvSR_, .Lfunc_end223-_ZN7rocprim17ROCPRIM_400000_NS6detail17trampoline_kernelINS0_14default_configENS1_32segmented_reduce_config_selectorIN3c104HalfEEEZNS1_21segmented_reduce_implIS3_PKS6_PS6_PKlS6_N6hipcub16HIPCUB_304000_NS6detail27convert_result_type_wrapperISA_SB_N2at6native12_GLOBAL__N_19CustomSumEEEEE10hipError_tPvRmT0_T1_jT2_SS_T4_T3_P12ihipStream_tbEUlT_E_NS1_11comp_targetILNS1_3genE10ELNS1_11target_archE1201ELNS1_3gpuE5ELNS1_3repE0EEENS1_30default_config_static_selectorELNS0_4arch9wavefront6targetE0EEEvSR_
                                        ; -- End function
	.set _ZN7rocprim17ROCPRIM_400000_NS6detail17trampoline_kernelINS0_14default_configENS1_32segmented_reduce_config_selectorIN3c104HalfEEEZNS1_21segmented_reduce_implIS3_PKS6_PS6_PKlS6_N6hipcub16HIPCUB_304000_NS6detail27convert_result_type_wrapperISA_SB_N2at6native12_GLOBAL__N_19CustomSumEEEEE10hipError_tPvRmT0_T1_jT2_SS_T4_T3_P12ihipStream_tbEUlT_E_NS1_11comp_targetILNS1_3genE10ELNS1_11target_archE1201ELNS1_3gpuE5ELNS1_3repE0EEENS1_30default_config_static_selectorELNS0_4arch9wavefront6targetE0EEEvSR_.num_vgpr, 0
	.set _ZN7rocprim17ROCPRIM_400000_NS6detail17trampoline_kernelINS0_14default_configENS1_32segmented_reduce_config_selectorIN3c104HalfEEEZNS1_21segmented_reduce_implIS3_PKS6_PS6_PKlS6_N6hipcub16HIPCUB_304000_NS6detail27convert_result_type_wrapperISA_SB_N2at6native12_GLOBAL__N_19CustomSumEEEEE10hipError_tPvRmT0_T1_jT2_SS_T4_T3_P12ihipStream_tbEUlT_E_NS1_11comp_targetILNS1_3genE10ELNS1_11target_archE1201ELNS1_3gpuE5ELNS1_3repE0EEENS1_30default_config_static_selectorELNS0_4arch9wavefront6targetE0EEEvSR_.num_agpr, 0
	.set _ZN7rocprim17ROCPRIM_400000_NS6detail17trampoline_kernelINS0_14default_configENS1_32segmented_reduce_config_selectorIN3c104HalfEEEZNS1_21segmented_reduce_implIS3_PKS6_PS6_PKlS6_N6hipcub16HIPCUB_304000_NS6detail27convert_result_type_wrapperISA_SB_N2at6native12_GLOBAL__N_19CustomSumEEEEE10hipError_tPvRmT0_T1_jT2_SS_T4_T3_P12ihipStream_tbEUlT_E_NS1_11comp_targetILNS1_3genE10ELNS1_11target_archE1201ELNS1_3gpuE5ELNS1_3repE0EEENS1_30default_config_static_selectorELNS0_4arch9wavefront6targetE0EEEvSR_.numbered_sgpr, 0
	.set _ZN7rocprim17ROCPRIM_400000_NS6detail17trampoline_kernelINS0_14default_configENS1_32segmented_reduce_config_selectorIN3c104HalfEEEZNS1_21segmented_reduce_implIS3_PKS6_PS6_PKlS6_N6hipcub16HIPCUB_304000_NS6detail27convert_result_type_wrapperISA_SB_N2at6native12_GLOBAL__N_19CustomSumEEEEE10hipError_tPvRmT0_T1_jT2_SS_T4_T3_P12ihipStream_tbEUlT_E_NS1_11comp_targetILNS1_3genE10ELNS1_11target_archE1201ELNS1_3gpuE5ELNS1_3repE0EEENS1_30default_config_static_selectorELNS0_4arch9wavefront6targetE0EEEvSR_.num_named_barrier, 0
	.set _ZN7rocprim17ROCPRIM_400000_NS6detail17trampoline_kernelINS0_14default_configENS1_32segmented_reduce_config_selectorIN3c104HalfEEEZNS1_21segmented_reduce_implIS3_PKS6_PS6_PKlS6_N6hipcub16HIPCUB_304000_NS6detail27convert_result_type_wrapperISA_SB_N2at6native12_GLOBAL__N_19CustomSumEEEEE10hipError_tPvRmT0_T1_jT2_SS_T4_T3_P12ihipStream_tbEUlT_E_NS1_11comp_targetILNS1_3genE10ELNS1_11target_archE1201ELNS1_3gpuE5ELNS1_3repE0EEENS1_30default_config_static_selectorELNS0_4arch9wavefront6targetE0EEEvSR_.private_seg_size, 0
	.set _ZN7rocprim17ROCPRIM_400000_NS6detail17trampoline_kernelINS0_14default_configENS1_32segmented_reduce_config_selectorIN3c104HalfEEEZNS1_21segmented_reduce_implIS3_PKS6_PS6_PKlS6_N6hipcub16HIPCUB_304000_NS6detail27convert_result_type_wrapperISA_SB_N2at6native12_GLOBAL__N_19CustomSumEEEEE10hipError_tPvRmT0_T1_jT2_SS_T4_T3_P12ihipStream_tbEUlT_E_NS1_11comp_targetILNS1_3genE10ELNS1_11target_archE1201ELNS1_3gpuE5ELNS1_3repE0EEENS1_30default_config_static_selectorELNS0_4arch9wavefront6targetE0EEEvSR_.uses_vcc, 0
	.set _ZN7rocprim17ROCPRIM_400000_NS6detail17trampoline_kernelINS0_14default_configENS1_32segmented_reduce_config_selectorIN3c104HalfEEEZNS1_21segmented_reduce_implIS3_PKS6_PS6_PKlS6_N6hipcub16HIPCUB_304000_NS6detail27convert_result_type_wrapperISA_SB_N2at6native12_GLOBAL__N_19CustomSumEEEEE10hipError_tPvRmT0_T1_jT2_SS_T4_T3_P12ihipStream_tbEUlT_E_NS1_11comp_targetILNS1_3genE10ELNS1_11target_archE1201ELNS1_3gpuE5ELNS1_3repE0EEENS1_30default_config_static_selectorELNS0_4arch9wavefront6targetE0EEEvSR_.uses_flat_scratch, 0
	.set _ZN7rocprim17ROCPRIM_400000_NS6detail17trampoline_kernelINS0_14default_configENS1_32segmented_reduce_config_selectorIN3c104HalfEEEZNS1_21segmented_reduce_implIS3_PKS6_PS6_PKlS6_N6hipcub16HIPCUB_304000_NS6detail27convert_result_type_wrapperISA_SB_N2at6native12_GLOBAL__N_19CustomSumEEEEE10hipError_tPvRmT0_T1_jT2_SS_T4_T3_P12ihipStream_tbEUlT_E_NS1_11comp_targetILNS1_3genE10ELNS1_11target_archE1201ELNS1_3gpuE5ELNS1_3repE0EEENS1_30default_config_static_selectorELNS0_4arch9wavefront6targetE0EEEvSR_.has_dyn_sized_stack, 0
	.set _ZN7rocprim17ROCPRIM_400000_NS6detail17trampoline_kernelINS0_14default_configENS1_32segmented_reduce_config_selectorIN3c104HalfEEEZNS1_21segmented_reduce_implIS3_PKS6_PS6_PKlS6_N6hipcub16HIPCUB_304000_NS6detail27convert_result_type_wrapperISA_SB_N2at6native12_GLOBAL__N_19CustomSumEEEEE10hipError_tPvRmT0_T1_jT2_SS_T4_T3_P12ihipStream_tbEUlT_E_NS1_11comp_targetILNS1_3genE10ELNS1_11target_archE1201ELNS1_3gpuE5ELNS1_3repE0EEENS1_30default_config_static_selectorELNS0_4arch9wavefront6targetE0EEEvSR_.has_recursion, 0
	.set _ZN7rocprim17ROCPRIM_400000_NS6detail17trampoline_kernelINS0_14default_configENS1_32segmented_reduce_config_selectorIN3c104HalfEEEZNS1_21segmented_reduce_implIS3_PKS6_PS6_PKlS6_N6hipcub16HIPCUB_304000_NS6detail27convert_result_type_wrapperISA_SB_N2at6native12_GLOBAL__N_19CustomSumEEEEE10hipError_tPvRmT0_T1_jT2_SS_T4_T3_P12ihipStream_tbEUlT_E_NS1_11comp_targetILNS1_3genE10ELNS1_11target_archE1201ELNS1_3gpuE5ELNS1_3repE0EEENS1_30default_config_static_selectorELNS0_4arch9wavefront6targetE0EEEvSR_.has_indirect_call, 0
	.section	.AMDGPU.csdata,"",@progbits
; Kernel info:
; codeLenInByte = 0
; TotalNumSgprs: 0
; NumVgprs: 0
; ScratchSize: 0
; MemoryBound: 0
; FloatMode: 240
; IeeeMode: 1
; LDSByteSize: 0 bytes/workgroup (compile time only)
; SGPRBlocks: 0
; VGPRBlocks: 0
; NumSGPRsForWavesPerEU: 1
; NumVGPRsForWavesPerEU: 1
; Occupancy: 16
; WaveLimiterHint : 0
; COMPUTE_PGM_RSRC2:SCRATCH_EN: 0
; COMPUTE_PGM_RSRC2:USER_SGPR: 6
; COMPUTE_PGM_RSRC2:TRAP_HANDLER: 0
; COMPUTE_PGM_RSRC2:TGID_X_EN: 1
; COMPUTE_PGM_RSRC2:TGID_Y_EN: 0
; COMPUTE_PGM_RSRC2:TGID_Z_EN: 0
; COMPUTE_PGM_RSRC2:TIDIG_COMP_CNT: 0
	.section	.text._ZN7rocprim17ROCPRIM_400000_NS6detail17trampoline_kernelINS0_14default_configENS1_32segmented_reduce_config_selectorIN3c104HalfEEEZNS1_21segmented_reduce_implIS3_PKS6_PS6_PKlS6_N6hipcub16HIPCUB_304000_NS6detail27convert_result_type_wrapperISA_SB_N2at6native12_GLOBAL__N_19CustomSumEEEEE10hipError_tPvRmT0_T1_jT2_SS_T4_T3_P12ihipStream_tbEUlT_E_NS1_11comp_targetILNS1_3genE4ELNS1_11target_archE910ELNS1_3gpuE8ELNS1_3repE0EEENS1_30default_config_static_selectorELNS0_4arch9wavefront6targetE0EEEvSR_,"axG",@progbits,_ZN7rocprim17ROCPRIM_400000_NS6detail17trampoline_kernelINS0_14default_configENS1_32segmented_reduce_config_selectorIN3c104HalfEEEZNS1_21segmented_reduce_implIS3_PKS6_PS6_PKlS6_N6hipcub16HIPCUB_304000_NS6detail27convert_result_type_wrapperISA_SB_N2at6native12_GLOBAL__N_19CustomSumEEEEE10hipError_tPvRmT0_T1_jT2_SS_T4_T3_P12ihipStream_tbEUlT_E_NS1_11comp_targetILNS1_3genE4ELNS1_11target_archE910ELNS1_3gpuE8ELNS1_3repE0EEENS1_30default_config_static_selectorELNS0_4arch9wavefront6targetE0EEEvSR_,comdat
	.globl	_ZN7rocprim17ROCPRIM_400000_NS6detail17trampoline_kernelINS0_14default_configENS1_32segmented_reduce_config_selectorIN3c104HalfEEEZNS1_21segmented_reduce_implIS3_PKS6_PS6_PKlS6_N6hipcub16HIPCUB_304000_NS6detail27convert_result_type_wrapperISA_SB_N2at6native12_GLOBAL__N_19CustomSumEEEEE10hipError_tPvRmT0_T1_jT2_SS_T4_T3_P12ihipStream_tbEUlT_E_NS1_11comp_targetILNS1_3genE4ELNS1_11target_archE910ELNS1_3gpuE8ELNS1_3repE0EEENS1_30default_config_static_selectorELNS0_4arch9wavefront6targetE0EEEvSR_ ; -- Begin function _ZN7rocprim17ROCPRIM_400000_NS6detail17trampoline_kernelINS0_14default_configENS1_32segmented_reduce_config_selectorIN3c104HalfEEEZNS1_21segmented_reduce_implIS3_PKS6_PS6_PKlS6_N6hipcub16HIPCUB_304000_NS6detail27convert_result_type_wrapperISA_SB_N2at6native12_GLOBAL__N_19CustomSumEEEEE10hipError_tPvRmT0_T1_jT2_SS_T4_T3_P12ihipStream_tbEUlT_E_NS1_11comp_targetILNS1_3genE4ELNS1_11target_archE910ELNS1_3gpuE8ELNS1_3repE0EEENS1_30default_config_static_selectorELNS0_4arch9wavefront6targetE0EEEvSR_
	.p2align	8
	.type	_ZN7rocprim17ROCPRIM_400000_NS6detail17trampoline_kernelINS0_14default_configENS1_32segmented_reduce_config_selectorIN3c104HalfEEEZNS1_21segmented_reduce_implIS3_PKS6_PS6_PKlS6_N6hipcub16HIPCUB_304000_NS6detail27convert_result_type_wrapperISA_SB_N2at6native12_GLOBAL__N_19CustomSumEEEEE10hipError_tPvRmT0_T1_jT2_SS_T4_T3_P12ihipStream_tbEUlT_E_NS1_11comp_targetILNS1_3genE4ELNS1_11target_archE910ELNS1_3gpuE8ELNS1_3repE0EEENS1_30default_config_static_selectorELNS0_4arch9wavefront6targetE0EEEvSR_,@function
_ZN7rocprim17ROCPRIM_400000_NS6detail17trampoline_kernelINS0_14default_configENS1_32segmented_reduce_config_selectorIN3c104HalfEEEZNS1_21segmented_reduce_implIS3_PKS6_PS6_PKlS6_N6hipcub16HIPCUB_304000_NS6detail27convert_result_type_wrapperISA_SB_N2at6native12_GLOBAL__N_19CustomSumEEEEE10hipError_tPvRmT0_T1_jT2_SS_T4_T3_P12ihipStream_tbEUlT_E_NS1_11comp_targetILNS1_3genE4ELNS1_11target_archE910ELNS1_3gpuE8ELNS1_3repE0EEENS1_30default_config_static_selectorELNS0_4arch9wavefront6targetE0EEEvSR_: ; @_ZN7rocprim17ROCPRIM_400000_NS6detail17trampoline_kernelINS0_14default_configENS1_32segmented_reduce_config_selectorIN3c104HalfEEEZNS1_21segmented_reduce_implIS3_PKS6_PS6_PKlS6_N6hipcub16HIPCUB_304000_NS6detail27convert_result_type_wrapperISA_SB_N2at6native12_GLOBAL__N_19CustomSumEEEEE10hipError_tPvRmT0_T1_jT2_SS_T4_T3_P12ihipStream_tbEUlT_E_NS1_11comp_targetILNS1_3genE4ELNS1_11target_archE910ELNS1_3gpuE8ELNS1_3repE0EEENS1_30default_config_static_selectorELNS0_4arch9wavefront6targetE0EEEvSR_
; %bb.0:
	.section	.rodata,"a",@progbits
	.p2align	6, 0x0
	.amdhsa_kernel _ZN7rocprim17ROCPRIM_400000_NS6detail17trampoline_kernelINS0_14default_configENS1_32segmented_reduce_config_selectorIN3c104HalfEEEZNS1_21segmented_reduce_implIS3_PKS6_PS6_PKlS6_N6hipcub16HIPCUB_304000_NS6detail27convert_result_type_wrapperISA_SB_N2at6native12_GLOBAL__N_19CustomSumEEEEE10hipError_tPvRmT0_T1_jT2_SS_T4_T3_P12ihipStream_tbEUlT_E_NS1_11comp_targetILNS1_3genE4ELNS1_11target_archE910ELNS1_3gpuE8ELNS1_3repE0EEENS1_30default_config_static_selectorELNS0_4arch9wavefront6targetE0EEEvSR_
		.amdhsa_group_segment_fixed_size 0
		.amdhsa_private_segment_fixed_size 0
		.amdhsa_kernarg_size 48
		.amdhsa_user_sgpr_count 6
		.amdhsa_user_sgpr_private_segment_buffer 1
		.amdhsa_user_sgpr_dispatch_ptr 0
		.amdhsa_user_sgpr_queue_ptr 0
		.amdhsa_user_sgpr_kernarg_segment_ptr 1
		.amdhsa_user_sgpr_dispatch_id 0
		.amdhsa_user_sgpr_flat_scratch_init 0
		.amdhsa_user_sgpr_private_segment_size 0
		.amdhsa_wavefront_size32 1
		.amdhsa_uses_dynamic_stack 0
		.amdhsa_system_sgpr_private_segment_wavefront_offset 0
		.amdhsa_system_sgpr_workgroup_id_x 1
		.amdhsa_system_sgpr_workgroup_id_y 0
		.amdhsa_system_sgpr_workgroup_id_z 0
		.amdhsa_system_sgpr_workgroup_info 0
		.amdhsa_system_vgpr_workitem_id 0
		.amdhsa_next_free_vgpr 1
		.amdhsa_next_free_sgpr 1
		.amdhsa_reserve_vcc 0
		.amdhsa_reserve_flat_scratch 0
		.amdhsa_float_round_mode_32 0
		.amdhsa_float_round_mode_16_64 0
		.amdhsa_float_denorm_mode_32 3
		.amdhsa_float_denorm_mode_16_64 3
		.amdhsa_dx10_clamp 1
		.amdhsa_ieee_mode 1
		.amdhsa_fp16_overflow 0
		.amdhsa_workgroup_processor_mode 1
		.amdhsa_memory_ordered 1
		.amdhsa_forward_progress 1
		.amdhsa_shared_vgpr_count 0
		.amdhsa_exception_fp_ieee_invalid_op 0
		.amdhsa_exception_fp_denorm_src 0
		.amdhsa_exception_fp_ieee_div_zero 0
		.amdhsa_exception_fp_ieee_overflow 0
		.amdhsa_exception_fp_ieee_underflow 0
		.amdhsa_exception_fp_ieee_inexact 0
		.amdhsa_exception_int_div_zero 0
	.end_amdhsa_kernel
	.section	.text._ZN7rocprim17ROCPRIM_400000_NS6detail17trampoline_kernelINS0_14default_configENS1_32segmented_reduce_config_selectorIN3c104HalfEEEZNS1_21segmented_reduce_implIS3_PKS6_PS6_PKlS6_N6hipcub16HIPCUB_304000_NS6detail27convert_result_type_wrapperISA_SB_N2at6native12_GLOBAL__N_19CustomSumEEEEE10hipError_tPvRmT0_T1_jT2_SS_T4_T3_P12ihipStream_tbEUlT_E_NS1_11comp_targetILNS1_3genE4ELNS1_11target_archE910ELNS1_3gpuE8ELNS1_3repE0EEENS1_30default_config_static_selectorELNS0_4arch9wavefront6targetE0EEEvSR_,"axG",@progbits,_ZN7rocprim17ROCPRIM_400000_NS6detail17trampoline_kernelINS0_14default_configENS1_32segmented_reduce_config_selectorIN3c104HalfEEEZNS1_21segmented_reduce_implIS3_PKS6_PS6_PKlS6_N6hipcub16HIPCUB_304000_NS6detail27convert_result_type_wrapperISA_SB_N2at6native12_GLOBAL__N_19CustomSumEEEEE10hipError_tPvRmT0_T1_jT2_SS_T4_T3_P12ihipStream_tbEUlT_E_NS1_11comp_targetILNS1_3genE4ELNS1_11target_archE910ELNS1_3gpuE8ELNS1_3repE0EEENS1_30default_config_static_selectorELNS0_4arch9wavefront6targetE0EEEvSR_,comdat
.Lfunc_end224:
	.size	_ZN7rocprim17ROCPRIM_400000_NS6detail17trampoline_kernelINS0_14default_configENS1_32segmented_reduce_config_selectorIN3c104HalfEEEZNS1_21segmented_reduce_implIS3_PKS6_PS6_PKlS6_N6hipcub16HIPCUB_304000_NS6detail27convert_result_type_wrapperISA_SB_N2at6native12_GLOBAL__N_19CustomSumEEEEE10hipError_tPvRmT0_T1_jT2_SS_T4_T3_P12ihipStream_tbEUlT_E_NS1_11comp_targetILNS1_3genE4ELNS1_11target_archE910ELNS1_3gpuE8ELNS1_3repE0EEENS1_30default_config_static_selectorELNS0_4arch9wavefront6targetE0EEEvSR_, .Lfunc_end224-_ZN7rocprim17ROCPRIM_400000_NS6detail17trampoline_kernelINS0_14default_configENS1_32segmented_reduce_config_selectorIN3c104HalfEEEZNS1_21segmented_reduce_implIS3_PKS6_PS6_PKlS6_N6hipcub16HIPCUB_304000_NS6detail27convert_result_type_wrapperISA_SB_N2at6native12_GLOBAL__N_19CustomSumEEEEE10hipError_tPvRmT0_T1_jT2_SS_T4_T3_P12ihipStream_tbEUlT_E_NS1_11comp_targetILNS1_3genE4ELNS1_11target_archE910ELNS1_3gpuE8ELNS1_3repE0EEENS1_30default_config_static_selectorELNS0_4arch9wavefront6targetE0EEEvSR_
                                        ; -- End function
	.set _ZN7rocprim17ROCPRIM_400000_NS6detail17trampoline_kernelINS0_14default_configENS1_32segmented_reduce_config_selectorIN3c104HalfEEEZNS1_21segmented_reduce_implIS3_PKS6_PS6_PKlS6_N6hipcub16HIPCUB_304000_NS6detail27convert_result_type_wrapperISA_SB_N2at6native12_GLOBAL__N_19CustomSumEEEEE10hipError_tPvRmT0_T1_jT2_SS_T4_T3_P12ihipStream_tbEUlT_E_NS1_11comp_targetILNS1_3genE4ELNS1_11target_archE910ELNS1_3gpuE8ELNS1_3repE0EEENS1_30default_config_static_selectorELNS0_4arch9wavefront6targetE0EEEvSR_.num_vgpr, 0
	.set _ZN7rocprim17ROCPRIM_400000_NS6detail17trampoline_kernelINS0_14default_configENS1_32segmented_reduce_config_selectorIN3c104HalfEEEZNS1_21segmented_reduce_implIS3_PKS6_PS6_PKlS6_N6hipcub16HIPCUB_304000_NS6detail27convert_result_type_wrapperISA_SB_N2at6native12_GLOBAL__N_19CustomSumEEEEE10hipError_tPvRmT0_T1_jT2_SS_T4_T3_P12ihipStream_tbEUlT_E_NS1_11comp_targetILNS1_3genE4ELNS1_11target_archE910ELNS1_3gpuE8ELNS1_3repE0EEENS1_30default_config_static_selectorELNS0_4arch9wavefront6targetE0EEEvSR_.num_agpr, 0
	.set _ZN7rocprim17ROCPRIM_400000_NS6detail17trampoline_kernelINS0_14default_configENS1_32segmented_reduce_config_selectorIN3c104HalfEEEZNS1_21segmented_reduce_implIS3_PKS6_PS6_PKlS6_N6hipcub16HIPCUB_304000_NS6detail27convert_result_type_wrapperISA_SB_N2at6native12_GLOBAL__N_19CustomSumEEEEE10hipError_tPvRmT0_T1_jT2_SS_T4_T3_P12ihipStream_tbEUlT_E_NS1_11comp_targetILNS1_3genE4ELNS1_11target_archE910ELNS1_3gpuE8ELNS1_3repE0EEENS1_30default_config_static_selectorELNS0_4arch9wavefront6targetE0EEEvSR_.numbered_sgpr, 0
	.set _ZN7rocprim17ROCPRIM_400000_NS6detail17trampoline_kernelINS0_14default_configENS1_32segmented_reduce_config_selectorIN3c104HalfEEEZNS1_21segmented_reduce_implIS3_PKS6_PS6_PKlS6_N6hipcub16HIPCUB_304000_NS6detail27convert_result_type_wrapperISA_SB_N2at6native12_GLOBAL__N_19CustomSumEEEEE10hipError_tPvRmT0_T1_jT2_SS_T4_T3_P12ihipStream_tbEUlT_E_NS1_11comp_targetILNS1_3genE4ELNS1_11target_archE910ELNS1_3gpuE8ELNS1_3repE0EEENS1_30default_config_static_selectorELNS0_4arch9wavefront6targetE0EEEvSR_.num_named_barrier, 0
	.set _ZN7rocprim17ROCPRIM_400000_NS6detail17trampoline_kernelINS0_14default_configENS1_32segmented_reduce_config_selectorIN3c104HalfEEEZNS1_21segmented_reduce_implIS3_PKS6_PS6_PKlS6_N6hipcub16HIPCUB_304000_NS6detail27convert_result_type_wrapperISA_SB_N2at6native12_GLOBAL__N_19CustomSumEEEEE10hipError_tPvRmT0_T1_jT2_SS_T4_T3_P12ihipStream_tbEUlT_E_NS1_11comp_targetILNS1_3genE4ELNS1_11target_archE910ELNS1_3gpuE8ELNS1_3repE0EEENS1_30default_config_static_selectorELNS0_4arch9wavefront6targetE0EEEvSR_.private_seg_size, 0
	.set _ZN7rocprim17ROCPRIM_400000_NS6detail17trampoline_kernelINS0_14default_configENS1_32segmented_reduce_config_selectorIN3c104HalfEEEZNS1_21segmented_reduce_implIS3_PKS6_PS6_PKlS6_N6hipcub16HIPCUB_304000_NS6detail27convert_result_type_wrapperISA_SB_N2at6native12_GLOBAL__N_19CustomSumEEEEE10hipError_tPvRmT0_T1_jT2_SS_T4_T3_P12ihipStream_tbEUlT_E_NS1_11comp_targetILNS1_3genE4ELNS1_11target_archE910ELNS1_3gpuE8ELNS1_3repE0EEENS1_30default_config_static_selectorELNS0_4arch9wavefront6targetE0EEEvSR_.uses_vcc, 0
	.set _ZN7rocprim17ROCPRIM_400000_NS6detail17trampoline_kernelINS0_14default_configENS1_32segmented_reduce_config_selectorIN3c104HalfEEEZNS1_21segmented_reduce_implIS3_PKS6_PS6_PKlS6_N6hipcub16HIPCUB_304000_NS6detail27convert_result_type_wrapperISA_SB_N2at6native12_GLOBAL__N_19CustomSumEEEEE10hipError_tPvRmT0_T1_jT2_SS_T4_T3_P12ihipStream_tbEUlT_E_NS1_11comp_targetILNS1_3genE4ELNS1_11target_archE910ELNS1_3gpuE8ELNS1_3repE0EEENS1_30default_config_static_selectorELNS0_4arch9wavefront6targetE0EEEvSR_.uses_flat_scratch, 0
	.set _ZN7rocprim17ROCPRIM_400000_NS6detail17trampoline_kernelINS0_14default_configENS1_32segmented_reduce_config_selectorIN3c104HalfEEEZNS1_21segmented_reduce_implIS3_PKS6_PS6_PKlS6_N6hipcub16HIPCUB_304000_NS6detail27convert_result_type_wrapperISA_SB_N2at6native12_GLOBAL__N_19CustomSumEEEEE10hipError_tPvRmT0_T1_jT2_SS_T4_T3_P12ihipStream_tbEUlT_E_NS1_11comp_targetILNS1_3genE4ELNS1_11target_archE910ELNS1_3gpuE8ELNS1_3repE0EEENS1_30default_config_static_selectorELNS0_4arch9wavefront6targetE0EEEvSR_.has_dyn_sized_stack, 0
	.set _ZN7rocprim17ROCPRIM_400000_NS6detail17trampoline_kernelINS0_14default_configENS1_32segmented_reduce_config_selectorIN3c104HalfEEEZNS1_21segmented_reduce_implIS3_PKS6_PS6_PKlS6_N6hipcub16HIPCUB_304000_NS6detail27convert_result_type_wrapperISA_SB_N2at6native12_GLOBAL__N_19CustomSumEEEEE10hipError_tPvRmT0_T1_jT2_SS_T4_T3_P12ihipStream_tbEUlT_E_NS1_11comp_targetILNS1_3genE4ELNS1_11target_archE910ELNS1_3gpuE8ELNS1_3repE0EEENS1_30default_config_static_selectorELNS0_4arch9wavefront6targetE0EEEvSR_.has_recursion, 0
	.set _ZN7rocprim17ROCPRIM_400000_NS6detail17trampoline_kernelINS0_14default_configENS1_32segmented_reduce_config_selectorIN3c104HalfEEEZNS1_21segmented_reduce_implIS3_PKS6_PS6_PKlS6_N6hipcub16HIPCUB_304000_NS6detail27convert_result_type_wrapperISA_SB_N2at6native12_GLOBAL__N_19CustomSumEEEEE10hipError_tPvRmT0_T1_jT2_SS_T4_T3_P12ihipStream_tbEUlT_E_NS1_11comp_targetILNS1_3genE4ELNS1_11target_archE910ELNS1_3gpuE8ELNS1_3repE0EEENS1_30default_config_static_selectorELNS0_4arch9wavefront6targetE0EEEvSR_.has_indirect_call, 0
	.section	.AMDGPU.csdata,"",@progbits
; Kernel info:
; codeLenInByte = 0
; TotalNumSgprs: 0
; NumVgprs: 0
; ScratchSize: 0
; MemoryBound: 0
; FloatMode: 240
; IeeeMode: 1
; LDSByteSize: 0 bytes/workgroup (compile time only)
; SGPRBlocks: 0
; VGPRBlocks: 0
; NumSGPRsForWavesPerEU: 1
; NumVGPRsForWavesPerEU: 1
; Occupancy: 16
; WaveLimiterHint : 0
; COMPUTE_PGM_RSRC2:SCRATCH_EN: 0
; COMPUTE_PGM_RSRC2:USER_SGPR: 6
; COMPUTE_PGM_RSRC2:TRAP_HANDLER: 0
; COMPUTE_PGM_RSRC2:TGID_X_EN: 1
; COMPUTE_PGM_RSRC2:TGID_Y_EN: 0
; COMPUTE_PGM_RSRC2:TGID_Z_EN: 0
; COMPUTE_PGM_RSRC2:TIDIG_COMP_CNT: 0
	.section	.text._ZN7rocprim17ROCPRIM_400000_NS6detail17trampoline_kernelINS0_14default_configENS1_32segmented_reduce_config_selectorIN3c104HalfEEEZNS1_21segmented_reduce_implIS3_PKS6_PS6_PKlS6_N6hipcub16HIPCUB_304000_NS6detail27convert_result_type_wrapperISA_SB_N2at6native12_GLOBAL__N_19CustomSumEEEEE10hipError_tPvRmT0_T1_jT2_SS_T4_T3_P12ihipStream_tbEUlT_E_NS1_11comp_targetILNS1_3genE3ELNS1_11target_archE908ELNS1_3gpuE7ELNS1_3repE0EEENS1_30default_config_static_selectorELNS0_4arch9wavefront6targetE0EEEvSR_,"axG",@progbits,_ZN7rocprim17ROCPRIM_400000_NS6detail17trampoline_kernelINS0_14default_configENS1_32segmented_reduce_config_selectorIN3c104HalfEEEZNS1_21segmented_reduce_implIS3_PKS6_PS6_PKlS6_N6hipcub16HIPCUB_304000_NS6detail27convert_result_type_wrapperISA_SB_N2at6native12_GLOBAL__N_19CustomSumEEEEE10hipError_tPvRmT0_T1_jT2_SS_T4_T3_P12ihipStream_tbEUlT_E_NS1_11comp_targetILNS1_3genE3ELNS1_11target_archE908ELNS1_3gpuE7ELNS1_3repE0EEENS1_30default_config_static_selectorELNS0_4arch9wavefront6targetE0EEEvSR_,comdat
	.globl	_ZN7rocprim17ROCPRIM_400000_NS6detail17trampoline_kernelINS0_14default_configENS1_32segmented_reduce_config_selectorIN3c104HalfEEEZNS1_21segmented_reduce_implIS3_PKS6_PS6_PKlS6_N6hipcub16HIPCUB_304000_NS6detail27convert_result_type_wrapperISA_SB_N2at6native12_GLOBAL__N_19CustomSumEEEEE10hipError_tPvRmT0_T1_jT2_SS_T4_T3_P12ihipStream_tbEUlT_E_NS1_11comp_targetILNS1_3genE3ELNS1_11target_archE908ELNS1_3gpuE7ELNS1_3repE0EEENS1_30default_config_static_selectorELNS0_4arch9wavefront6targetE0EEEvSR_ ; -- Begin function _ZN7rocprim17ROCPRIM_400000_NS6detail17trampoline_kernelINS0_14default_configENS1_32segmented_reduce_config_selectorIN3c104HalfEEEZNS1_21segmented_reduce_implIS3_PKS6_PS6_PKlS6_N6hipcub16HIPCUB_304000_NS6detail27convert_result_type_wrapperISA_SB_N2at6native12_GLOBAL__N_19CustomSumEEEEE10hipError_tPvRmT0_T1_jT2_SS_T4_T3_P12ihipStream_tbEUlT_E_NS1_11comp_targetILNS1_3genE3ELNS1_11target_archE908ELNS1_3gpuE7ELNS1_3repE0EEENS1_30default_config_static_selectorELNS0_4arch9wavefront6targetE0EEEvSR_
	.p2align	8
	.type	_ZN7rocprim17ROCPRIM_400000_NS6detail17trampoline_kernelINS0_14default_configENS1_32segmented_reduce_config_selectorIN3c104HalfEEEZNS1_21segmented_reduce_implIS3_PKS6_PS6_PKlS6_N6hipcub16HIPCUB_304000_NS6detail27convert_result_type_wrapperISA_SB_N2at6native12_GLOBAL__N_19CustomSumEEEEE10hipError_tPvRmT0_T1_jT2_SS_T4_T3_P12ihipStream_tbEUlT_E_NS1_11comp_targetILNS1_3genE3ELNS1_11target_archE908ELNS1_3gpuE7ELNS1_3repE0EEENS1_30default_config_static_selectorELNS0_4arch9wavefront6targetE0EEEvSR_,@function
_ZN7rocprim17ROCPRIM_400000_NS6detail17trampoline_kernelINS0_14default_configENS1_32segmented_reduce_config_selectorIN3c104HalfEEEZNS1_21segmented_reduce_implIS3_PKS6_PS6_PKlS6_N6hipcub16HIPCUB_304000_NS6detail27convert_result_type_wrapperISA_SB_N2at6native12_GLOBAL__N_19CustomSumEEEEE10hipError_tPvRmT0_T1_jT2_SS_T4_T3_P12ihipStream_tbEUlT_E_NS1_11comp_targetILNS1_3genE3ELNS1_11target_archE908ELNS1_3gpuE7ELNS1_3repE0EEENS1_30default_config_static_selectorELNS0_4arch9wavefront6targetE0EEEvSR_: ; @_ZN7rocprim17ROCPRIM_400000_NS6detail17trampoline_kernelINS0_14default_configENS1_32segmented_reduce_config_selectorIN3c104HalfEEEZNS1_21segmented_reduce_implIS3_PKS6_PS6_PKlS6_N6hipcub16HIPCUB_304000_NS6detail27convert_result_type_wrapperISA_SB_N2at6native12_GLOBAL__N_19CustomSumEEEEE10hipError_tPvRmT0_T1_jT2_SS_T4_T3_P12ihipStream_tbEUlT_E_NS1_11comp_targetILNS1_3genE3ELNS1_11target_archE908ELNS1_3gpuE7ELNS1_3repE0EEENS1_30default_config_static_selectorELNS0_4arch9wavefront6targetE0EEEvSR_
; %bb.0:
	.section	.rodata,"a",@progbits
	.p2align	6, 0x0
	.amdhsa_kernel _ZN7rocprim17ROCPRIM_400000_NS6detail17trampoline_kernelINS0_14default_configENS1_32segmented_reduce_config_selectorIN3c104HalfEEEZNS1_21segmented_reduce_implIS3_PKS6_PS6_PKlS6_N6hipcub16HIPCUB_304000_NS6detail27convert_result_type_wrapperISA_SB_N2at6native12_GLOBAL__N_19CustomSumEEEEE10hipError_tPvRmT0_T1_jT2_SS_T4_T3_P12ihipStream_tbEUlT_E_NS1_11comp_targetILNS1_3genE3ELNS1_11target_archE908ELNS1_3gpuE7ELNS1_3repE0EEENS1_30default_config_static_selectorELNS0_4arch9wavefront6targetE0EEEvSR_
		.amdhsa_group_segment_fixed_size 0
		.amdhsa_private_segment_fixed_size 0
		.amdhsa_kernarg_size 48
		.amdhsa_user_sgpr_count 6
		.amdhsa_user_sgpr_private_segment_buffer 1
		.amdhsa_user_sgpr_dispatch_ptr 0
		.amdhsa_user_sgpr_queue_ptr 0
		.amdhsa_user_sgpr_kernarg_segment_ptr 1
		.amdhsa_user_sgpr_dispatch_id 0
		.amdhsa_user_sgpr_flat_scratch_init 0
		.amdhsa_user_sgpr_private_segment_size 0
		.amdhsa_wavefront_size32 1
		.amdhsa_uses_dynamic_stack 0
		.amdhsa_system_sgpr_private_segment_wavefront_offset 0
		.amdhsa_system_sgpr_workgroup_id_x 1
		.amdhsa_system_sgpr_workgroup_id_y 0
		.amdhsa_system_sgpr_workgroup_id_z 0
		.amdhsa_system_sgpr_workgroup_info 0
		.amdhsa_system_vgpr_workitem_id 0
		.amdhsa_next_free_vgpr 1
		.amdhsa_next_free_sgpr 1
		.amdhsa_reserve_vcc 0
		.amdhsa_reserve_flat_scratch 0
		.amdhsa_float_round_mode_32 0
		.amdhsa_float_round_mode_16_64 0
		.amdhsa_float_denorm_mode_32 3
		.amdhsa_float_denorm_mode_16_64 3
		.amdhsa_dx10_clamp 1
		.amdhsa_ieee_mode 1
		.amdhsa_fp16_overflow 0
		.amdhsa_workgroup_processor_mode 1
		.amdhsa_memory_ordered 1
		.amdhsa_forward_progress 1
		.amdhsa_shared_vgpr_count 0
		.amdhsa_exception_fp_ieee_invalid_op 0
		.amdhsa_exception_fp_denorm_src 0
		.amdhsa_exception_fp_ieee_div_zero 0
		.amdhsa_exception_fp_ieee_overflow 0
		.amdhsa_exception_fp_ieee_underflow 0
		.amdhsa_exception_fp_ieee_inexact 0
		.amdhsa_exception_int_div_zero 0
	.end_amdhsa_kernel
	.section	.text._ZN7rocprim17ROCPRIM_400000_NS6detail17trampoline_kernelINS0_14default_configENS1_32segmented_reduce_config_selectorIN3c104HalfEEEZNS1_21segmented_reduce_implIS3_PKS6_PS6_PKlS6_N6hipcub16HIPCUB_304000_NS6detail27convert_result_type_wrapperISA_SB_N2at6native12_GLOBAL__N_19CustomSumEEEEE10hipError_tPvRmT0_T1_jT2_SS_T4_T3_P12ihipStream_tbEUlT_E_NS1_11comp_targetILNS1_3genE3ELNS1_11target_archE908ELNS1_3gpuE7ELNS1_3repE0EEENS1_30default_config_static_selectorELNS0_4arch9wavefront6targetE0EEEvSR_,"axG",@progbits,_ZN7rocprim17ROCPRIM_400000_NS6detail17trampoline_kernelINS0_14default_configENS1_32segmented_reduce_config_selectorIN3c104HalfEEEZNS1_21segmented_reduce_implIS3_PKS6_PS6_PKlS6_N6hipcub16HIPCUB_304000_NS6detail27convert_result_type_wrapperISA_SB_N2at6native12_GLOBAL__N_19CustomSumEEEEE10hipError_tPvRmT0_T1_jT2_SS_T4_T3_P12ihipStream_tbEUlT_E_NS1_11comp_targetILNS1_3genE3ELNS1_11target_archE908ELNS1_3gpuE7ELNS1_3repE0EEENS1_30default_config_static_selectorELNS0_4arch9wavefront6targetE0EEEvSR_,comdat
.Lfunc_end225:
	.size	_ZN7rocprim17ROCPRIM_400000_NS6detail17trampoline_kernelINS0_14default_configENS1_32segmented_reduce_config_selectorIN3c104HalfEEEZNS1_21segmented_reduce_implIS3_PKS6_PS6_PKlS6_N6hipcub16HIPCUB_304000_NS6detail27convert_result_type_wrapperISA_SB_N2at6native12_GLOBAL__N_19CustomSumEEEEE10hipError_tPvRmT0_T1_jT2_SS_T4_T3_P12ihipStream_tbEUlT_E_NS1_11comp_targetILNS1_3genE3ELNS1_11target_archE908ELNS1_3gpuE7ELNS1_3repE0EEENS1_30default_config_static_selectorELNS0_4arch9wavefront6targetE0EEEvSR_, .Lfunc_end225-_ZN7rocprim17ROCPRIM_400000_NS6detail17trampoline_kernelINS0_14default_configENS1_32segmented_reduce_config_selectorIN3c104HalfEEEZNS1_21segmented_reduce_implIS3_PKS6_PS6_PKlS6_N6hipcub16HIPCUB_304000_NS6detail27convert_result_type_wrapperISA_SB_N2at6native12_GLOBAL__N_19CustomSumEEEEE10hipError_tPvRmT0_T1_jT2_SS_T4_T3_P12ihipStream_tbEUlT_E_NS1_11comp_targetILNS1_3genE3ELNS1_11target_archE908ELNS1_3gpuE7ELNS1_3repE0EEENS1_30default_config_static_selectorELNS0_4arch9wavefront6targetE0EEEvSR_
                                        ; -- End function
	.set _ZN7rocprim17ROCPRIM_400000_NS6detail17trampoline_kernelINS0_14default_configENS1_32segmented_reduce_config_selectorIN3c104HalfEEEZNS1_21segmented_reduce_implIS3_PKS6_PS6_PKlS6_N6hipcub16HIPCUB_304000_NS6detail27convert_result_type_wrapperISA_SB_N2at6native12_GLOBAL__N_19CustomSumEEEEE10hipError_tPvRmT0_T1_jT2_SS_T4_T3_P12ihipStream_tbEUlT_E_NS1_11comp_targetILNS1_3genE3ELNS1_11target_archE908ELNS1_3gpuE7ELNS1_3repE0EEENS1_30default_config_static_selectorELNS0_4arch9wavefront6targetE0EEEvSR_.num_vgpr, 0
	.set _ZN7rocprim17ROCPRIM_400000_NS6detail17trampoline_kernelINS0_14default_configENS1_32segmented_reduce_config_selectorIN3c104HalfEEEZNS1_21segmented_reduce_implIS3_PKS6_PS6_PKlS6_N6hipcub16HIPCUB_304000_NS6detail27convert_result_type_wrapperISA_SB_N2at6native12_GLOBAL__N_19CustomSumEEEEE10hipError_tPvRmT0_T1_jT2_SS_T4_T3_P12ihipStream_tbEUlT_E_NS1_11comp_targetILNS1_3genE3ELNS1_11target_archE908ELNS1_3gpuE7ELNS1_3repE0EEENS1_30default_config_static_selectorELNS0_4arch9wavefront6targetE0EEEvSR_.num_agpr, 0
	.set _ZN7rocprim17ROCPRIM_400000_NS6detail17trampoline_kernelINS0_14default_configENS1_32segmented_reduce_config_selectorIN3c104HalfEEEZNS1_21segmented_reduce_implIS3_PKS6_PS6_PKlS6_N6hipcub16HIPCUB_304000_NS6detail27convert_result_type_wrapperISA_SB_N2at6native12_GLOBAL__N_19CustomSumEEEEE10hipError_tPvRmT0_T1_jT2_SS_T4_T3_P12ihipStream_tbEUlT_E_NS1_11comp_targetILNS1_3genE3ELNS1_11target_archE908ELNS1_3gpuE7ELNS1_3repE0EEENS1_30default_config_static_selectorELNS0_4arch9wavefront6targetE0EEEvSR_.numbered_sgpr, 0
	.set _ZN7rocprim17ROCPRIM_400000_NS6detail17trampoline_kernelINS0_14default_configENS1_32segmented_reduce_config_selectorIN3c104HalfEEEZNS1_21segmented_reduce_implIS3_PKS6_PS6_PKlS6_N6hipcub16HIPCUB_304000_NS6detail27convert_result_type_wrapperISA_SB_N2at6native12_GLOBAL__N_19CustomSumEEEEE10hipError_tPvRmT0_T1_jT2_SS_T4_T3_P12ihipStream_tbEUlT_E_NS1_11comp_targetILNS1_3genE3ELNS1_11target_archE908ELNS1_3gpuE7ELNS1_3repE0EEENS1_30default_config_static_selectorELNS0_4arch9wavefront6targetE0EEEvSR_.num_named_barrier, 0
	.set _ZN7rocprim17ROCPRIM_400000_NS6detail17trampoline_kernelINS0_14default_configENS1_32segmented_reduce_config_selectorIN3c104HalfEEEZNS1_21segmented_reduce_implIS3_PKS6_PS6_PKlS6_N6hipcub16HIPCUB_304000_NS6detail27convert_result_type_wrapperISA_SB_N2at6native12_GLOBAL__N_19CustomSumEEEEE10hipError_tPvRmT0_T1_jT2_SS_T4_T3_P12ihipStream_tbEUlT_E_NS1_11comp_targetILNS1_3genE3ELNS1_11target_archE908ELNS1_3gpuE7ELNS1_3repE0EEENS1_30default_config_static_selectorELNS0_4arch9wavefront6targetE0EEEvSR_.private_seg_size, 0
	.set _ZN7rocprim17ROCPRIM_400000_NS6detail17trampoline_kernelINS0_14default_configENS1_32segmented_reduce_config_selectorIN3c104HalfEEEZNS1_21segmented_reduce_implIS3_PKS6_PS6_PKlS6_N6hipcub16HIPCUB_304000_NS6detail27convert_result_type_wrapperISA_SB_N2at6native12_GLOBAL__N_19CustomSumEEEEE10hipError_tPvRmT0_T1_jT2_SS_T4_T3_P12ihipStream_tbEUlT_E_NS1_11comp_targetILNS1_3genE3ELNS1_11target_archE908ELNS1_3gpuE7ELNS1_3repE0EEENS1_30default_config_static_selectorELNS0_4arch9wavefront6targetE0EEEvSR_.uses_vcc, 0
	.set _ZN7rocprim17ROCPRIM_400000_NS6detail17trampoline_kernelINS0_14default_configENS1_32segmented_reduce_config_selectorIN3c104HalfEEEZNS1_21segmented_reduce_implIS3_PKS6_PS6_PKlS6_N6hipcub16HIPCUB_304000_NS6detail27convert_result_type_wrapperISA_SB_N2at6native12_GLOBAL__N_19CustomSumEEEEE10hipError_tPvRmT0_T1_jT2_SS_T4_T3_P12ihipStream_tbEUlT_E_NS1_11comp_targetILNS1_3genE3ELNS1_11target_archE908ELNS1_3gpuE7ELNS1_3repE0EEENS1_30default_config_static_selectorELNS0_4arch9wavefront6targetE0EEEvSR_.uses_flat_scratch, 0
	.set _ZN7rocprim17ROCPRIM_400000_NS6detail17trampoline_kernelINS0_14default_configENS1_32segmented_reduce_config_selectorIN3c104HalfEEEZNS1_21segmented_reduce_implIS3_PKS6_PS6_PKlS6_N6hipcub16HIPCUB_304000_NS6detail27convert_result_type_wrapperISA_SB_N2at6native12_GLOBAL__N_19CustomSumEEEEE10hipError_tPvRmT0_T1_jT2_SS_T4_T3_P12ihipStream_tbEUlT_E_NS1_11comp_targetILNS1_3genE3ELNS1_11target_archE908ELNS1_3gpuE7ELNS1_3repE0EEENS1_30default_config_static_selectorELNS0_4arch9wavefront6targetE0EEEvSR_.has_dyn_sized_stack, 0
	.set _ZN7rocprim17ROCPRIM_400000_NS6detail17trampoline_kernelINS0_14default_configENS1_32segmented_reduce_config_selectorIN3c104HalfEEEZNS1_21segmented_reduce_implIS3_PKS6_PS6_PKlS6_N6hipcub16HIPCUB_304000_NS6detail27convert_result_type_wrapperISA_SB_N2at6native12_GLOBAL__N_19CustomSumEEEEE10hipError_tPvRmT0_T1_jT2_SS_T4_T3_P12ihipStream_tbEUlT_E_NS1_11comp_targetILNS1_3genE3ELNS1_11target_archE908ELNS1_3gpuE7ELNS1_3repE0EEENS1_30default_config_static_selectorELNS0_4arch9wavefront6targetE0EEEvSR_.has_recursion, 0
	.set _ZN7rocprim17ROCPRIM_400000_NS6detail17trampoline_kernelINS0_14default_configENS1_32segmented_reduce_config_selectorIN3c104HalfEEEZNS1_21segmented_reduce_implIS3_PKS6_PS6_PKlS6_N6hipcub16HIPCUB_304000_NS6detail27convert_result_type_wrapperISA_SB_N2at6native12_GLOBAL__N_19CustomSumEEEEE10hipError_tPvRmT0_T1_jT2_SS_T4_T3_P12ihipStream_tbEUlT_E_NS1_11comp_targetILNS1_3genE3ELNS1_11target_archE908ELNS1_3gpuE7ELNS1_3repE0EEENS1_30default_config_static_selectorELNS0_4arch9wavefront6targetE0EEEvSR_.has_indirect_call, 0
	.section	.AMDGPU.csdata,"",@progbits
; Kernel info:
; codeLenInByte = 0
; TotalNumSgprs: 0
; NumVgprs: 0
; ScratchSize: 0
; MemoryBound: 0
; FloatMode: 240
; IeeeMode: 1
; LDSByteSize: 0 bytes/workgroup (compile time only)
; SGPRBlocks: 0
; VGPRBlocks: 0
; NumSGPRsForWavesPerEU: 1
; NumVGPRsForWavesPerEU: 1
; Occupancy: 16
; WaveLimiterHint : 0
; COMPUTE_PGM_RSRC2:SCRATCH_EN: 0
; COMPUTE_PGM_RSRC2:USER_SGPR: 6
; COMPUTE_PGM_RSRC2:TRAP_HANDLER: 0
; COMPUTE_PGM_RSRC2:TGID_X_EN: 1
; COMPUTE_PGM_RSRC2:TGID_Y_EN: 0
; COMPUTE_PGM_RSRC2:TGID_Z_EN: 0
; COMPUTE_PGM_RSRC2:TIDIG_COMP_CNT: 0
	.section	.text._ZN7rocprim17ROCPRIM_400000_NS6detail17trampoline_kernelINS0_14default_configENS1_32segmented_reduce_config_selectorIN3c104HalfEEEZNS1_21segmented_reduce_implIS3_PKS6_PS6_PKlS6_N6hipcub16HIPCUB_304000_NS6detail27convert_result_type_wrapperISA_SB_N2at6native12_GLOBAL__N_19CustomSumEEEEE10hipError_tPvRmT0_T1_jT2_SS_T4_T3_P12ihipStream_tbEUlT_E_NS1_11comp_targetILNS1_3genE2ELNS1_11target_archE906ELNS1_3gpuE6ELNS1_3repE0EEENS1_30default_config_static_selectorELNS0_4arch9wavefront6targetE0EEEvSR_,"axG",@progbits,_ZN7rocprim17ROCPRIM_400000_NS6detail17trampoline_kernelINS0_14default_configENS1_32segmented_reduce_config_selectorIN3c104HalfEEEZNS1_21segmented_reduce_implIS3_PKS6_PS6_PKlS6_N6hipcub16HIPCUB_304000_NS6detail27convert_result_type_wrapperISA_SB_N2at6native12_GLOBAL__N_19CustomSumEEEEE10hipError_tPvRmT0_T1_jT2_SS_T4_T3_P12ihipStream_tbEUlT_E_NS1_11comp_targetILNS1_3genE2ELNS1_11target_archE906ELNS1_3gpuE6ELNS1_3repE0EEENS1_30default_config_static_selectorELNS0_4arch9wavefront6targetE0EEEvSR_,comdat
	.globl	_ZN7rocprim17ROCPRIM_400000_NS6detail17trampoline_kernelINS0_14default_configENS1_32segmented_reduce_config_selectorIN3c104HalfEEEZNS1_21segmented_reduce_implIS3_PKS6_PS6_PKlS6_N6hipcub16HIPCUB_304000_NS6detail27convert_result_type_wrapperISA_SB_N2at6native12_GLOBAL__N_19CustomSumEEEEE10hipError_tPvRmT0_T1_jT2_SS_T4_T3_P12ihipStream_tbEUlT_E_NS1_11comp_targetILNS1_3genE2ELNS1_11target_archE906ELNS1_3gpuE6ELNS1_3repE0EEENS1_30default_config_static_selectorELNS0_4arch9wavefront6targetE0EEEvSR_ ; -- Begin function _ZN7rocprim17ROCPRIM_400000_NS6detail17trampoline_kernelINS0_14default_configENS1_32segmented_reduce_config_selectorIN3c104HalfEEEZNS1_21segmented_reduce_implIS3_PKS6_PS6_PKlS6_N6hipcub16HIPCUB_304000_NS6detail27convert_result_type_wrapperISA_SB_N2at6native12_GLOBAL__N_19CustomSumEEEEE10hipError_tPvRmT0_T1_jT2_SS_T4_T3_P12ihipStream_tbEUlT_E_NS1_11comp_targetILNS1_3genE2ELNS1_11target_archE906ELNS1_3gpuE6ELNS1_3repE0EEENS1_30default_config_static_selectorELNS0_4arch9wavefront6targetE0EEEvSR_
	.p2align	8
	.type	_ZN7rocprim17ROCPRIM_400000_NS6detail17trampoline_kernelINS0_14default_configENS1_32segmented_reduce_config_selectorIN3c104HalfEEEZNS1_21segmented_reduce_implIS3_PKS6_PS6_PKlS6_N6hipcub16HIPCUB_304000_NS6detail27convert_result_type_wrapperISA_SB_N2at6native12_GLOBAL__N_19CustomSumEEEEE10hipError_tPvRmT0_T1_jT2_SS_T4_T3_P12ihipStream_tbEUlT_E_NS1_11comp_targetILNS1_3genE2ELNS1_11target_archE906ELNS1_3gpuE6ELNS1_3repE0EEENS1_30default_config_static_selectorELNS0_4arch9wavefront6targetE0EEEvSR_,@function
_ZN7rocprim17ROCPRIM_400000_NS6detail17trampoline_kernelINS0_14default_configENS1_32segmented_reduce_config_selectorIN3c104HalfEEEZNS1_21segmented_reduce_implIS3_PKS6_PS6_PKlS6_N6hipcub16HIPCUB_304000_NS6detail27convert_result_type_wrapperISA_SB_N2at6native12_GLOBAL__N_19CustomSumEEEEE10hipError_tPvRmT0_T1_jT2_SS_T4_T3_P12ihipStream_tbEUlT_E_NS1_11comp_targetILNS1_3genE2ELNS1_11target_archE906ELNS1_3gpuE6ELNS1_3repE0EEENS1_30default_config_static_selectorELNS0_4arch9wavefront6targetE0EEEvSR_: ; @_ZN7rocprim17ROCPRIM_400000_NS6detail17trampoline_kernelINS0_14default_configENS1_32segmented_reduce_config_selectorIN3c104HalfEEEZNS1_21segmented_reduce_implIS3_PKS6_PS6_PKlS6_N6hipcub16HIPCUB_304000_NS6detail27convert_result_type_wrapperISA_SB_N2at6native12_GLOBAL__N_19CustomSumEEEEE10hipError_tPvRmT0_T1_jT2_SS_T4_T3_P12ihipStream_tbEUlT_E_NS1_11comp_targetILNS1_3genE2ELNS1_11target_archE906ELNS1_3gpuE6ELNS1_3repE0EEENS1_30default_config_static_selectorELNS0_4arch9wavefront6targetE0EEEvSR_
; %bb.0:
	.section	.rodata,"a",@progbits
	.p2align	6, 0x0
	.amdhsa_kernel _ZN7rocprim17ROCPRIM_400000_NS6detail17trampoline_kernelINS0_14default_configENS1_32segmented_reduce_config_selectorIN3c104HalfEEEZNS1_21segmented_reduce_implIS3_PKS6_PS6_PKlS6_N6hipcub16HIPCUB_304000_NS6detail27convert_result_type_wrapperISA_SB_N2at6native12_GLOBAL__N_19CustomSumEEEEE10hipError_tPvRmT0_T1_jT2_SS_T4_T3_P12ihipStream_tbEUlT_E_NS1_11comp_targetILNS1_3genE2ELNS1_11target_archE906ELNS1_3gpuE6ELNS1_3repE0EEENS1_30default_config_static_selectorELNS0_4arch9wavefront6targetE0EEEvSR_
		.amdhsa_group_segment_fixed_size 0
		.amdhsa_private_segment_fixed_size 0
		.amdhsa_kernarg_size 48
		.amdhsa_user_sgpr_count 6
		.amdhsa_user_sgpr_private_segment_buffer 1
		.amdhsa_user_sgpr_dispatch_ptr 0
		.amdhsa_user_sgpr_queue_ptr 0
		.amdhsa_user_sgpr_kernarg_segment_ptr 1
		.amdhsa_user_sgpr_dispatch_id 0
		.amdhsa_user_sgpr_flat_scratch_init 0
		.amdhsa_user_sgpr_private_segment_size 0
		.amdhsa_wavefront_size32 1
		.amdhsa_uses_dynamic_stack 0
		.amdhsa_system_sgpr_private_segment_wavefront_offset 0
		.amdhsa_system_sgpr_workgroup_id_x 1
		.amdhsa_system_sgpr_workgroup_id_y 0
		.amdhsa_system_sgpr_workgroup_id_z 0
		.amdhsa_system_sgpr_workgroup_info 0
		.amdhsa_system_vgpr_workitem_id 0
		.amdhsa_next_free_vgpr 1
		.amdhsa_next_free_sgpr 1
		.amdhsa_reserve_vcc 0
		.amdhsa_reserve_flat_scratch 0
		.amdhsa_float_round_mode_32 0
		.amdhsa_float_round_mode_16_64 0
		.amdhsa_float_denorm_mode_32 3
		.amdhsa_float_denorm_mode_16_64 3
		.amdhsa_dx10_clamp 1
		.amdhsa_ieee_mode 1
		.amdhsa_fp16_overflow 0
		.amdhsa_workgroup_processor_mode 1
		.amdhsa_memory_ordered 1
		.amdhsa_forward_progress 1
		.amdhsa_shared_vgpr_count 0
		.amdhsa_exception_fp_ieee_invalid_op 0
		.amdhsa_exception_fp_denorm_src 0
		.amdhsa_exception_fp_ieee_div_zero 0
		.amdhsa_exception_fp_ieee_overflow 0
		.amdhsa_exception_fp_ieee_underflow 0
		.amdhsa_exception_fp_ieee_inexact 0
		.amdhsa_exception_int_div_zero 0
	.end_amdhsa_kernel
	.section	.text._ZN7rocprim17ROCPRIM_400000_NS6detail17trampoline_kernelINS0_14default_configENS1_32segmented_reduce_config_selectorIN3c104HalfEEEZNS1_21segmented_reduce_implIS3_PKS6_PS6_PKlS6_N6hipcub16HIPCUB_304000_NS6detail27convert_result_type_wrapperISA_SB_N2at6native12_GLOBAL__N_19CustomSumEEEEE10hipError_tPvRmT0_T1_jT2_SS_T4_T3_P12ihipStream_tbEUlT_E_NS1_11comp_targetILNS1_3genE2ELNS1_11target_archE906ELNS1_3gpuE6ELNS1_3repE0EEENS1_30default_config_static_selectorELNS0_4arch9wavefront6targetE0EEEvSR_,"axG",@progbits,_ZN7rocprim17ROCPRIM_400000_NS6detail17trampoline_kernelINS0_14default_configENS1_32segmented_reduce_config_selectorIN3c104HalfEEEZNS1_21segmented_reduce_implIS3_PKS6_PS6_PKlS6_N6hipcub16HIPCUB_304000_NS6detail27convert_result_type_wrapperISA_SB_N2at6native12_GLOBAL__N_19CustomSumEEEEE10hipError_tPvRmT0_T1_jT2_SS_T4_T3_P12ihipStream_tbEUlT_E_NS1_11comp_targetILNS1_3genE2ELNS1_11target_archE906ELNS1_3gpuE6ELNS1_3repE0EEENS1_30default_config_static_selectorELNS0_4arch9wavefront6targetE0EEEvSR_,comdat
.Lfunc_end226:
	.size	_ZN7rocprim17ROCPRIM_400000_NS6detail17trampoline_kernelINS0_14default_configENS1_32segmented_reduce_config_selectorIN3c104HalfEEEZNS1_21segmented_reduce_implIS3_PKS6_PS6_PKlS6_N6hipcub16HIPCUB_304000_NS6detail27convert_result_type_wrapperISA_SB_N2at6native12_GLOBAL__N_19CustomSumEEEEE10hipError_tPvRmT0_T1_jT2_SS_T4_T3_P12ihipStream_tbEUlT_E_NS1_11comp_targetILNS1_3genE2ELNS1_11target_archE906ELNS1_3gpuE6ELNS1_3repE0EEENS1_30default_config_static_selectorELNS0_4arch9wavefront6targetE0EEEvSR_, .Lfunc_end226-_ZN7rocprim17ROCPRIM_400000_NS6detail17trampoline_kernelINS0_14default_configENS1_32segmented_reduce_config_selectorIN3c104HalfEEEZNS1_21segmented_reduce_implIS3_PKS6_PS6_PKlS6_N6hipcub16HIPCUB_304000_NS6detail27convert_result_type_wrapperISA_SB_N2at6native12_GLOBAL__N_19CustomSumEEEEE10hipError_tPvRmT0_T1_jT2_SS_T4_T3_P12ihipStream_tbEUlT_E_NS1_11comp_targetILNS1_3genE2ELNS1_11target_archE906ELNS1_3gpuE6ELNS1_3repE0EEENS1_30default_config_static_selectorELNS0_4arch9wavefront6targetE0EEEvSR_
                                        ; -- End function
	.set _ZN7rocprim17ROCPRIM_400000_NS6detail17trampoline_kernelINS0_14default_configENS1_32segmented_reduce_config_selectorIN3c104HalfEEEZNS1_21segmented_reduce_implIS3_PKS6_PS6_PKlS6_N6hipcub16HIPCUB_304000_NS6detail27convert_result_type_wrapperISA_SB_N2at6native12_GLOBAL__N_19CustomSumEEEEE10hipError_tPvRmT0_T1_jT2_SS_T4_T3_P12ihipStream_tbEUlT_E_NS1_11comp_targetILNS1_3genE2ELNS1_11target_archE906ELNS1_3gpuE6ELNS1_3repE0EEENS1_30default_config_static_selectorELNS0_4arch9wavefront6targetE0EEEvSR_.num_vgpr, 0
	.set _ZN7rocprim17ROCPRIM_400000_NS6detail17trampoline_kernelINS0_14default_configENS1_32segmented_reduce_config_selectorIN3c104HalfEEEZNS1_21segmented_reduce_implIS3_PKS6_PS6_PKlS6_N6hipcub16HIPCUB_304000_NS6detail27convert_result_type_wrapperISA_SB_N2at6native12_GLOBAL__N_19CustomSumEEEEE10hipError_tPvRmT0_T1_jT2_SS_T4_T3_P12ihipStream_tbEUlT_E_NS1_11comp_targetILNS1_3genE2ELNS1_11target_archE906ELNS1_3gpuE6ELNS1_3repE0EEENS1_30default_config_static_selectorELNS0_4arch9wavefront6targetE0EEEvSR_.num_agpr, 0
	.set _ZN7rocprim17ROCPRIM_400000_NS6detail17trampoline_kernelINS0_14default_configENS1_32segmented_reduce_config_selectorIN3c104HalfEEEZNS1_21segmented_reduce_implIS3_PKS6_PS6_PKlS6_N6hipcub16HIPCUB_304000_NS6detail27convert_result_type_wrapperISA_SB_N2at6native12_GLOBAL__N_19CustomSumEEEEE10hipError_tPvRmT0_T1_jT2_SS_T4_T3_P12ihipStream_tbEUlT_E_NS1_11comp_targetILNS1_3genE2ELNS1_11target_archE906ELNS1_3gpuE6ELNS1_3repE0EEENS1_30default_config_static_selectorELNS0_4arch9wavefront6targetE0EEEvSR_.numbered_sgpr, 0
	.set _ZN7rocprim17ROCPRIM_400000_NS6detail17trampoline_kernelINS0_14default_configENS1_32segmented_reduce_config_selectorIN3c104HalfEEEZNS1_21segmented_reduce_implIS3_PKS6_PS6_PKlS6_N6hipcub16HIPCUB_304000_NS6detail27convert_result_type_wrapperISA_SB_N2at6native12_GLOBAL__N_19CustomSumEEEEE10hipError_tPvRmT0_T1_jT2_SS_T4_T3_P12ihipStream_tbEUlT_E_NS1_11comp_targetILNS1_3genE2ELNS1_11target_archE906ELNS1_3gpuE6ELNS1_3repE0EEENS1_30default_config_static_selectorELNS0_4arch9wavefront6targetE0EEEvSR_.num_named_barrier, 0
	.set _ZN7rocprim17ROCPRIM_400000_NS6detail17trampoline_kernelINS0_14default_configENS1_32segmented_reduce_config_selectorIN3c104HalfEEEZNS1_21segmented_reduce_implIS3_PKS6_PS6_PKlS6_N6hipcub16HIPCUB_304000_NS6detail27convert_result_type_wrapperISA_SB_N2at6native12_GLOBAL__N_19CustomSumEEEEE10hipError_tPvRmT0_T1_jT2_SS_T4_T3_P12ihipStream_tbEUlT_E_NS1_11comp_targetILNS1_3genE2ELNS1_11target_archE906ELNS1_3gpuE6ELNS1_3repE0EEENS1_30default_config_static_selectorELNS0_4arch9wavefront6targetE0EEEvSR_.private_seg_size, 0
	.set _ZN7rocprim17ROCPRIM_400000_NS6detail17trampoline_kernelINS0_14default_configENS1_32segmented_reduce_config_selectorIN3c104HalfEEEZNS1_21segmented_reduce_implIS3_PKS6_PS6_PKlS6_N6hipcub16HIPCUB_304000_NS6detail27convert_result_type_wrapperISA_SB_N2at6native12_GLOBAL__N_19CustomSumEEEEE10hipError_tPvRmT0_T1_jT2_SS_T4_T3_P12ihipStream_tbEUlT_E_NS1_11comp_targetILNS1_3genE2ELNS1_11target_archE906ELNS1_3gpuE6ELNS1_3repE0EEENS1_30default_config_static_selectorELNS0_4arch9wavefront6targetE0EEEvSR_.uses_vcc, 0
	.set _ZN7rocprim17ROCPRIM_400000_NS6detail17trampoline_kernelINS0_14default_configENS1_32segmented_reduce_config_selectorIN3c104HalfEEEZNS1_21segmented_reduce_implIS3_PKS6_PS6_PKlS6_N6hipcub16HIPCUB_304000_NS6detail27convert_result_type_wrapperISA_SB_N2at6native12_GLOBAL__N_19CustomSumEEEEE10hipError_tPvRmT0_T1_jT2_SS_T4_T3_P12ihipStream_tbEUlT_E_NS1_11comp_targetILNS1_3genE2ELNS1_11target_archE906ELNS1_3gpuE6ELNS1_3repE0EEENS1_30default_config_static_selectorELNS0_4arch9wavefront6targetE0EEEvSR_.uses_flat_scratch, 0
	.set _ZN7rocprim17ROCPRIM_400000_NS6detail17trampoline_kernelINS0_14default_configENS1_32segmented_reduce_config_selectorIN3c104HalfEEEZNS1_21segmented_reduce_implIS3_PKS6_PS6_PKlS6_N6hipcub16HIPCUB_304000_NS6detail27convert_result_type_wrapperISA_SB_N2at6native12_GLOBAL__N_19CustomSumEEEEE10hipError_tPvRmT0_T1_jT2_SS_T4_T3_P12ihipStream_tbEUlT_E_NS1_11comp_targetILNS1_3genE2ELNS1_11target_archE906ELNS1_3gpuE6ELNS1_3repE0EEENS1_30default_config_static_selectorELNS0_4arch9wavefront6targetE0EEEvSR_.has_dyn_sized_stack, 0
	.set _ZN7rocprim17ROCPRIM_400000_NS6detail17trampoline_kernelINS0_14default_configENS1_32segmented_reduce_config_selectorIN3c104HalfEEEZNS1_21segmented_reduce_implIS3_PKS6_PS6_PKlS6_N6hipcub16HIPCUB_304000_NS6detail27convert_result_type_wrapperISA_SB_N2at6native12_GLOBAL__N_19CustomSumEEEEE10hipError_tPvRmT0_T1_jT2_SS_T4_T3_P12ihipStream_tbEUlT_E_NS1_11comp_targetILNS1_3genE2ELNS1_11target_archE906ELNS1_3gpuE6ELNS1_3repE0EEENS1_30default_config_static_selectorELNS0_4arch9wavefront6targetE0EEEvSR_.has_recursion, 0
	.set _ZN7rocprim17ROCPRIM_400000_NS6detail17trampoline_kernelINS0_14default_configENS1_32segmented_reduce_config_selectorIN3c104HalfEEEZNS1_21segmented_reduce_implIS3_PKS6_PS6_PKlS6_N6hipcub16HIPCUB_304000_NS6detail27convert_result_type_wrapperISA_SB_N2at6native12_GLOBAL__N_19CustomSumEEEEE10hipError_tPvRmT0_T1_jT2_SS_T4_T3_P12ihipStream_tbEUlT_E_NS1_11comp_targetILNS1_3genE2ELNS1_11target_archE906ELNS1_3gpuE6ELNS1_3repE0EEENS1_30default_config_static_selectorELNS0_4arch9wavefront6targetE0EEEvSR_.has_indirect_call, 0
	.section	.AMDGPU.csdata,"",@progbits
; Kernel info:
; codeLenInByte = 0
; TotalNumSgprs: 0
; NumVgprs: 0
; ScratchSize: 0
; MemoryBound: 0
; FloatMode: 240
; IeeeMode: 1
; LDSByteSize: 0 bytes/workgroup (compile time only)
; SGPRBlocks: 0
; VGPRBlocks: 0
; NumSGPRsForWavesPerEU: 1
; NumVGPRsForWavesPerEU: 1
; Occupancy: 16
; WaveLimiterHint : 0
; COMPUTE_PGM_RSRC2:SCRATCH_EN: 0
; COMPUTE_PGM_RSRC2:USER_SGPR: 6
; COMPUTE_PGM_RSRC2:TRAP_HANDLER: 0
; COMPUTE_PGM_RSRC2:TGID_X_EN: 1
; COMPUTE_PGM_RSRC2:TGID_Y_EN: 0
; COMPUTE_PGM_RSRC2:TGID_Z_EN: 0
; COMPUTE_PGM_RSRC2:TIDIG_COMP_CNT: 0
	.section	.text._ZN7rocprim17ROCPRIM_400000_NS6detail17trampoline_kernelINS0_14default_configENS1_32segmented_reduce_config_selectorIN3c104HalfEEEZNS1_21segmented_reduce_implIS3_PKS6_PS6_PKlS6_N6hipcub16HIPCUB_304000_NS6detail27convert_result_type_wrapperISA_SB_N2at6native12_GLOBAL__N_19CustomSumEEEEE10hipError_tPvRmT0_T1_jT2_SS_T4_T3_P12ihipStream_tbEUlT_E_NS1_11comp_targetILNS1_3genE9ELNS1_11target_archE1100ELNS1_3gpuE3ELNS1_3repE0EEENS1_30default_config_static_selectorELNS0_4arch9wavefront6targetE0EEEvSR_,"axG",@progbits,_ZN7rocprim17ROCPRIM_400000_NS6detail17trampoline_kernelINS0_14default_configENS1_32segmented_reduce_config_selectorIN3c104HalfEEEZNS1_21segmented_reduce_implIS3_PKS6_PS6_PKlS6_N6hipcub16HIPCUB_304000_NS6detail27convert_result_type_wrapperISA_SB_N2at6native12_GLOBAL__N_19CustomSumEEEEE10hipError_tPvRmT0_T1_jT2_SS_T4_T3_P12ihipStream_tbEUlT_E_NS1_11comp_targetILNS1_3genE9ELNS1_11target_archE1100ELNS1_3gpuE3ELNS1_3repE0EEENS1_30default_config_static_selectorELNS0_4arch9wavefront6targetE0EEEvSR_,comdat
	.globl	_ZN7rocprim17ROCPRIM_400000_NS6detail17trampoline_kernelINS0_14default_configENS1_32segmented_reduce_config_selectorIN3c104HalfEEEZNS1_21segmented_reduce_implIS3_PKS6_PS6_PKlS6_N6hipcub16HIPCUB_304000_NS6detail27convert_result_type_wrapperISA_SB_N2at6native12_GLOBAL__N_19CustomSumEEEEE10hipError_tPvRmT0_T1_jT2_SS_T4_T3_P12ihipStream_tbEUlT_E_NS1_11comp_targetILNS1_3genE9ELNS1_11target_archE1100ELNS1_3gpuE3ELNS1_3repE0EEENS1_30default_config_static_selectorELNS0_4arch9wavefront6targetE0EEEvSR_ ; -- Begin function _ZN7rocprim17ROCPRIM_400000_NS6detail17trampoline_kernelINS0_14default_configENS1_32segmented_reduce_config_selectorIN3c104HalfEEEZNS1_21segmented_reduce_implIS3_PKS6_PS6_PKlS6_N6hipcub16HIPCUB_304000_NS6detail27convert_result_type_wrapperISA_SB_N2at6native12_GLOBAL__N_19CustomSumEEEEE10hipError_tPvRmT0_T1_jT2_SS_T4_T3_P12ihipStream_tbEUlT_E_NS1_11comp_targetILNS1_3genE9ELNS1_11target_archE1100ELNS1_3gpuE3ELNS1_3repE0EEENS1_30default_config_static_selectorELNS0_4arch9wavefront6targetE0EEEvSR_
	.p2align	8
	.type	_ZN7rocprim17ROCPRIM_400000_NS6detail17trampoline_kernelINS0_14default_configENS1_32segmented_reduce_config_selectorIN3c104HalfEEEZNS1_21segmented_reduce_implIS3_PKS6_PS6_PKlS6_N6hipcub16HIPCUB_304000_NS6detail27convert_result_type_wrapperISA_SB_N2at6native12_GLOBAL__N_19CustomSumEEEEE10hipError_tPvRmT0_T1_jT2_SS_T4_T3_P12ihipStream_tbEUlT_E_NS1_11comp_targetILNS1_3genE9ELNS1_11target_archE1100ELNS1_3gpuE3ELNS1_3repE0EEENS1_30default_config_static_selectorELNS0_4arch9wavefront6targetE0EEEvSR_,@function
_ZN7rocprim17ROCPRIM_400000_NS6detail17trampoline_kernelINS0_14default_configENS1_32segmented_reduce_config_selectorIN3c104HalfEEEZNS1_21segmented_reduce_implIS3_PKS6_PS6_PKlS6_N6hipcub16HIPCUB_304000_NS6detail27convert_result_type_wrapperISA_SB_N2at6native12_GLOBAL__N_19CustomSumEEEEE10hipError_tPvRmT0_T1_jT2_SS_T4_T3_P12ihipStream_tbEUlT_E_NS1_11comp_targetILNS1_3genE9ELNS1_11target_archE1100ELNS1_3gpuE3ELNS1_3repE0EEENS1_30default_config_static_selectorELNS0_4arch9wavefront6targetE0EEEvSR_: ; @_ZN7rocprim17ROCPRIM_400000_NS6detail17trampoline_kernelINS0_14default_configENS1_32segmented_reduce_config_selectorIN3c104HalfEEEZNS1_21segmented_reduce_implIS3_PKS6_PS6_PKlS6_N6hipcub16HIPCUB_304000_NS6detail27convert_result_type_wrapperISA_SB_N2at6native12_GLOBAL__N_19CustomSumEEEEE10hipError_tPvRmT0_T1_jT2_SS_T4_T3_P12ihipStream_tbEUlT_E_NS1_11comp_targetILNS1_3genE9ELNS1_11target_archE1100ELNS1_3gpuE3ELNS1_3repE0EEENS1_30default_config_static_selectorELNS0_4arch9wavefront6targetE0EEEvSR_
; %bb.0:
	.section	.rodata,"a",@progbits
	.p2align	6, 0x0
	.amdhsa_kernel _ZN7rocprim17ROCPRIM_400000_NS6detail17trampoline_kernelINS0_14default_configENS1_32segmented_reduce_config_selectorIN3c104HalfEEEZNS1_21segmented_reduce_implIS3_PKS6_PS6_PKlS6_N6hipcub16HIPCUB_304000_NS6detail27convert_result_type_wrapperISA_SB_N2at6native12_GLOBAL__N_19CustomSumEEEEE10hipError_tPvRmT0_T1_jT2_SS_T4_T3_P12ihipStream_tbEUlT_E_NS1_11comp_targetILNS1_3genE9ELNS1_11target_archE1100ELNS1_3gpuE3ELNS1_3repE0EEENS1_30default_config_static_selectorELNS0_4arch9wavefront6targetE0EEEvSR_
		.amdhsa_group_segment_fixed_size 0
		.amdhsa_private_segment_fixed_size 0
		.amdhsa_kernarg_size 48
		.amdhsa_user_sgpr_count 6
		.amdhsa_user_sgpr_private_segment_buffer 1
		.amdhsa_user_sgpr_dispatch_ptr 0
		.amdhsa_user_sgpr_queue_ptr 0
		.amdhsa_user_sgpr_kernarg_segment_ptr 1
		.amdhsa_user_sgpr_dispatch_id 0
		.amdhsa_user_sgpr_flat_scratch_init 0
		.amdhsa_user_sgpr_private_segment_size 0
		.amdhsa_wavefront_size32 1
		.amdhsa_uses_dynamic_stack 0
		.amdhsa_system_sgpr_private_segment_wavefront_offset 0
		.amdhsa_system_sgpr_workgroup_id_x 1
		.amdhsa_system_sgpr_workgroup_id_y 0
		.amdhsa_system_sgpr_workgroup_id_z 0
		.amdhsa_system_sgpr_workgroup_info 0
		.amdhsa_system_vgpr_workitem_id 0
		.amdhsa_next_free_vgpr 1
		.amdhsa_next_free_sgpr 1
		.amdhsa_reserve_vcc 0
		.amdhsa_reserve_flat_scratch 0
		.amdhsa_float_round_mode_32 0
		.amdhsa_float_round_mode_16_64 0
		.amdhsa_float_denorm_mode_32 3
		.amdhsa_float_denorm_mode_16_64 3
		.amdhsa_dx10_clamp 1
		.amdhsa_ieee_mode 1
		.amdhsa_fp16_overflow 0
		.amdhsa_workgroup_processor_mode 1
		.amdhsa_memory_ordered 1
		.amdhsa_forward_progress 1
		.amdhsa_shared_vgpr_count 0
		.amdhsa_exception_fp_ieee_invalid_op 0
		.amdhsa_exception_fp_denorm_src 0
		.amdhsa_exception_fp_ieee_div_zero 0
		.amdhsa_exception_fp_ieee_overflow 0
		.amdhsa_exception_fp_ieee_underflow 0
		.amdhsa_exception_fp_ieee_inexact 0
		.amdhsa_exception_int_div_zero 0
	.end_amdhsa_kernel
	.section	.text._ZN7rocprim17ROCPRIM_400000_NS6detail17trampoline_kernelINS0_14default_configENS1_32segmented_reduce_config_selectorIN3c104HalfEEEZNS1_21segmented_reduce_implIS3_PKS6_PS6_PKlS6_N6hipcub16HIPCUB_304000_NS6detail27convert_result_type_wrapperISA_SB_N2at6native12_GLOBAL__N_19CustomSumEEEEE10hipError_tPvRmT0_T1_jT2_SS_T4_T3_P12ihipStream_tbEUlT_E_NS1_11comp_targetILNS1_3genE9ELNS1_11target_archE1100ELNS1_3gpuE3ELNS1_3repE0EEENS1_30default_config_static_selectorELNS0_4arch9wavefront6targetE0EEEvSR_,"axG",@progbits,_ZN7rocprim17ROCPRIM_400000_NS6detail17trampoline_kernelINS0_14default_configENS1_32segmented_reduce_config_selectorIN3c104HalfEEEZNS1_21segmented_reduce_implIS3_PKS6_PS6_PKlS6_N6hipcub16HIPCUB_304000_NS6detail27convert_result_type_wrapperISA_SB_N2at6native12_GLOBAL__N_19CustomSumEEEEE10hipError_tPvRmT0_T1_jT2_SS_T4_T3_P12ihipStream_tbEUlT_E_NS1_11comp_targetILNS1_3genE9ELNS1_11target_archE1100ELNS1_3gpuE3ELNS1_3repE0EEENS1_30default_config_static_selectorELNS0_4arch9wavefront6targetE0EEEvSR_,comdat
.Lfunc_end227:
	.size	_ZN7rocprim17ROCPRIM_400000_NS6detail17trampoline_kernelINS0_14default_configENS1_32segmented_reduce_config_selectorIN3c104HalfEEEZNS1_21segmented_reduce_implIS3_PKS6_PS6_PKlS6_N6hipcub16HIPCUB_304000_NS6detail27convert_result_type_wrapperISA_SB_N2at6native12_GLOBAL__N_19CustomSumEEEEE10hipError_tPvRmT0_T1_jT2_SS_T4_T3_P12ihipStream_tbEUlT_E_NS1_11comp_targetILNS1_3genE9ELNS1_11target_archE1100ELNS1_3gpuE3ELNS1_3repE0EEENS1_30default_config_static_selectorELNS0_4arch9wavefront6targetE0EEEvSR_, .Lfunc_end227-_ZN7rocprim17ROCPRIM_400000_NS6detail17trampoline_kernelINS0_14default_configENS1_32segmented_reduce_config_selectorIN3c104HalfEEEZNS1_21segmented_reduce_implIS3_PKS6_PS6_PKlS6_N6hipcub16HIPCUB_304000_NS6detail27convert_result_type_wrapperISA_SB_N2at6native12_GLOBAL__N_19CustomSumEEEEE10hipError_tPvRmT0_T1_jT2_SS_T4_T3_P12ihipStream_tbEUlT_E_NS1_11comp_targetILNS1_3genE9ELNS1_11target_archE1100ELNS1_3gpuE3ELNS1_3repE0EEENS1_30default_config_static_selectorELNS0_4arch9wavefront6targetE0EEEvSR_
                                        ; -- End function
	.set _ZN7rocprim17ROCPRIM_400000_NS6detail17trampoline_kernelINS0_14default_configENS1_32segmented_reduce_config_selectorIN3c104HalfEEEZNS1_21segmented_reduce_implIS3_PKS6_PS6_PKlS6_N6hipcub16HIPCUB_304000_NS6detail27convert_result_type_wrapperISA_SB_N2at6native12_GLOBAL__N_19CustomSumEEEEE10hipError_tPvRmT0_T1_jT2_SS_T4_T3_P12ihipStream_tbEUlT_E_NS1_11comp_targetILNS1_3genE9ELNS1_11target_archE1100ELNS1_3gpuE3ELNS1_3repE0EEENS1_30default_config_static_selectorELNS0_4arch9wavefront6targetE0EEEvSR_.num_vgpr, 0
	.set _ZN7rocprim17ROCPRIM_400000_NS6detail17trampoline_kernelINS0_14default_configENS1_32segmented_reduce_config_selectorIN3c104HalfEEEZNS1_21segmented_reduce_implIS3_PKS6_PS6_PKlS6_N6hipcub16HIPCUB_304000_NS6detail27convert_result_type_wrapperISA_SB_N2at6native12_GLOBAL__N_19CustomSumEEEEE10hipError_tPvRmT0_T1_jT2_SS_T4_T3_P12ihipStream_tbEUlT_E_NS1_11comp_targetILNS1_3genE9ELNS1_11target_archE1100ELNS1_3gpuE3ELNS1_3repE0EEENS1_30default_config_static_selectorELNS0_4arch9wavefront6targetE0EEEvSR_.num_agpr, 0
	.set _ZN7rocprim17ROCPRIM_400000_NS6detail17trampoline_kernelINS0_14default_configENS1_32segmented_reduce_config_selectorIN3c104HalfEEEZNS1_21segmented_reduce_implIS3_PKS6_PS6_PKlS6_N6hipcub16HIPCUB_304000_NS6detail27convert_result_type_wrapperISA_SB_N2at6native12_GLOBAL__N_19CustomSumEEEEE10hipError_tPvRmT0_T1_jT2_SS_T4_T3_P12ihipStream_tbEUlT_E_NS1_11comp_targetILNS1_3genE9ELNS1_11target_archE1100ELNS1_3gpuE3ELNS1_3repE0EEENS1_30default_config_static_selectorELNS0_4arch9wavefront6targetE0EEEvSR_.numbered_sgpr, 0
	.set _ZN7rocprim17ROCPRIM_400000_NS6detail17trampoline_kernelINS0_14default_configENS1_32segmented_reduce_config_selectorIN3c104HalfEEEZNS1_21segmented_reduce_implIS3_PKS6_PS6_PKlS6_N6hipcub16HIPCUB_304000_NS6detail27convert_result_type_wrapperISA_SB_N2at6native12_GLOBAL__N_19CustomSumEEEEE10hipError_tPvRmT0_T1_jT2_SS_T4_T3_P12ihipStream_tbEUlT_E_NS1_11comp_targetILNS1_3genE9ELNS1_11target_archE1100ELNS1_3gpuE3ELNS1_3repE0EEENS1_30default_config_static_selectorELNS0_4arch9wavefront6targetE0EEEvSR_.num_named_barrier, 0
	.set _ZN7rocprim17ROCPRIM_400000_NS6detail17trampoline_kernelINS0_14default_configENS1_32segmented_reduce_config_selectorIN3c104HalfEEEZNS1_21segmented_reduce_implIS3_PKS6_PS6_PKlS6_N6hipcub16HIPCUB_304000_NS6detail27convert_result_type_wrapperISA_SB_N2at6native12_GLOBAL__N_19CustomSumEEEEE10hipError_tPvRmT0_T1_jT2_SS_T4_T3_P12ihipStream_tbEUlT_E_NS1_11comp_targetILNS1_3genE9ELNS1_11target_archE1100ELNS1_3gpuE3ELNS1_3repE0EEENS1_30default_config_static_selectorELNS0_4arch9wavefront6targetE0EEEvSR_.private_seg_size, 0
	.set _ZN7rocprim17ROCPRIM_400000_NS6detail17trampoline_kernelINS0_14default_configENS1_32segmented_reduce_config_selectorIN3c104HalfEEEZNS1_21segmented_reduce_implIS3_PKS6_PS6_PKlS6_N6hipcub16HIPCUB_304000_NS6detail27convert_result_type_wrapperISA_SB_N2at6native12_GLOBAL__N_19CustomSumEEEEE10hipError_tPvRmT0_T1_jT2_SS_T4_T3_P12ihipStream_tbEUlT_E_NS1_11comp_targetILNS1_3genE9ELNS1_11target_archE1100ELNS1_3gpuE3ELNS1_3repE0EEENS1_30default_config_static_selectorELNS0_4arch9wavefront6targetE0EEEvSR_.uses_vcc, 0
	.set _ZN7rocprim17ROCPRIM_400000_NS6detail17trampoline_kernelINS0_14default_configENS1_32segmented_reduce_config_selectorIN3c104HalfEEEZNS1_21segmented_reduce_implIS3_PKS6_PS6_PKlS6_N6hipcub16HIPCUB_304000_NS6detail27convert_result_type_wrapperISA_SB_N2at6native12_GLOBAL__N_19CustomSumEEEEE10hipError_tPvRmT0_T1_jT2_SS_T4_T3_P12ihipStream_tbEUlT_E_NS1_11comp_targetILNS1_3genE9ELNS1_11target_archE1100ELNS1_3gpuE3ELNS1_3repE0EEENS1_30default_config_static_selectorELNS0_4arch9wavefront6targetE0EEEvSR_.uses_flat_scratch, 0
	.set _ZN7rocprim17ROCPRIM_400000_NS6detail17trampoline_kernelINS0_14default_configENS1_32segmented_reduce_config_selectorIN3c104HalfEEEZNS1_21segmented_reduce_implIS3_PKS6_PS6_PKlS6_N6hipcub16HIPCUB_304000_NS6detail27convert_result_type_wrapperISA_SB_N2at6native12_GLOBAL__N_19CustomSumEEEEE10hipError_tPvRmT0_T1_jT2_SS_T4_T3_P12ihipStream_tbEUlT_E_NS1_11comp_targetILNS1_3genE9ELNS1_11target_archE1100ELNS1_3gpuE3ELNS1_3repE0EEENS1_30default_config_static_selectorELNS0_4arch9wavefront6targetE0EEEvSR_.has_dyn_sized_stack, 0
	.set _ZN7rocprim17ROCPRIM_400000_NS6detail17trampoline_kernelINS0_14default_configENS1_32segmented_reduce_config_selectorIN3c104HalfEEEZNS1_21segmented_reduce_implIS3_PKS6_PS6_PKlS6_N6hipcub16HIPCUB_304000_NS6detail27convert_result_type_wrapperISA_SB_N2at6native12_GLOBAL__N_19CustomSumEEEEE10hipError_tPvRmT0_T1_jT2_SS_T4_T3_P12ihipStream_tbEUlT_E_NS1_11comp_targetILNS1_3genE9ELNS1_11target_archE1100ELNS1_3gpuE3ELNS1_3repE0EEENS1_30default_config_static_selectorELNS0_4arch9wavefront6targetE0EEEvSR_.has_recursion, 0
	.set _ZN7rocprim17ROCPRIM_400000_NS6detail17trampoline_kernelINS0_14default_configENS1_32segmented_reduce_config_selectorIN3c104HalfEEEZNS1_21segmented_reduce_implIS3_PKS6_PS6_PKlS6_N6hipcub16HIPCUB_304000_NS6detail27convert_result_type_wrapperISA_SB_N2at6native12_GLOBAL__N_19CustomSumEEEEE10hipError_tPvRmT0_T1_jT2_SS_T4_T3_P12ihipStream_tbEUlT_E_NS1_11comp_targetILNS1_3genE9ELNS1_11target_archE1100ELNS1_3gpuE3ELNS1_3repE0EEENS1_30default_config_static_selectorELNS0_4arch9wavefront6targetE0EEEvSR_.has_indirect_call, 0
	.section	.AMDGPU.csdata,"",@progbits
; Kernel info:
; codeLenInByte = 0
; TotalNumSgprs: 0
; NumVgprs: 0
; ScratchSize: 0
; MemoryBound: 0
; FloatMode: 240
; IeeeMode: 1
; LDSByteSize: 0 bytes/workgroup (compile time only)
; SGPRBlocks: 0
; VGPRBlocks: 0
; NumSGPRsForWavesPerEU: 1
; NumVGPRsForWavesPerEU: 1
; Occupancy: 16
; WaveLimiterHint : 0
; COMPUTE_PGM_RSRC2:SCRATCH_EN: 0
; COMPUTE_PGM_RSRC2:USER_SGPR: 6
; COMPUTE_PGM_RSRC2:TRAP_HANDLER: 0
; COMPUTE_PGM_RSRC2:TGID_X_EN: 1
; COMPUTE_PGM_RSRC2:TGID_Y_EN: 0
; COMPUTE_PGM_RSRC2:TGID_Z_EN: 0
; COMPUTE_PGM_RSRC2:TIDIG_COMP_CNT: 0
	.section	.text._ZN7rocprim17ROCPRIM_400000_NS6detail17trampoline_kernelINS0_14default_configENS1_32segmented_reduce_config_selectorIN3c104HalfEEEZNS1_21segmented_reduce_implIS3_PKS6_PS6_PKlS6_N6hipcub16HIPCUB_304000_NS6detail27convert_result_type_wrapperISA_SB_N2at6native12_GLOBAL__N_19CustomSumEEEEE10hipError_tPvRmT0_T1_jT2_SS_T4_T3_P12ihipStream_tbEUlT_E_NS1_11comp_targetILNS1_3genE8ELNS1_11target_archE1030ELNS1_3gpuE2ELNS1_3repE0EEENS1_30default_config_static_selectorELNS0_4arch9wavefront6targetE0EEEvSR_,"axG",@progbits,_ZN7rocprim17ROCPRIM_400000_NS6detail17trampoline_kernelINS0_14default_configENS1_32segmented_reduce_config_selectorIN3c104HalfEEEZNS1_21segmented_reduce_implIS3_PKS6_PS6_PKlS6_N6hipcub16HIPCUB_304000_NS6detail27convert_result_type_wrapperISA_SB_N2at6native12_GLOBAL__N_19CustomSumEEEEE10hipError_tPvRmT0_T1_jT2_SS_T4_T3_P12ihipStream_tbEUlT_E_NS1_11comp_targetILNS1_3genE8ELNS1_11target_archE1030ELNS1_3gpuE2ELNS1_3repE0EEENS1_30default_config_static_selectorELNS0_4arch9wavefront6targetE0EEEvSR_,comdat
	.globl	_ZN7rocprim17ROCPRIM_400000_NS6detail17trampoline_kernelINS0_14default_configENS1_32segmented_reduce_config_selectorIN3c104HalfEEEZNS1_21segmented_reduce_implIS3_PKS6_PS6_PKlS6_N6hipcub16HIPCUB_304000_NS6detail27convert_result_type_wrapperISA_SB_N2at6native12_GLOBAL__N_19CustomSumEEEEE10hipError_tPvRmT0_T1_jT2_SS_T4_T3_P12ihipStream_tbEUlT_E_NS1_11comp_targetILNS1_3genE8ELNS1_11target_archE1030ELNS1_3gpuE2ELNS1_3repE0EEENS1_30default_config_static_selectorELNS0_4arch9wavefront6targetE0EEEvSR_ ; -- Begin function _ZN7rocprim17ROCPRIM_400000_NS6detail17trampoline_kernelINS0_14default_configENS1_32segmented_reduce_config_selectorIN3c104HalfEEEZNS1_21segmented_reduce_implIS3_PKS6_PS6_PKlS6_N6hipcub16HIPCUB_304000_NS6detail27convert_result_type_wrapperISA_SB_N2at6native12_GLOBAL__N_19CustomSumEEEEE10hipError_tPvRmT0_T1_jT2_SS_T4_T3_P12ihipStream_tbEUlT_E_NS1_11comp_targetILNS1_3genE8ELNS1_11target_archE1030ELNS1_3gpuE2ELNS1_3repE0EEENS1_30default_config_static_selectorELNS0_4arch9wavefront6targetE0EEEvSR_
	.p2align	8
	.type	_ZN7rocprim17ROCPRIM_400000_NS6detail17trampoline_kernelINS0_14default_configENS1_32segmented_reduce_config_selectorIN3c104HalfEEEZNS1_21segmented_reduce_implIS3_PKS6_PS6_PKlS6_N6hipcub16HIPCUB_304000_NS6detail27convert_result_type_wrapperISA_SB_N2at6native12_GLOBAL__N_19CustomSumEEEEE10hipError_tPvRmT0_T1_jT2_SS_T4_T3_P12ihipStream_tbEUlT_E_NS1_11comp_targetILNS1_3genE8ELNS1_11target_archE1030ELNS1_3gpuE2ELNS1_3repE0EEENS1_30default_config_static_selectorELNS0_4arch9wavefront6targetE0EEEvSR_,@function
_ZN7rocprim17ROCPRIM_400000_NS6detail17trampoline_kernelINS0_14default_configENS1_32segmented_reduce_config_selectorIN3c104HalfEEEZNS1_21segmented_reduce_implIS3_PKS6_PS6_PKlS6_N6hipcub16HIPCUB_304000_NS6detail27convert_result_type_wrapperISA_SB_N2at6native12_GLOBAL__N_19CustomSumEEEEE10hipError_tPvRmT0_T1_jT2_SS_T4_T3_P12ihipStream_tbEUlT_E_NS1_11comp_targetILNS1_3genE8ELNS1_11target_archE1030ELNS1_3gpuE2ELNS1_3repE0EEENS1_30default_config_static_selectorELNS0_4arch9wavefront6targetE0EEEvSR_: ; @_ZN7rocprim17ROCPRIM_400000_NS6detail17trampoline_kernelINS0_14default_configENS1_32segmented_reduce_config_selectorIN3c104HalfEEEZNS1_21segmented_reduce_implIS3_PKS6_PS6_PKlS6_N6hipcub16HIPCUB_304000_NS6detail27convert_result_type_wrapperISA_SB_N2at6native12_GLOBAL__N_19CustomSumEEEEE10hipError_tPvRmT0_T1_jT2_SS_T4_T3_P12ihipStream_tbEUlT_E_NS1_11comp_targetILNS1_3genE8ELNS1_11target_archE1030ELNS1_3gpuE2ELNS1_3repE0EEENS1_30default_config_static_selectorELNS0_4arch9wavefront6targetE0EEEvSR_
; %bb.0:
	s_clause 0x2
	s_load_dwordx8 s[12:19], s[4:5], 0x0
	s_load_dword s7, s[4:5], 0x28
	s_load_dwordx2 s[0:1], s[4:5], 0x20
	s_waitcnt lgkmcnt(0)
	s_lshl_b64 s[2:3], s[16:17], 1
	s_lshr_b32 s9, s7, 16
	s_add_u32 s20, s14, s2
	s_addc_u32 s21, s15, s3
	s_lshl_b64 s[2:3], s[16:17], 3
	s_mov_b32 s7, 0
	s_add_u32 s4, s18, s2
	s_addc_u32 s5, s19, s3
	s_add_u32 s8, s0, s2
	s_addc_u32 s10, s1, s3
	s_lshl_b64 s[0:1], s[6:7], 3
	s_add_u32 s2, s4, s0
	s_addc_u32 s3, s5, s1
	s_add_u32 s0, s8, s0
	s_addc_u32 s1, s10, s1
	s_load_dwordx2 s[14:15], s[2:3], 0x0
	s_load_dwordx2 s[10:11], s[0:1], 0x0
	s_mov_b32 s1, -1
	s_waitcnt lgkmcnt(0)
	v_cmp_gt_i64_e64 s0, s[10:11], s[14:15]
	s_and_b32 vcc_lo, exec_lo, s0
	v_cmp_eq_u32_e64 s0, 0, v0
	s_cbranch_vccnz .LBB228_4
; %bb.1:
	s_and_saveexec_b32 s1, s0
	s_cbranch_execz .LBB228_3
; %bb.2:
	s_lshl_b64 s[2:3], s[6:7], 1
	v_mov_b32_e32 v1, 0
	v_mov_b32_e32 v2, s9
	s_add_u32 s2, s20, s2
	s_addc_u32 s3, s21, s3
	global_store_short v1, v2, s[2:3]
.LBB228_3:
	s_or_b32 exec_lo, exec_lo, s1
	s_mov_b32 s1, 0
.LBB228_4:
	s_andn2_b32 vcc_lo, exec_lo, s1
	s_cbranch_vccnz .LBB228_53
; %bb.5:
	s_add_u32 s0, s14, 0x800
	s_addc_u32 s1, s15, 0
	v_cmp_le_i64_e64 s2, s[0:1], s[10:11]
	s_and_b32 vcc_lo, exec_lo, s2
	s_cbranch_vccz .LBB228_30
; %bb.6:
	s_lshl_b64 s[2:3], s[14:15], 1
	v_lshlrev_b32_e32 v12, 1, v0
	s_add_u32 s4, s12, s2
	s_addc_u32 s5, s13, s3
	s_clause 0x1
	global_load_ushort v3, v12, s[4:5]
	global_load_ushort v4, v12, s[4:5] offset:512
	v_add_co_u32 v1, s8, s4, v12
	v_add_co_ci_u32_e64 v2, null, s5, 0, s8
	global_load_ushort v5, v12, s[4:5] offset:1024
	v_add_co_u32 v1, vcc_lo, 0x800, v1
	v_add_co_ci_u32_e64 v2, null, 0, v2, vcc_lo
	s_clause 0x4
	global_load_ushort v6, v12, s[4:5] offset:1536
	global_load_ushort v7, v[1:2], off
	global_load_ushort v8, v[1:2], off offset:512
	global_load_ushort v9, v[1:2], off offset:1024
	;; [unrolled: 1-line block ×3, first 2 shown]
	s_add_u32 s4, s14, 0x1000
	s_addc_u32 s5, s15, 0
	v_cmp_ge_i64_e64 s4, s[4:5], s[10:11]
	s_and_b32 vcc_lo, exec_lo, s4
	s_waitcnt vmcnt(6)
	v_add_f16_e32 v1, v3, v4
	s_waitcnt vmcnt(5)
	v_add_f16_e32 v1, v1, v5
	;; [unrolled: 2-line block ×7, first 2 shown]
	s_cbranch_vccnz .LBB228_9
; %bb.7:
	s_add_u32 s2, s12, s2
	s_addc_u32 s3, s13, s3
	v_add_co_u32 v1, s2, s2, v12
	v_add_co_ci_u32_e64 v2, null, s3, 0, s2
	v_add_co_u32 v1, vcc_lo, 0x1000, v1
	v_add_co_ci_u32_e64 v2, null, 0, v2, vcc_lo
	s_inst_prefetch 0x1
	.p2align	6
.LBB228_8:                              ; =>This Inner Loop Header: Depth=1
	s_clause 0x2
	global_load_ushort v3, v[1:2], off
	global_load_ushort v4, v[1:2], off offset:512
	global_load_ushort v5, v[1:2], off offset:1024
	v_add_co_u32 v13, vcc_lo, 0x800, v1
	v_add_co_ci_u32_e64 v14, null, 0, v2, vcc_lo
	s_mov_b64 s[2:3], s[0:1]
	s_clause 0x4
	global_load_ushort v6, v[1:2], off offset:1536
	global_load_ushort v7, v[13:14], off
	global_load_ushort v8, v[13:14], off offset:512
	global_load_ushort v9, v[13:14], off offset:1024
	;; [unrolled: 1-line block ×3, first 2 shown]
	s_add_u32 s0, s2, 0x800
	s_addc_u32 s1, s3, 0
	s_add_u32 s2, s2, 0x1000
	s_addc_u32 s3, s3, 0
	v_add_co_u32 v1, vcc_lo, 0x1000, v1
	v_cmp_lt_i64_e64 s2, s[2:3], s[10:11]
	v_add_co_ci_u32_e64 v2, null, 0, v2, vcc_lo
	s_and_b32 vcc_lo, exec_lo, s2
	s_waitcnt vmcnt(7)
	v_add_f16_e32 v11, v11, v3
	s_waitcnt vmcnt(6)
	v_add_f16_e32 v11, v11, v4
	;; [unrolled: 2-line block ×8, first 2 shown]
	s_cbranch_vccnz .LBB228_8
.LBB228_9:
	s_inst_prefetch 0x2
	s_sub_i32 s8, s10, s0
	s_lshl_b64 s[0:1], s[0:1], 1
	v_cmp_gt_u32_e32 vcc_lo, s8, v0
	s_add_u32 s16, s12, s0
	s_addc_u32 s17, s13, s1
	s_and_saveexec_b32 s0, vcc_lo
	s_cbranch_execz .LBB228_11
; %bb.10:
	global_load_ushort v3, v12, s[16:17]
.LBB228_11:
	s_or_b32 exec_lo, exec_lo, s0
	v_or_b32_e32 v1, 0x100, v0
	v_cmp_gt_u32_e64 s0, s8, v1
	s_and_saveexec_b32 s1, s0
	s_cbranch_execz .LBB228_13
; %bb.12:
	global_load_ushort v4, v12, s[16:17] offset:512
.LBB228_13:
	s_or_b32 exec_lo, exec_lo, s1
	v_or_b32_e32 v1, 0x200, v0
	v_cmp_gt_u32_e64 s1, s8, v1
	s_and_saveexec_b32 s2, s1
	s_cbranch_execz .LBB228_15
; %bb.14:
	global_load_ushort v5, v12, s[16:17] offset:1024
.LBB228_15:
	;; [unrolled: 8-line block ×3, first 2 shown]
	s_or_b32 exec_lo, exec_lo, s3
	v_or_b32_e32 v1, 0x400, v0
	v_cmp_gt_u32_e64 s3, s8, v1
	s_and_saveexec_b32 s4, s3
	s_cbranch_execz .LBB228_19
; %bb.18:
	v_lshlrev_b32_e32 v1, 1, v1
	global_load_ushort v7, v1, s[16:17]
.LBB228_19:
	s_or_b32 exec_lo, exec_lo, s4
	v_or_b32_e32 v1, 0x500, v0
	v_cmp_gt_u32_e64 s4, s8, v1
	s_and_saveexec_b32 s5, s4
	s_cbranch_execz .LBB228_21
; %bb.20:
	v_lshlrev_b32_e32 v1, 1, v1
	global_load_ushort v8, v1, s[16:17]
.LBB228_21:
	;; [unrolled: 9-line block ×4, first 2 shown]
	s_or_b32 exec_lo, exec_lo, s18
	s_waitcnt vmcnt(0)
	v_add_f16_e32 v1, v11, v3
	v_cndmask_b32_e32 v1, v11, v1, vcc_lo
	v_add_f16_e32 v2, v1, v4
	v_cndmask_b32_e64 v1, v1, v2, s0
	s_mov_b32 s0, exec_lo
	v_add_f16_e32 v2, v1, v5
	v_cndmask_b32_e64 v1, v1, v2, s1
	v_add_f16_e32 v2, v1, v6
	v_cndmask_b32_e64 v1, v1, v2, s2
	;; [unrolled: 2-line block ×6, first 2 shown]
	v_and_b32_e32 v2, 0xffff, v1
	v_mov_b32_dpp v2, v2 quad_perm:[1,0,3,2] row_mask:0xf bank_mask:0xf
	v_add_f16_e32 v1, v1, v2
	v_and_b32_e32 v2, 0xffff, v1
	v_mov_b32_dpp v2, v2 quad_perm:[2,3,0,1] row_mask:0xf bank_mask:0xf
	v_add_f16_e32 v1, v1, v2
	v_and_b32_e32 v2, 0xffff, v1
	v_mov_b32_dpp v2, v2 row_ror:4 row_mask:0xf bank_mask:0xf
	v_add_f16_e32 v1, v1, v2
	v_and_b32_e32 v2, 0xffff, v1
	v_mov_b32_dpp v2, v2 row_ror:8 row_mask:0xf bank_mask:0xf
	v_add_f16_e32 v1, v1, v2
	v_and_b32_e32 v2, 0xffff, v1
	ds_swizzle_b32 v2, v2 offset:swizzle(BROADCAST,32,15)
	s_waitcnt lgkmcnt(0)
	v_add_f16_e32 v1, v1, v2
	v_mov_b32_e32 v2, 0
	v_and_b32_e32 v1, 0xffff, v1
	ds_bpermute_b32 v3, v2, v1 offset:124
	v_mbcnt_lo_u32_b32 v1, -1, 0
	v_cmpx_eq_u32_e32 0, v1
	s_cbranch_execz .LBB228_27
; %bb.26:
	v_lshrrev_b32_e32 v2, 4, v0
	v_and_b32_e32 v2, 14, v2
	s_waitcnt lgkmcnt(0)
	ds_write_b16 v2, v3
.LBB228_27:
	s_or_b32 exec_lo, exec_lo, s0
	s_mov_b32 s0, exec_lo
	s_waitcnt lgkmcnt(0)
	s_waitcnt_vscnt null, 0x0
	s_barrier
	buffer_gl0_inv
	v_cmpx_gt_u32_e32 32, v0
	s_cbranch_execz .LBB228_29
; %bb.28:
	v_and_b32_e32 v2, 7, v1
	v_lshlrev_b32_e32 v3, 1, v2
	v_cmp_ne_u32_e32 vcc_lo, 7, v2
	ds_read_u16 v3, v3
	v_add_co_ci_u32_e64 v4, null, 0, v1, vcc_lo
	v_cmp_gt_u32_e32 vcc_lo, 6, v2
	v_lshlrev_b32_e32 v4, 2, v4
	v_cndmask_b32_e64 v2, 0, 2, vcc_lo
	v_add_lshl_u32 v2, v2, v1, 2
	v_lshlrev_b32_e32 v1, 2, v1
	v_or_b32_e32 v1, 16, v1
	s_waitcnt lgkmcnt(0)
	v_and_b32_e32 v5, 0xffff, v3
	ds_bpermute_b32 v4, v4, v5
	s_waitcnt lgkmcnt(0)
	v_add_f16_e32 v3, v3, v4
	v_and_b32_e32 v4, 0xffff, v3
	ds_bpermute_b32 v2, v2, v4
	s_waitcnt lgkmcnt(0)
	v_add_f16_e32 v2, v3, v2
	;; [unrolled: 4-line block ×3, first 2 shown]
.LBB228_29:
	s_or_b32 exec_lo, exec_lo, s0
	s_branch .LBB228_51
.LBB228_30:
                                        ; implicit-def: $vgpr3
	s_cbranch_execz .LBB228_51
; %bb.31:
	s_sub_i32 s3, s10, s14
	s_mov_b32 s1, exec_lo
                                        ; implicit-def: $vgpr5
	v_cmpx_gt_u32_e64 s3, v0
	s_cbranch_execz .LBB228_37
; %bb.32:
	v_add_co_u32 v1, s0, s14, v0
	v_add_co_ci_u32_e64 v2, null, s15, 0, s0
	s_mov_b32 s2, exec_lo
	v_lshlrev_b64 v[3:4], 1, v[1:2]
	v_add_co_u32 v3, vcc_lo, s12, v3
	v_add_co_ci_u32_e64 v4, null, s13, v4, vcc_lo
	v_add_co_u32 v1, vcc_lo, 0x100, v1
	v_add_co_ci_u32_e64 v2, null, 0, v2, vcc_lo
	global_load_ushort v5, v[3:4], off
	v_cmpx_gt_i64_e64 s[10:11], v[1:2]
	s_cbranch_execz .LBB228_36
; %bb.33:
	v_add_co_u32 v3, vcc_lo, 0x200, v3
	v_add_co_ci_u32_e64 v4, null, 0, v4, vcc_lo
	s_mov_b32 s4, 0
	.p2align	6
.LBB228_34:                             ; =>This Inner Loop Header: Depth=1
	global_load_ushort v6, v[3:4], off
	v_add_co_u32 v1, vcc_lo, 0x100, v1
	v_add_co_ci_u32_e64 v2, null, 0, v2, vcc_lo
	v_add_co_u32 v3, s0, 0x200, v3
	v_add_co_ci_u32_e64 v4, null, 0, v4, s0
	v_cmp_le_i64_e32 vcc_lo, s[10:11], v[1:2]
	s_or_b32 s4, vcc_lo, s4
	s_waitcnt vmcnt(0)
	v_add_f16_e32 v5, v5, v6
	s_andn2_b32 exec_lo, exec_lo, s4
	s_cbranch_execnz .LBB228_34
; %bb.35:
	s_or_b32 exec_lo, exec_lo, s4
.LBB228_36:
	s_or_b32 exec_lo, exec_lo, s2
.LBB228_37:
	s_or_b32 exec_lo, exec_lo, s1
	v_mbcnt_lo_u32_b32 v1, -1, 0
	s_waitcnt vmcnt(0)
	v_and_b32_e32 v2, 0xffff, v5
	s_cmpk_lt_u32 s3, 0x100
	s_cbranch_scc0 .LBB228_45
; %bb.38:
	v_cmp_ne_u32_e32 vcc_lo, 31, v1
	v_and_b32_e32 v4, 0xe0, v0
	v_add_nc_u32_e32 v10, 2, v1
	v_add_co_ci_u32_e64 v3, null, 0, v1, vcc_lo
	v_cmp_gt_u32_e32 vcc_lo, 30, v1
	v_sub_nc_u32_e64 v7, s3, v4 clamp
	v_lshlrev_b32_e32 v3, 2, v3
	v_cndmask_b32_e64 v8, 0, 2, vcc_lo
	v_cmp_gt_u32_e32 vcc_lo, 28, v1
	v_cmp_lt_u32_e64 s0, v10, v7
	ds_bpermute_b32 v3, v3, v2
	v_add_lshl_u32 v8, v8, v1, 2
	s_waitcnt lgkmcnt(0)
	v_add_f16_e32 v6, v5, v3
	v_add_nc_u32_e32 v3, 1, v1
	v_and_b32_e32 v4, 0xffff, v6
	v_cmp_lt_u32_e64 s2, v3, v7
	v_cndmask_b32_e64 v3, v2, v4, s2
	v_cndmask_b32_e64 v9, v5, v6, s2
	ds_bpermute_b32 v4, v8, v3
	s_waitcnt lgkmcnt(0)
	v_add_f16_e32 v8, v9, v4
	v_cndmask_b32_e64 v4, 0, 4, vcc_lo
	v_cmp_gt_u32_e32 vcc_lo, 24, v1
	v_and_b32_e32 v11, 0xffff, v8
	v_add_lshl_u32 v4, v4, v1, 2
	v_cndmask_b32_e64 v10, v9, v8, s0
	v_cndmask_b32_e64 v3, v3, v11, s0
	v_add_nc_u32_e32 v11, 4, v1
	ds_bpermute_b32 v4, v4, v3
	v_cmp_lt_u32_e64 s1, v11, v7
	s_waitcnt lgkmcnt(0)
	v_add_f16_e32 v9, v10, v4
	v_cndmask_b32_e64 v4, 0, 8, vcc_lo
	v_and_b32_e32 v12, 0xffff, v9
	v_add_lshl_u32 v4, v4, v1, 2
	v_cndmask_b32_e64 v11, v10, v9, s1
	v_cndmask_b32_e64 v3, v3, v12, s1
	v_add_nc_u32_e32 v12, 8, v1
	ds_bpermute_b32 v4, v4, v3
	v_cmp_lt_u32_e32 vcc_lo, v12, v7
	s_waitcnt lgkmcnt(0)
	v_add_f16_e32 v10, v11, v4
	v_lshlrev_b32_e32 v4, 2, v1
	v_cndmask_b32_sdwa v3, v3, v10, vcc_lo dst_sel:DWORD dst_unused:UNUSED_PAD src0_sel:DWORD src1_sel:WORD_0
	v_or_b32_e32 v12, 64, v4
	ds_bpermute_b32 v12, v12, v3
	v_mov_b32_e32 v3, v5
	s_and_saveexec_b32 s4, s2
	s_cbranch_execz .LBB228_40
; %bb.39:
	v_cndmask_b32_e64 v3, v6, v8, s0
	v_cndmask_b32_e32 v6, v11, v10, vcc_lo
	v_add_nc_u32_e32 v8, 16, v1
	v_cndmask_b32_e64 v3, v3, v9, s1
	s_waitcnt lgkmcnt(0)
	v_add_f16_e32 v6, v6, v12
	v_cndmask_b32_e32 v3, v3, v10, vcc_lo
	v_cmp_lt_u32_e32 vcc_lo, v8, v7
	v_cndmask_b32_e32 v3, v3, v6, vcc_lo
.LBB228_40:
	s_or_b32 exec_lo, exec_lo, s4
	s_mov_b32 s0, exec_lo
	v_cmpx_eq_u32_e32 0, v1
; %bb.41:
	v_lshrrev_b32_e32 v6, 4, v0
	v_and_b32_e32 v6, 14, v6
	ds_write_b16 v6, v3
; %bb.42:
	s_or_b32 exec_lo, exec_lo, s0
	s_mov_b32 s1, exec_lo
	s_waitcnt lgkmcnt(0)
	s_waitcnt_vscnt null, 0x0
	s_barrier
	buffer_gl0_inv
	v_cmpx_gt_u32_e32 8, v0
	s_cbranch_execz .LBB228_44
; %bb.43:
	v_lshlrev_b32_e32 v3, 1, v1
	v_and_b32_e32 v6, 7, v1
	s_add_i32 s3, s3, 31
	v_or_b32_e32 v4, 16, v4
	s_lshr_b32 s2, s3, 5
	ds_read_u16 v3, v3
	v_cmp_ne_u32_e32 vcc_lo, 7, v6
	v_add_nc_u32_e32 v10, 1, v6
	v_add_co_ci_u32_e64 v7, null, 0, v1, vcc_lo
	v_cmp_gt_u32_e32 vcc_lo, 6, v6
	v_cmp_gt_u32_e64 s0, s2, v10
	v_lshlrev_b32_e32 v7, 2, v7
	v_cndmask_b32_e64 v9, 0, 2, vcc_lo
	v_add_lshl_u32 v9, v9, v1, 2
	s_waitcnt lgkmcnt(0)
	v_and_b32_e32 v8, 0xffff, v3
	ds_bpermute_b32 v7, v7, v8
	s_waitcnt lgkmcnt(0)
	v_add_f16_e32 v7, v3, v7
	v_and_b32_e32 v11, 0xffff, v7
	v_cndmask_b32_e64 v10, v3, v7, s0
	v_cndmask_b32_e64 v8, v8, v11, s0
	v_add_nc_u32_e32 v11, 2, v6
	v_add_nc_u32_e32 v6, 4, v6
	ds_bpermute_b32 v9, v9, v8
	v_cmp_gt_u32_e32 vcc_lo, s2, v11
	s_waitcnt lgkmcnt(0)
	v_add_f16_e32 v9, v10, v9
	v_cndmask_b32_sdwa v8, v8, v9, vcc_lo dst_sel:DWORD dst_unused:UNUSED_PAD src0_sel:DWORD src1_sel:WORD_0
	v_cndmask_b32_e32 v7, v7, v9, vcc_lo
	v_cmp_gt_u32_e32 vcc_lo, s2, v6
	ds_bpermute_b32 v4, v4, v8
	s_waitcnt lgkmcnt(0)
	v_add_f16_e32 v4, v7, v4
	v_cndmask_b32_e32 v4, v7, v4, vcc_lo
	v_cndmask_b32_e64 v3, v3, v4, s0
.LBB228_44:
	s_or_b32 exec_lo, exec_lo, s1
	s_branch .LBB228_51
.LBB228_45:
                                        ; implicit-def: $vgpr3
	s_cbranch_execz .LBB228_51
; %bb.46:
	v_mov_b32_dpp v2, v2 quad_perm:[1,0,3,2] row_mask:0xf bank_mask:0xf
	s_mov_b32 s0, exec_lo
	v_add_f16_e32 v2, v5, v2
	v_and_b32_e32 v3, 0xffff, v2
	v_mov_b32_dpp v3, v3 quad_perm:[2,3,0,1] row_mask:0xf bank_mask:0xf
	v_add_f16_e32 v2, v2, v3
	v_and_b32_e32 v3, 0xffff, v2
	v_mov_b32_dpp v3, v3 row_ror:4 row_mask:0xf bank_mask:0xf
	v_add_f16_e32 v2, v2, v3
	v_and_b32_e32 v3, 0xffff, v2
	v_mov_b32_dpp v3, v3 row_ror:8 row_mask:0xf bank_mask:0xf
	v_add_f16_e32 v2, v2, v3
	v_and_b32_e32 v3, 0xffff, v2
	ds_swizzle_b32 v3, v3 offset:swizzle(BROADCAST,32,15)
	s_waitcnt lgkmcnt(0)
	v_add_f16_e32 v2, v2, v3
	v_mov_b32_e32 v3, 0
	v_and_b32_e32 v2, 0xffff, v2
	ds_bpermute_b32 v3, v3, v2 offset:124
	v_cmpx_eq_u32_e32 0, v1
	s_cbranch_execz .LBB228_48
; %bb.47:
	v_lshrrev_b32_e32 v2, 4, v0
	v_and_b32_e32 v2, 14, v2
	s_waitcnt lgkmcnt(0)
	ds_write_b16 v2, v3
.LBB228_48:
	s_or_b32 exec_lo, exec_lo, s0
	s_mov_b32 s0, exec_lo
	s_waitcnt lgkmcnt(0)
	s_waitcnt_vscnt null, 0x0
	s_barrier
	buffer_gl0_inv
	v_cmpx_gt_u32_e32 32, v0
	s_cbranch_execz .LBB228_50
; %bb.49:
	v_and_b32_e32 v2, 7, v1
	v_lshlrev_b32_e32 v3, 1, v2
	v_cmp_ne_u32_e32 vcc_lo, 7, v2
	ds_read_u16 v3, v3
	v_add_co_ci_u32_e64 v4, null, 0, v1, vcc_lo
	v_cmp_gt_u32_e32 vcc_lo, 6, v2
	v_lshlrev_b32_e32 v4, 2, v4
	v_cndmask_b32_e64 v2, 0, 2, vcc_lo
	v_add_lshl_u32 v2, v2, v1, 2
	v_lshlrev_b32_e32 v1, 2, v1
	v_or_b32_e32 v1, 16, v1
	s_waitcnt lgkmcnt(0)
	v_and_b32_e32 v5, 0xffff, v3
	ds_bpermute_b32 v4, v4, v5
	s_waitcnt lgkmcnt(0)
	v_add_f16_e32 v3, v3, v4
	v_and_b32_e32 v4, 0xffff, v3
	ds_bpermute_b32 v2, v2, v4
	s_waitcnt lgkmcnt(0)
	v_add_f16_e32 v2, v3, v2
	v_and_b32_e32 v3, 0xffff, v2
	ds_bpermute_b32 v1, v1, v3
	s_waitcnt lgkmcnt(0)
	v_add_f16_e32 v3, v2, v1
.LBB228_50:
	s_or_b32 exec_lo, exec_lo, s0
.LBB228_51:
	s_mov_b32 s0, exec_lo
	v_cmpx_eq_u32_e32 0, v0
	s_cbranch_execz .LBB228_53
; %bb.52:
	s_lshl_b64 s[0:1], s[6:7], 1
	v_mov_b32_e32 v0, 0
	v_add_f16_e32 v1, s9, v3
	s_add_u32 s0, s20, s0
	s_addc_u32 s1, s21, s1
	global_store_short v0, v1, s[0:1]
.LBB228_53:
	s_endpgm
	.section	.rodata,"a",@progbits
	.p2align	6, 0x0
	.amdhsa_kernel _ZN7rocprim17ROCPRIM_400000_NS6detail17trampoline_kernelINS0_14default_configENS1_32segmented_reduce_config_selectorIN3c104HalfEEEZNS1_21segmented_reduce_implIS3_PKS6_PS6_PKlS6_N6hipcub16HIPCUB_304000_NS6detail27convert_result_type_wrapperISA_SB_N2at6native12_GLOBAL__N_19CustomSumEEEEE10hipError_tPvRmT0_T1_jT2_SS_T4_T3_P12ihipStream_tbEUlT_E_NS1_11comp_targetILNS1_3genE8ELNS1_11target_archE1030ELNS1_3gpuE2ELNS1_3repE0EEENS1_30default_config_static_selectorELNS0_4arch9wavefront6targetE0EEEvSR_
		.amdhsa_group_segment_fixed_size 16
		.amdhsa_private_segment_fixed_size 0
		.amdhsa_kernarg_size 48
		.amdhsa_user_sgpr_count 6
		.amdhsa_user_sgpr_private_segment_buffer 1
		.amdhsa_user_sgpr_dispatch_ptr 0
		.amdhsa_user_sgpr_queue_ptr 0
		.amdhsa_user_sgpr_kernarg_segment_ptr 1
		.amdhsa_user_sgpr_dispatch_id 0
		.amdhsa_user_sgpr_flat_scratch_init 0
		.amdhsa_user_sgpr_private_segment_size 0
		.amdhsa_wavefront_size32 1
		.amdhsa_uses_dynamic_stack 0
		.amdhsa_system_sgpr_private_segment_wavefront_offset 0
		.amdhsa_system_sgpr_workgroup_id_x 1
		.amdhsa_system_sgpr_workgroup_id_y 0
		.amdhsa_system_sgpr_workgroup_id_z 0
		.amdhsa_system_sgpr_workgroup_info 0
		.amdhsa_system_vgpr_workitem_id 0
		.amdhsa_next_free_vgpr 15
		.amdhsa_next_free_sgpr 22
		.amdhsa_reserve_vcc 1
		.amdhsa_reserve_flat_scratch 0
		.amdhsa_float_round_mode_32 0
		.amdhsa_float_round_mode_16_64 0
		.amdhsa_float_denorm_mode_32 3
		.amdhsa_float_denorm_mode_16_64 3
		.amdhsa_dx10_clamp 1
		.amdhsa_ieee_mode 1
		.amdhsa_fp16_overflow 0
		.amdhsa_workgroup_processor_mode 1
		.amdhsa_memory_ordered 1
		.amdhsa_forward_progress 1
		.amdhsa_shared_vgpr_count 0
		.amdhsa_exception_fp_ieee_invalid_op 0
		.amdhsa_exception_fp_denorm_src 0
		.amdhsa_exception_fp_ieee_div_zero 0
		.amdhsa_exception_fp_ieee_overflow 0
		.amdhsa_exception_fp_ieee_underflow 0
		.amdhsa_exception_fp_ieee_inexact 0
		.amdhsa_exception_int_div_zero 0
	.end_amdhsa_kernel
	.section	.text._ZN7rocprim17ROCPRIM_400000_NS6detail17trampoline_kernelINS0_14default_configENS1_32segmented_reduce_config_selectorIN3c104HalfEEEZNS1_21segmented_reduce_implIS3_PKS6_PS6_PKlS6_N6hipcub16HIPCUB_304000_NS6detail27convert_result_type_wrapperISA_SB_N2at6native12_GLOBAL__N_19CustomSumEEEEE10hipError_tPvRmT0_T1_jT2_SS_T4_T3_P12ihipStream_tbEUlT_E_NS1_11comp_targetILNS1_3genE8ELNS1_11target_archE1030ELNS1_3gpuE2ELNS1_3repE0EEENS1_30default_config_static_selectorELNS0_4arch9wavefront6targetE0EEEvSR_,"axG",@progbits,_ZN7rocprim17ROCPRIM_400000_NS6detail17trampoline_kernelINS0_14default_configENS1_32segmented_reduce_config_selectorIN3c104HalfEEEZNS1_21segmented_reduce_implIS3_PKS6_PS6_PKlS6_N6hipcub16HIPCUB_304000_NS6detail27convert_result_type_wrapperISA_SB_N2at6native12_GLOBAL__N_19CustomSumEEEEE10hipError_tPvRmT0_T1_jT2_SS_T4_T3_P12ihipStream_tbEUlT_E_NS1_11comp_targetILNS1_3genE8ELNS1_11target_archE1030ELNS1_3gpuE2ELNS1_3repE0EEENS1_30default_config_static_selectorELNS0_4arch9wavefront6targetE0EEEvSR_,comdat
.Lfunc_end228:
	.size	_ZN7rocprim17ROCPRIM_400000_NS6detail17trampoline_kernelINS0_14default_configENS1_32segmented_reduce_config_selectorIN3c104HalfEEEZNS1_21segmented_reduce_implIS3_PKS6_PS6_PKlS6_N6hipcub16HIPCUB_304000_NS6detail27convert_result_type_wrapperISA_SB_N2at6native12_GLOBAL__N_19CustomSumEEEEE10hipError_tPvRmT0_T1_jT2_SS_T4_T3_P12ihipStream_tbEUlT_E_NS1_11comp_targetILNS1_3genE8ELNS1_11target_archE1030ELNS1_3gpuE2ELNS1_3repE0EEENS1_30default_config_static_selectorELNS0_4arch9wavefront6targetE0EEEvSR_, .Lfunc_end228-_ZN7rocprim17ROCPRIM_400000_NS6detail17trampoline_kernelINS0_14default_configENS1_32segmented_reduce_config_selectorIN3c104HalfEEEZNS1_21segmented_reduce_implIS3_PKS6_PS6_PKlS6_N6hipcub16HIPCUB_304000_NS6detail27convert_result_type_wrapperISA_SB_N2at6native12_GLOBAL__N_19CustomSumEEEEE10hipError_tPvRmT0_T1_jT2_SS_T4_T3_P12ihipStream_tbEUlT_E_NS1_11comp_targetILNS1_3genE8ELNS1_11target_archE1030ELNS1_3gpuE2ELNS1_3repE0EEENS1_30default_config_static_selectorELNS0_4arch9wavefront6targetE0EEEvSR_
                                        ; -- End function
	.set _ZN7rocprim17ROCPRIM_400000_NS6detail17trampoline_kernelINS0_14default_configENS1_32segmented_reduce_config_selectorIN3c104HalfEEEZNS1_21segmented_reduce_implIS3_PKS6_PS6_PKlS6_N6hipcub16HIPCUB_304000_NS6detail27convert_result_type_wrapperISA_SB_N2at6native12_GLOBAL__N_19CustomSumEEEEE10hipError_tPvRmT0_T1_jT2_SS_T4_T3_P12ihipStream_tbEUlT_E_NS1_11comp_targetILNS1_3genE8ELNS1_11target_archE1030ELNS1_3gpuE2ELNS1_3repE0EEENS1_30default_config_static_selectorELNS0_4arch9wavefront6targetE0EEEvSR_.num_vgpr, 15
	.set _ZN7rocprim17ROCPRIM_400000_NS6detail17trampoline_kernelINS0_14default_configENS1_32segmented_reduce_config_selectorIN3c104HalfEEEZNS1_21segmented_reduce_implIS3_PKS6_PS6_PKlS6_N6hipcub16HIPCUB_304000_NS6detail27convert_result_type_wrapperISA_SB_N2at6native12_GLOBAL__N_19CustomSumEEEEE10hipError_tPvRmT0_T1_jT2_SS_T4_T3_P12ihipStream_tbEUlT_E_NS1_11comp_targetILNS1_3genE8ELNS1_11target_archE1030ELNS1_3gpuE2ELNS1_3repE0EEENS1_30default_config_static_selectorELNS0_4arch9wavefront6targetE0EEEvSR_.num_agpr, 0
	.set _ZN7rocprim17ROCPRIM_400000_NS6detail17trampoline_kernelINS0_14default_configENS1_32segmented_reduce_config_selectorIN3c104HalfEEEZNS1_21segmented_reduce_implIS3_PKS6_PS6_PKlS6_N6hipcub16HIPCUB_304000_NS6detail27convert_result_type_wrapperISA_SB_N2at6native12_GLOBAL__N_19CustomSumEEEEE10hipError_tPvRmT0_T1_jT2_SS_T4_T3_P12ihipStream_tbEUlT_E_NS1_11comp_targetILNS1_3genE8ELNS1_11target_archE1030ELNS1_3gpuE2ELNS1_3repE0EEENS1_30default_config_static_selectorELNS0_4arch9wavefront6targetE0EEEvSR_.numbered_sgpr, 22
	.set _ZN7rocprim17ROCPRIM_400000_NS6detail17trampoline_kernelINS0_14default_configENS1_32segmented_reduce_config_selectorIN3c104HalfEEEZNS1_21segmented_reduce_implIS3_PKS6_PS6_PKlS6_N6hipcub16HIPCUB_304000_NS6detail27convert_result_type_wrapperISA_SB_N2at6native12_GLOBAL__N_19CustomSumEEEEE10hipError_tPvRmT0_T1_jT2_SS_T4_T3_P12ihipStream_tbEUlT_E_NS1_11comp_targetILNS1_3genE8ELNS1_11target_archE1030ELNS1_3gpuE2ELNS1_3repE0EEENS1_30default_config_static_selectorELNS0_4arch9wavefront6targetE0EEEvSR_.num_named_barrier, 0
	.set _ZN7rocprim17ROCPRIM_400000_NS6detail17trampoline_kernelINS0_14default_configENS1_32segmented_reduce_config_selectorIN3c104HalfEEEZNS1_21segmented_reduce_implIS3_PKS6_PS6_PKlS6_N6hipcub16HIPCUB_304000_NS6detail27convert_result_type_wrapperISA_SB_N2at6native12_GLOBAL__N_19CustomSumEEEEE10hipError_tPvRmT0_T1_jT2_SS_T4_T3_P12ihipStream_tbEUlT_E_NS1_11comp_targetILNS1_3genE8ELNS1_11target_archE1030ELNS1_3gpuE2ELNS1_3repE0EEENS1_30default_config_static_selectorELNS0_4arch9wavefront6targetE0EEEvSR_.private_seg_size, 0
	.set _ZN7rocprim17ROCPRIM_400000_NS6detail17trampoline_kernelINS0_14default_configENS1_32segmented_reduce_config_selectorIN3c104HalfEEEZNS1_21segmented_reduce_implIS3_PKS6_PS6_PKlS6_N6hipcub16HIPCUB_304000_NS6detail27convert_result_type_wrapperISA_SB_N2at6native12_GLOBAL__N_19CustomSumEEEEE10hipError_tPvRmT0_T1_jT2_SS_T4_T3_P12ihipStream_tbEUlT_E_NS1_11comp_targetILNS1_3genE8ELNS1_11target_archE1030ELNS1_3gpuE2ELNS1_3repE0EEENS1_30default_config_static_selectorELNS0_4arch9wavefront6targetE0EEEvSR_.uses_vcc, 1
	.set _ZN7rocprim17ROCPRIM_400000_NS6detail17trampoline_kernelINS0_14default_configENS1_32segmented_reduce_config_selectorIN3c104HalfEEEZNS1_21segmented_reduce_implIS3_PKS6_PS6_PKlS6_N6hipcub16HIPCUB_304000_NS6detail27convert_result_type_wrapperISA_SB_N2at6native12_GLOBAL__N_19CustomSumEEEEE10hipError_tPvRmT0_T1_jT2_SS_T4_T3_P12ihipStream_tbEUlT_E_NS1_11comp_targetILNS1_3genE8ELNS1_11target_archE1030ELNS1_3gpuE2ELNS1_3repE0EEENS1_30default_config_static_selectorELNS0_4arch9wavefront6targetE0EEEvSR_.uses_flat_scratch, 0
	.set _ZN7rocprim17ROCPRIM_400000_NS6detail17trampoline_kernelINS0_14default_configENS1_32segmented_reduce_config_selectorIN3c104HalfEEEZNS1_21segmented_reduce_implIS3_PKS6_PS6_PKlS6_N6hipcub16HIPCUB_304000_NS6detail27convert_result_type_wrapperISA_SB_N2at6native12_GLOBAL__N_19CustomSumEEEEE10hipError_tPvRmT0_T1_jT2_SS_T4_T3_P12ihipStream_tbEUlT_E_NS1_11comp_targetILNS1_3genE8ELNS1_11target_archE1030ELNS1_3gpuE2ELNS1_3repE0EEENS1_30default_config_static_selectorELNS0_4arch9wavefront6targetE0EEEvSR_.has_dyn_sized_stack, 0
	.set _ZN7rocprim17ROCPRIM_400000_NS6detail17trampoline_kernelINS0_14default_configENS1_32segmented_reduce_config_selectorIN3c104HalfEEEZNS1_21segmented_reduce_implIS3_PKS6_PS6_PKlS6_N6hipcub16HIPCUB_304000_NS6detail27convert_result_type_wrapperISA_SB_N2at6native12_GLOBAL__N_19CustomSumEEEEE10hipError_tPvRmT0_T1_jT2_SS_T4_T3_P12ihipStream_tbEUlT_E_NS1_11comp_targetILNS1_3genE8ELNS1_11target_archE1030ELNS1_3gpuE2ELNS1_3repE0EEENS1_30default_config_static_selectorELNS0_4arch9wavefront6targetE0EEEvSR_.has_recursion, 0
	.set _ZN7rocprim17ROCPRIM_400000_NS6detail17trampoline_kernelINS0_14default_configENS1_32segmented_reduce_config_selectorIN3c104HalfEEEZNS1_21segmented_reduce_implIS3_PKS6_PS6_PKlS6_N6hipcub16HIPCUB_304000_NS6detail27convert_result_type_wrapperISA_SB_N2at6native12_GLOBAL__N_19CustomSumEEEEE10hipError_tPvRmT0_T1_jT2_SS_T4_T3_P12ihipStream_tbEUlT_E_NS1_11comp_targetILNS1_3genE8ELNS1_11target_archE1030ELNS1_3gpuE2ELNS1_3repE0EEENS1_30default_config_static_selectorELNS0_4arch9wavefront6targetE0EEEvSR_.has_indirect_call, 0
	.section	.AMDGPU.csdata,"",@progbits
; Kernel info:
; codeLenInByte = 2772
; TotalNumSgprs: 24
; NumVgprs: 15
; ScratchSize: 0
; MemoryBound: 0
; FloatMode: 240
; IeeeMode: 1
; LDSByteSize: 16 bytes/workgroup (compile time only)
; SGPRBlocks: 0
; VGPRBlocks: 1
; NumSGPRsForWavesPerEU: 24
; NumVGPRsForWavesPerEU: 15
; Occupancy: 16
; WaveLimiterHint : 1
; COMPUTE_PGM_RSRC2:SCRATCH_EN: 0
; COMPUTE_PGM_RSRC2:USER_SGPR: 6
; COMPUTE_PGM_RSRC2:TRAP_HANDLER: 0
; COMPUTE_PGM_RSRC2:TGID_X_EN: 1
; COMPUTE_PGM_RSRC2:TGID_Y_EN: 0
; COMPUTE_PGM_RSRC2:TGID_Z_EN: 0
; COMPUTE_PGM_RSRC2:TIDIG_COMP_CNT: 0
	.section	.text._ZN2at6native12_GLOBAL__N_119post_sum_div_kernelIN3c104HalfElEEvPT_PKT0_lbS5_,"axG",@progbits,_ZN2at6native12_GLOBAL__N_119post_sum_div_kernelIN3c104HalfElEEvPT_PKT0_lbS5_,comdat
	.globl	_ZN2at6native12_GLOBAL__N_119post_sum_div_kernelIN3c104HalfElEEvPT_PKT0_lbS5_ ; -- Begin function _ZN2at6native12_GLOBAL__N_119post_sum_div_kernelIN3c104HalfElEEvPT_PKT0_lbS5_
	.p2align	8
	.type	_ZN2at6native12_GLOBAL__N_119post_sum_div_kernelIN3c104HalfElEEvPT_PKT0_lbS5_,@function
_ZN2at6native12_GLOBAL__N_119post_sum_div_kernelIN3c104HalfElEEvPT_PKT0_lbS5_: ; @_ZN2at6native12_GLOBAL__N_119post_sum_div_kernelIN3c104HalfElEEvPT_PKT0_lbS5_
; %bb.0:
	s_clause 0x1
	s_load_dword s7, s[4:5], 0x2c
	s_load_dwordx2 s[2:3], s[4:5], 0x10
	v_mov_b32_e32 v1, 0
	s_add_u32 s0, s4, 32
	s_addc_u32 s1, s5, 0
	s_waitcnt lgkmcnt(0)
	s_and_b32 s8, s7, 0xffff
	v_mad_u64_u32 v[2:3], null, s8, s6, v[0:1]
	s_mov_b32 s6, exec_lo
	v_cmpx_gt_i64_e64 s[2:3], v[2:3]
	s_cbranch_execz .LBB229_15
; %bb.1:
	s_load_dword s9, s[4:5], 0x18
	s_load_dword s0, s[0:1], 0x0
	s_load_dwordx4 s[4:7], s[4:5], 0x0
	v_mov_b32_e32 v0, v1
	v_mov_b32_e32 v1, v2
	;; [unrolled: 1-line block ×3, first 2 shown]
	s_mov_b32 s1, 0
                                        ; implicit-def: $sgpr11
                                        ; implicit-def: $sgpr14
                                        ; implicit-def: $sgpr13
	s_waitcnt lgkmcnt(0)
	s_bitcmp1_b32 s9, 0
	s_mul_i32 s8, s0, s8
	s_cselect_b32 s0, -1, 0
	s_lshr_b32 s9, s9, 16
	s_xor_b32 s10, s0, -1
	s_mov_b32 s12, s8
.LBB229_2:                              ; =>This Inner Loop Header: Depth=1
	v_ashrrev_i64 v[4:5], 29, v[0:1]
	s_or_b32 s13, s13, exec_lo
	s_or_b32 s14, s14, exec_lo
	s_mov_b32 s15, exec_lo
	v_add_co_u32 v4, vcc_lo, s6, v4
	v_add_co_ci_u32_e64 v5, null, s7, v5, vcc_lo
	global_load_dwordx2 v[6:7], v[4:5], off
	s_waitcnt vmcnt(0)
	v_cmpx_lt_i64_e32 -1, v[6:7]
	s_cbranch_execz .LBB229_13
; %bb.3:                                ;   in Loop: Header=BB229_2 Depth=1
	v_ashrrev_i32_e32 v5, 31, v1
	v_mov_b32_e32 v4, v1
	v_lshlrev_b64 v[4:5], 1, v[4:5]
	v_add_co_u32 v4, s0, s4, v4
	v_add_co_ci_u32_e64 v5, null, s5, v5, s0
	s_mov_b32 s0, exec_lo
	v_cmpx_ne_u64_e32 0, v[6:7]
	s_xor_b32 s0, exec_lo, s0
	s_cbranch_execz .LBB229_7
; %bb.4:                                ;   in Loop: Header=BB229_2 Depth=1
	global_load_ushort v9, v[4:5], off
	s_mov_b32 s16, exec_lo
	s_waitcnt vmcnt(0)
	v_cmpx_o_f16_e32 v9, v9
	s_cbranch_execz .LBB229_6
; %bb.5:                                ;   in Loop: Header=BB229_2 Depth=1
	v_ffbh_u32_e32 v10, v7
	v_min_u32_e32 v10, 32, v10
	v_lshlrev_b64 v[6:7], v10, v[6:7]
	v_min_u32_e32 v6, 1, v6
	v_or_b32_e32 v6, v7, v6
	v_sub_nc_u32_e32 v7, 32, v10
	v_cvt_f32_f16_e32 v10, v9
	v_cvt_f32_u32_e32 v6, v6
	v_ldexp_f32 v6, v6, v7
	v_cvt_f16_f32_e32 v6, v6
	v_cvt_f32_f16_e32 v7, v6
	v_rcp_f32_e32 v7, v7
	v_mul_f32_e32 v10, v10, v7
	v_fma_mix_f32 v11, -v6, v10, v9 op_sel_hi:[1,0,1]
	v_fmac_f32_e32 v10, v11, v7
	v_fma_mix_f32 v11, -v6, v10, v9 op_sel_hi:[1,0,1]
	v_mul_f32_e32 v7, v11, v7
	v_and_b32_e32 v7, 0xff800000, v7
	v_add_f32_e32 v7, v7, v10
	v_cvt_f16_f32_e32 v7, v7
	v_div_fixup_f16 v6, v7, v6, v9
	global_store_short v[4:5], v6, off
.LBB229_6:                              ;   in Loop: Header=BB229_2 Depth=1
	s_or_b32 exec_lo, exec_lo, s16
                                        ; implicit-def: $vgpr4_vgpr5
.LBB229_7:                              ;   in Loop: Header=BB229_2 Depth=1
	s_andn2_saveexec_b32 s0, s0
	s_cbranch_execz .LBB229_12
; %bb.8:                                ;   in Loop: Header=BB229_2 Depth=1
	s_and_b32 vcc_lo, exec_lo, s10
	s_mov_b32 s16, -1
	s_cbranch_vccz .LBB229_10
; %bb.9:                                ;   in Loop: Header=BB229_2 Depth=1
	s_mov_b32 s16, 0
	global_store_short v[4:5], v8, off
.LBB229_10:                             ;   in Loop: Header=BB229_2 Depth=1
	s_andn2_b32 vcc_lo, exec_lo, s16
	s_cbranch_vccnz .LBB229_12
; %bb.11:                               ;   in Loop: Header=BB229_2 Depth=1
	v_mov_b32_e32 v6, s9
	global_store_short v[4:5], v6, off
.LBB229_12:                             ;   in Loop: Header=BB229_2 Depth=1
	s_or_b32 exec_lo, exec_lo, s0
	v_add_co_u32 v2, vcc_lo, v2, s8
	v_add_co_ci_u32_e64 v3, null, 0, v3, vcc_lo
	v_add_co_u32 v0, s0, v0, 0
	v_add_co_ci_u32_e64 v1, null, s12, v1, s0
	v_cmp_le_i64_e32 vcc_lo, s[2:3], v[2:3]
	s_andn2_b32 s0, s14, exec_lo
	s_andn2_b32 s13, s13, exec_lo
	s_and_b32 s14, vcc_lo, exec_lo
	s_or_b32 s14, s0, s14
.LBB229_13:                             ;   in Loop: Header=BB229_2 Depth=1
	s_or_b32 exec_lo, exec_lo, s15
	s_and_b32 s0, exec_lo, s14
	s_or_b32 s1, s0, s1
	s_andn2_b32 s0, s11, exec_lo
	s_and_b32 s11, s13, exec_lo
	s_or_b32 s11, s0, s11
	s_andn2_b32 exec_lo, exec_lo, s1
	s_cbranch_execnz .LBB229_2
; %bb.14:
	s_or_b32 exec_lo, exec_lo, s1
	s_and_saveexec_b32 s0, s11
	s_xor_b32 s0, exec_lo, s0
	s_cbranch_execnz .LBB229_16
.LBB229_15:
	s_endpgm
.LBB229_16:
	s_trap 2
	; divergent unreachable
	s_endpgm
	.section	.rodata,"a",@progbits
	.p2align	6, 0x0
	.amdhsa_kernel _ZN2at6native12_GLOBAL__N_119post_sum_div_kernelIN3c104HalfElEEvPT_PKT0_lbS5_
		.amdhsa_group_segment_fixed_size 0
		.amdhsa_private_segment_fixed_size 0
		.amdhsa_kernarg_size 288
		.amdhsa_user_sgpr_count 6
		.amdhsa_user_sgpr_private_segment_buffer 1
		.amdhsa_user_sgpr_dispatch_ptr 0
		.amdhsa_user_sgpr_queue_ptr 0
		.amdhsa_user_sgpr_kernarg_segment_ptr 1
		.amdhsa_user_sgpr_dispatch_id 0
		.amdhsa_user_sgpr_flat_scratch_init 0
		.amdhsa_user_sgpr_private_segment_size 0
		.amdhsa_wavefront_size32 1
		.amdhsa_uses_dynamic_stack 0
		.amdhsa_system_sgpr_private_segment_wavefront_offset 0
		.amdhsa_system_sgpr_workgroup_id_x 1
		.amdhsa_system_sgpr_workgroup_id_y 0
		.amdhsa_system_sgpr_workgroup_id_z 0
		.amdhsa_system_sgpr_workgroup_info 0
		.amdhsa_system_vgpr_workitem_id 0
		.amdhsa_next_free_vgpr 12
		.amdhsa_next_free_sgpr 17
		.amdhsa_reserve_vcc 1
		.amdhsa_reserve_flat_scratch 0
		.amdhsa_float_round_mode_32 0
		.amdhsa_float_round_mode_16_64 0
		.amdhsa_float_denorm_mode_32 3
		.amdhsa_float_denorm_mode_16_64 3
		.amdhsa_dx10_clamp 1
		.amdhsa_ieee_mode 1
		.amdhsa_fp16_overflow 0
		.amdhsa_workgroup_processor_mode 1
		.amdhsa_memory_ordered 1
		.amdhsa_forward_progress 1
		.amdhsa_shared_vgpr_count 0
		.amdhsa_exception_fp_ieee_invalid_op 0
		.amdhsa_exception_fp_denorm_src 0
		.amdhsa_exception_fp_ieee_div_zero 0
		.amdhsa_exception_fp_ieee_overflow 0
		.amdhsa_exception_fp_ieee_underflow 0
		.amdhsa_exception_fp_ieee_inexact 0
		.amdhsa_exception_int_div_zero 0
	.end_amdhsa_kernel
	.section	.text._ZN2at6native12_GLOBAL__N_119post_sum_div_kernelIN3c104HalfElEEvPT_PKT0_lbS5_,"axG",@progbits,_ZN2at6native12_GLOBAL__N_119post_sum_div_kernelIN3c104HalfElEEvPT_PKT0_lbS5_,comdat
.Lfunc_end229:
	.size	_ZN2at6native12_GLOBAL__N_119post_sum_div_kernelIN3c104HalfElEEvPT_PKT0_lbS5_, .Lfunc_end229-_ZN2at6native12_GLOBAL__N_119post_sum_div_kernelIN3c104HalfElEEvPT_PKT0_lbS5_
                                        ; -- End function
	.set _ZN2at6native12_GLOBAL__N_119post_sum_div_kernelIN3c104HalfElEEvPT_PKT0_lbS5_.num_vgpr, 12
	.set _ZN2at6native12_GLOBAL__N_119post_sum_div_kernelIN3c104HalfElEEvPT_PKT0_lbS5_.num_agpr, 0
	.set _ZN2at6native12_GLOBAL__N_119post_sum_div_kernelIN3c104HalfElEEvPT_PKT0_lbS5_.numbered_sgpr, 17
	.set _ZN2at6native12_GLOBAL__N_119post_sum_div_kernelIN3c104HalfElEEvPT_PKT0_lbS5_.num_named_barrier, 0
	.set _ZN2at6native12_GLOBAL__N_119post_sum_div_kernelIN3c104HalfElEEvPT_PKT0_lbS5_.private_seg_size, 0
	.set _ZN2at6native12_GLOBAL__N_119post_sum_div_kernelIN3c104HalfElEEvPT_PKT0_lbS5_.uses_vcc, 1
	.set _ZN2at6native12_GLOBAL__N_119post_sum_div_kernelIN3c104HalfElEEvPT_PKT0_lbS5_.uses_flat_scratch, 0
	.set _ZN2at6native12_GLOBAL__N_119post_sum_div_kernelIN3c104HalfElEEvPT_PKT0_lbS5_.has_dyn_sized_stack, 0
	.set _ZN2at6native12_GLOBAL__N_119post_sum_div_kernelIN3c104HalfElEEvPT_PKT0_lbS5_.has_recursion, 0
	.set _ZN2at6native12_GLOBAL__N_119post_sum_div_kernelIN3c104HalfElEEvPT_PKT0_lbS5_.has_indirect_call, 0
	.section	.AMDGPU.csdata,"",@progbits
; Kernel info:
; codeLenInByte = 556
; TotalNumSgprs: 19
; NumVgprs: 12
; ScratchSize: 0
; MemoryBound: 0
; FloatMode: 240
; IeeeMode: 1
; LDSByteSize: 0 bytes/workgroup (compile time only)
; SGPRBlocks: 0
; VGPRBlocks: 1
; NumSGPRsForWavesPerEU: 19
; NumVGPRsForWavesPerEU: 12
; Occupancy: 16
; WaveLimiterHint : 0
; COMPUTE_PGM_RSRC2:SCRATCH_EN: 0
; COMPUTE_PGM_RSRC2:USER_SGPR: 6
; COMPUTE_PGM_RSRC2:TRAP_HANDLER: 0
; COMPUTE_PGM_RSRC2:TGID_X_EN: 1
; COMPUTE_PGM_RSRC2:TGID_Y_EN: 0
; COMPUTE_PGM_RSRC2:TGID_Z_EN: 0
; COMPUTE_PGM_RSRC2:TIDIG_COMP_CNT: 0
	.section	.text._ZN7rocprim17ROCPRIM_400000_NS6detail17trampoline_kernelINS0_14default_configENS1_32segmented_reduce_config_selectorIN3c104HalfEEEZNS1_21segmented_reduce_implIS3_PKS6_PS6_PKlS6_N6hipcub16HIPCUB_304000_NS6detail27convert_result_type_wrapperISA_SB_N2at6native12_GLOBAL__N_19CustomMinEEEEE10hipError_tPvRmT0_T1_jT2_SS_T4_T3_P12ihipStream_tbEUlT_E_NS1_11comp_targetILNS1_3genE0ELNS1_11target_archE4294967295ELNS1_3gpuE0ELNS1_3repE0EEENS1_30default_config_static_selectorELNS0_4arch9wavefront6targetE0EEEvSR_,"axG",@progbits,_ZN7rocprim17ROCPRIM_400000_NS6detail17trampoline_kernelINS0_14default_configENS1_32segmented_reduce_config_selectorIN3c104HalfEEEZNS1_21segmented_reduce_implIS3_PKS6_PS6_PKlS6_N6hipcub16HIPCUB_304000_NS6detail27convert_result_type_wrapperISA_SB_N2at6native12_GLOBAL__N_19CustomMinEEEEE10hipError_tPvRmT0_T1_jT2_SS_T4_T3_P12ihipStream_tbEUlT_E_NS1_11comp_targetILNS1_3genE0ELNS1_11target_archE4294967295ELNS1_3gpuE0ELNS1_3repE0EEENS1_30default_config_static_selectorELNS0_4arch9wavefront6targetE0EEEvSR_,comdat
	.globl	_ZN7rocprim17ROCPRIM_400000_NS6detail17trampoline_kernelINS0_14default_configENS1_32segmented_reduce_config_selectorIN3c104HalfEEEZNS1_21segmented_reduce_implIS3_PKS6_PS6_PKlS6_N6hipcub16HIPCUB_304000_NS6detail27convert_result_type_wrapperISA_SB_N2at6native12_GLOBAL__N_19CustomMinEEEEE10hipError_tPvRmT0_T1_jT2_SS_T4_T3_P12ihipStream_tbEUlT_E_NS1_11comp_targetILNS1_3genE0ELNS1_11target_archE4294967295ELNS1_3gpuE0ELNS1_3repE0EEENS1_30default_config_static_selectorELNS0_4arch9wavefront6targetE0EEEvSR_ ; -- Begin function _ZN7rocprim17ROCPRIM_400000_NS6detail17trampoline_kernelINS0_14default_configENS1_32segmented_reduce_config_selectorIN3c104HalfEEEZNS1_21segmented_reduce_implIS3_PKS6_PS6_PKlS6_N6hipcub16HIPCUB_304000_NS6detail27convert_result_type_wrapperISA_SB_N2at6native12_GLOBAL__N_19CustomMinEEEEE10hipError_tPvRmT0_T1_jT2_SS_T4_T3_P12ihipStream_tbEUlT_E_NS1_11comp_targetILNS1_3genE0ELNS1_11target_archE4294967295ELNS1_3gpuE0ELNS1_3repE0EEENS1_30default_config_static_selectorELNS0_4arch9wavefront6targetE0EEEvSR_
	.p2align	8
	.type	_ZN7rocprim17ROCPRIM_400000_NS6detail17trampoline_kernelINS0_14default_configENS1_32segmented_reduce_config_selectorIN3c104HalfEEEZNS1_21segmented_reduce_implIS3_PKS6_PS6_PKlS6_N6hipcub16HIPCUB_304000_NS6detail27convert_result_type_wrapperISA_SB_N2at6native12_GLOBAL__N_19CustomMinEEEEE10hipError_tPvRmT0_T1_jT2_SS_T4_T3_P12ihipStream_tbEUlT_E_NS1_11comp_targetILNS1_3genE0ELNS1_11target_archE4294967295ELNS1_3gpuE0ELNS1_3repE0EEENS1_30default_config_static_selectorELNS0_4arch9wavefront6targetE0EEEvSR_,@function
_ZN7rocprim17ROCPRIM_400000_NS6detail17trampoline_kernelINS0_14default_configENS1_32segmented_reduce_config_selectorIN3c104HalfEEEZNS1_21segmented_reduce_implIS3_PKS6_PS6_PKlS6_N6hipcub16HIPCUB_304000_NS6detail27convert_result_type_wrapperISA_SB_N2at6native12_GLOBAL__N_19CustomMinEEEEE10hipError_tPvRmT0_T1_jT2_SS_T4_T3_P12ihipStream_tbEUlT_E_NS1_11comp_targetILNS1_3genE0ELNS1_11target_archE4294967295ELNS1_3gpuE0ELNS1_3repE0EEENS1_30default_config_static_selectorELNS0_4arch9wavefront6targetE0EEEvSR_: ; @_ZN7rocprim17ROCPRIM_400000_NS6detail17trampoline_kernelINS0_14default_configENS1_32segmented_reduce_config_selectorIN3c104HalfEEEZNS1_21segmented_reduce_implIS3_PKS6_PS6_PKlS6_N6hipcub16HIPCUB_304000_NS6detail27convert_result_type_wrapperISA_SB_N2at6native12_GLOBAL__N_19CustomMinEEEEE10hipError_tPvRmT0_T1_jT2_SS_T4_T3_P12ihipStream_tbEUlT_E_NS1_11comp_targetILNS1_3genE0ELNS1_11target_archE4294967295ELNS1_3gpuE0ELNS1_3repE0EEENS1_30default_config_static_selectorELNS0_4arch9wavefront6targetE0EEEvSR_
; %bb.0:
	.section	.rodata,"a",@progbits
	.p2align	6, 0x0
	.amdhsa_kernel _ZN7rocprim17ROCPRIM_400000_NS6detail17trampoline_kernelINS0_14default_configENS1_32segmented_reduce_config_selectorIN3c104HalfEEEZNS1_21segmented_reduce_implIS3_PKS6_PS6_PKlS6_N6hipcub16HIPCUB_304000_NS6detail27convert_result_type_wrapperISA_SB_N2at6native12_GLOBAL__N_19CustomMinEEEEE10hipError_tPvRmT0_T1_jT2_SS_T4_T3_P12ihipStream_tbEUlT_E_NS1_11comp_targetILNS1_3genE0ELNS1_11target_archE4294967295ELNS1_3gpuE0ELNS1_3repE0EEENS1_30default_config_static_selectorELNS0_4arch9wavefront6targetE0EEEvSR_
		.amdhsa_group_segment_fixed_size 0
		.amdhsa_private_segment_fixed_size 0
		.amdhsa_kernarg_size 48
		.amdhsa_user_sgpr_count 6
		.amdhsa_user_sgpr_private_segment_buffer 1
		.amdhsa_user_sgpr_dispatch_ptr 0
		.amdhsa_user_sgpr_queue_ptr 0
		.amdhsa_user_sgpr_kernarg_segment_ptr 1
		.amdhsa_user_sgpr_dispatch_id 0
		.amdhsa_user_sgpr_flat_scratch_init 0
		.amdhsa_user_sgpr_private_segment_size 0
		.amdhsa_wavefront_size32 1
		.amdhsa_uses_dynamic_stack 0
		.amdhsa_system_sgpr_private_segment_wavefront_offset 0
		.amdhsa_system_sgpr_workgroup_id_x 1
		.amdhsa_system_sgpr_workgroup_id_y 0
		.amdhsa_system_sgpr_workgroup_id_z 0
		.amdhsa_system_sgpr_workgroup_info 0
		.amdhsa_system_vgpr_workitem_id 0
		.amdhsa_next_free_vgpr 1
		.amdhsa_next_free_sgpr 1
		.amdhsa_reserve_vcc 0
		.amdhsa_reserve_flat_scratch 0
		.amdhsa_float_round_mode_32 0
		.amdhsa_float_round_mode_16_64 0
		.amdhsa_float_denorm_mode_32 3
		.amdhsa_float_denorm_mode_16_64 3
		.amdhsa_dx10_clamp 1
		.amdhsa_ieee_mode 1
		.amdhsa_fp16_overflow 0
		.amdhsa_workgroup_processor_mode 1
		.amdhsa_memory_ordered 1
		.amdhsa_forward_progress 1
		.amdhsa_shared_vgpr_count 0
		.amdhsa_exception_fp_ieee_invalid_op 0
		.amdhsa_exception_fp_denorm_src 0
		.amdhsa_exception_fp_ieee_div_zero 0
		.amdhsa_exception_fp_ieee_overflow 0
		.amdhsa_exception_fp_ieee_underflow 0
		.amdhsa_exception_fp_ieee_inexact 0
		.amdhsa_exception_int_div_zero 0
	.end_amdhsa_kernel
	.section	.text._ZN7rocprim17ROCPRIM_400000_NS6detail17trampoline_kernelINS0_14default_configENS1_32segmented_reduce_config_selectorIN3c104HalfEEEZNS1_21segmented_reduce_implIS3_PKS6_PS6_PKlS6_N6hipcub16HIPCUB_304000_NS6detail27convert_result_type_wrapperISA_SB_N2at6native12_GLOBAL__N_19CustomMinEEEEE10hipError_tPvRmT0_T1_jT2_SS_T4_T3_P12ihipStream_tbEUlT_E_NS1_11comp_targetILNS1_3genE0ELNS1_11target_archE4294967295ELNS1_3gpuE0ELNS1_3repE0EEENS1_30default_config_static_selectorELNS0_4arch9wavefront6targetE0EEEvSR_,"axG",@progbits,_ZN7rocprim17ROCPRIM_400000_NS6detail17trampoline_kernelINS0_14default_configENS1_32segmented_reduce_config_selectorIN3c104HalfEEEZNS1_21segmented_reduce_implIS3_PKS6_PS6_PKlS6_N6hipcub16HIPCUB_304000_NS6detail27convert_result_type_wrapperISA_SB_N2at6native12_GLOBAL__N_19CustomMinEEEEE10hipError_tPvRmT0_T1_jT2_SS_T4_T3_P12ihipStream_tbEUlT_E_NS1_11comp_targetILNS1_3genE0ELNS1_11target_archE4294967295ELNS1_3gpuE0ELNS1_3repE0EEENS1_30default_config_static_selectorELNS0_4arch9wavefront6targetE0EEEvSR_,comdat
.Lfunc_end230:
	.size	_ZN7rocprim17ROCPRIM_400000_NS6detail17trampoline_kernelINS0_14default_configENS1_32segmented_reduce_config_selectorIN3c104HalfEEEZNS1_21segmented_reduce_implIS3_PKS6_PS6_PKlS6_N6hipcub16HIPCUB_304000_NS6detail27convert_result_type_wrapperISA_SB_N2at6native12_GLOBAL__N_19CustomMinEEEEE10hipError_tPvRmT0_T1_jT2_SS_T4_T3_P12ihipStream_tbEUlT_E_NS1_11comp_targetILNS1_3genE0ELNS1_11target_archE4294967295ELNS1_3gpuE0ELNS1_3repE0EEENS1_30default_config_static_selectorELNS0_4arch9wavefront6targetE0EEEvSR_, .Lfunc_end230-_ZN7rocprim17ROCPRIM_400000_NS6detail17trampoline_kernelINS0_14default_configENS1_32segmented_reduce_config_selectorIN3c104HalfEEEZNS1_21segmented_reduce_implIS3_PKS6_PS6_PKlS6_N6hipcub16HIPCUB_304000_NS6detail27convert_result_type_wrapperISA_SB_N2at6native12_GLOBAL__N_19CustomMinEEEEE10hipError_tPvRmT0_T1_jT2_SS_T4_T3_P12ihipStream_tbEUlT_E_NS1_11comp_targetILNS1_3genE0ELNS1_11target_archE4294967295ELNS1_3gpuE0ELNS1_3repE0EEENS1_30default_config_static_selectorELNS0_4arch9wavefront6targetE0EEEvSR_
                                        ; -- End function
	.set _ZN7rocprim17ROCPRIM_400000_NS6detail17trampoline_kernelINS0_14default_configENS1_32segmented_reduce_config_selectorIN3c104HalfEEEZNS1_21segmented_reduce_implIS3_PKS6_PS6_PKlS6_N6hipcub16HIPCUB_304000_NS6detail27convert_result_type_wrapperISA_SB_N2at6native12_GLOBAL__N_19CustomMinEEEEE10hipError_tPvRmT0_T1_jT2_SS_T4_T3_P12ihipStream_tbEUlT_E_NS1_11comp_targetILNS1_3genE0ELNS1_11target_archE4294967295ELNS1_3gpuE0ELNS1_3repE0EEENS1_30default_config_static_selectorELNS0_4arch9wavefront6targetE0EEEvSR_.num_vgpr, 0
	.set _ZN7rocprim17ROCPRIM_400000_NS6detail17trampoline_kernelINS0_14default_configENS1_32segmented_reduce_config_selectorIN3c104HalfEEEZNS1_21segmented_reduce_implIS3_PKS6_PS6_PKlS6_N6hipcub16HIPCUB_304000_NS6detail27convert_result_type_wrapperISA_SB_N2at6native12_GLOBAL__N_19CustomMinEEEEE10hipError_tPvRmT0_T1_jT2_SS_T4_T3_P12ihipStream_tbEUlT_E_NS1_11comp_targetILNS1_3genE0ELNS1_11target_archE4294967295ELNS1_3gpuE0ELNS1_3repE0EEENS1_30default_config_static_selectorELNS0_4arch9wavefront6targetE0EEEvSR_.num_agpr, 0
	.set _ZN7rocprim17ROCPRIM_400000_NS6detail17trampoline_kernelINS0_14default_configENS1_32segmented_reduce_config_selectorIN3c104HalfEEEZNS1_21segmented_reduce_implIS3_PKS6_PS6_PKlS6_N6hipcub16HIPCUB_304000_NS6detail27convert_result_type_wrapperISA_SB_N2at6native12_GLOBAL__N_19CustomMinEEEEE10hipError_tPvRmT0_T1_jT2_SS_T4_T3_P12ihipStream_tbEUlT_E_NS1_11comp_targetILNS1_3genE0ELNS1_11target_archE4294967295ELNS1_3gpuE0ELNS1_3repE0EEENS1_30default_config_static_selectorELNS0_4arch9wavefront6targetE0EEEvSR_.numbered_sgpr, 0
	.set _ZN7rocprim17ROCPRIM_400000_NS6detail17trampoline_kernelINS0_14default_configENS1_32segmented_reduce_config_selectorIN3c104HalfEEEZNS1_21segmented_reduce_implIS3_PKS6_PS6_PKlS6_N6hipcub16HIPCUB_304000_NS6detail27convert_result_type_wrapperISA_SB_N2at6native12_GLOBAL__N_19CustomMinEEEEE10hipError_tPvRmT0_T1_jT2_SS_T4_T3_P12ihipStream_tbEUlT_E_NS1_11comp_targetILNS1_3genE0ELNS1_11target_archE4294967295ELNS1_3gpuE0ELNS1_3repE0EEENS1_30default_config_static_selectorELNS0_4arch9wavefront6targetE0EEEvSR_.num_named_barrier, 0
	.set _ZN7rocprim17ROCPRIM_400000_NS6detail17trampoline_kernelINS0_14default_configENS1_32segmented_reduce_config_selectorIN3c104HalfEEEZNS1_21segmented_reduce_implIS3_PKS6_PS6_PKlS6_N6hipcub16HIPCUB_304000_NS6detail27convert_result_type_wrapperISA_SB_N2at6native12_GLOBAL__N_19CustomMinEEEEE10hipError_tPvRmT0_T1_jT2_SS_T4_T3_P12ihipStream_tbEUlT_E_NS1_11comp_targetILNS1_3genE0ELNS1_11target_archE4294967295ELNS1_3gpuE0ELNS1_3repE0EEENS1_30default_config_static_selectorELNS0_4arch9wavefront6targetE0EEEvSR_.private_seg_size, 0
	.set _ZN7rocprim17ROCPRIM_400000_NS6detail17trampoline_kernelINS0_14default_configENS1_32segmented_reduce_config_selectorIN3c104HalfEEEZNS1_21segmented_reduce_implIS3_PKS6_PS6_PKlS6_N6hipcub16HIPCUB_304000_NS6detail27convert_result_type_wrapperISA_SB_N2at6native12_GLOBAL__N_19CustomMinEEEEE10hipError_tPvRmT0_T1_jT2_SS_T4_T3_P12ihipStream_tbEUlT_E_NS1_11comp_targetILNS1_3genE0ELNS1_11target_archE4294967295ELNS1_3gpuE0ELNS1_3repE0EEENS1_30default_config_static_selectorELNS0_4arch9wavefront6targetE0EEEvSR_.uses_vcc, 0
	.set _ZN7rocprim17ROCPRIM_400000_NS6detail17trampoline_kernelINS0_14default_configENS1_32segmented_reduce_config_selectorIN3c104HalfEEEZNS1_21segmented_reduce_implIS3_PKS6_PS6_PKlS6_N6hipcub16HIPCUB_304000_NS6detail27convert_result_type_wrapperISA_SB_N2at6native12_GLOBAL__N_19CustomMinEEEEE10hipError_tPvRmT0_T1_jT2_SS_T4_T3_P12ihipStream_tbEUlT_E_NS1_11comp_targetILNS1_3genE0ELNS1_11target_archE4294967295ELNS1_3gpuE0ELNS1_3repE0EEENS1_30default_config_static_selectorELNS0_4arch9wavefront6targetE0EEEvSR_.uses_flat_scratch, 0
	.set _ZN7rocprim17ROCPRIM_400000_NS6detail17trampoline_kernelINS0_14default_configENS1_32segmented_reduce_config_selectorIN3c104HalfEEEZNS1_21segmented_reduce_implIS3_PKS6_PS6_PKlS6_N6hipcub16HIPCUB_304000_NS6detail27convert_result_type_wrapperISA_SB_N2at6native12_GLOBAL__N_19CustomMinEEEEE10hipError_tPvRmT0_T1_jT2_SS_T4_T3_P12ihipStream_tbEUlT_E_NS1_11comp_targetILNS1_3genE0ELNS1_11target_archE4294967295ELNS1_3gpuE0ELNS1_3repE0EEENS1_30default_config_static_selectorELNS0_4arch9wavefront6targetE0EEEvSR_.has_dyn_sized_stack, 0
	.set _ZN7rocprim17ROCPRIM_400000_NS6detail17trampoline_kernelINS0_14default_configENS1_32segmented_reduce_config_selectorIN3c104HalfEEEZNS1_21segmented_reduce_implIS3_PKS6_PS6_PKlS6_N6hipcub16HIPCUB_304000_NS6detail27convert_result_type_wrapperISA_SB_N2at6native12_GLOBAL__N_19CustomMinEEEEE10hipError_tPvRmT0_T1_jT2_SS_T4_T3_P12ihipStream_tbEUlT_E_NS1_11comp_targetILNS1_3genE0ELNS1_11target_archE4294967295ELNS1_3gpuE0ELNS1_3repE0EEENS1_30default_config_static_selectorELNS0_4arch9wavefront6targetE0EEEvSR_.has_recursion, 0
	.set _ZN7rocprim17ROCPRIM_400000_NS6detail17trampoline_kernelINS0_14default_configENS1_32segmented_reduce_config_selectorIN3c104HalfEEEZNS1_21segmented_reduce_implIS3_PKS6_PS6_PKlS6_N6hipcub16HIPCUB_304000_NS6detail27convert_result_type_wrapperISA_SB_N2at6native12_GLOBAL__N_19CustomMinEEEEE10hipError_tPvRmT0_T1_jT2_SS_T4_T3_P12ihipStream_tbEUlT_E_NS1_11comp_targetILNS1_3genE0ELNS1_11target_archE4294967295ELNS1_3gpuE0ELNS1_3repE0EEENS1_30default_config_static_selectorELNS0_4arch9wavefront6targetE0EEEvSR_.has_indirect_call, 0
	.section	.AMDGPU.csdata,"",@progbits
; Kernel info:
; codeLenInByte = 0
; TotalNumSgprs: 0
; NumVgprs: 0
; ScratchSize: 0
; MemoryBound: 0
; FloatMode: 240
; IeeeMode: 1
; LDSByteSize: 0 bytes/workgroup (compile time only)
; SGPRBlocks: 0
; VGPRBlocks: 0
; NumSGPRsForWavesPerEU: 1
; NumVGPRsForWavesPerEU: 1
; Occupancy: 16
; WaveLimiterHint : 0
; COMPUTE_PGM_RSRC2:SCRATCH_EN: 0
; COMPUTE_PGM_RSRC2:USER_SGPR: 6
; COMPUTE_PGM_RSRC2:TRAP_HANDLER: 0
; COMPUTE_PGM_RSRC2:TGID_X_EN: 1
; COMPUTE_PGM_RSRC2:TGID_Y_EN: 0
; COMPUTE_PGM_RSRC2:TGID_Z_EN: 0
; COMPUTE_PGM_RSRC2:TIDIG_COMP_CNT: 0
	.section	.text._ZN7rocprim17ROCPRIM_400000_NS6detail17trampoline_kernelINS0_14default_configENS1_32segmented_reduce_config_selectorIN3c104HalfEEEZNS1_21segmented_reduce_implIS3_PKS6_PS6_PKlS6_N6hipcub16HIPCUB_304000_NS6detail27convert_result_type_wrapperISA_SB_N2at6native12_GLOBAL__N_19CustomMinEEEEE10hipError_tPvRmT0_T1_jT2_SS_T4_T3_P12ihipStream_tbEUlT_E_NS1_11comp_targetILNS1_3genE5ELNS1_11target_archE942ELNS1_3gpuE9ELNS1_3repE0EEENS1_30default_config_static_selectorELNS0_4arch9wavefront6targetE0EEEvSR_,"axG",@progbits,_ZN7rocprim17ROCPRIM_400000_NS6detail17trampoline_kernelINS0_14default_configENS1_32segmented_reduce_config_selectorIN3c104HalfEEEZNS1_21segmented_reduce_implIS3_PKS6_PS6_PKlS6_N6hipcub16HIPCUB_304000_NS6detail27convert_result_type_wrapperISA_SB_N2at6native12_GLOBAL__N_19CustomMinEEEEE10hipError_tPvRmT0_T1_jT2_SS_T4_T3_P12ihipStream_tbEUlT_E_NS1_11comp_targetILNS1_3genE5ELNS1_11target_archE942ELNS1_3gpuE9ELNS1_3repE0EEENS1_30default_config_static_selectorELNS0_4arch9wavefront6targetE0EEEvSR_,comdat
	.globl	_ZN7rocprim17ROCPRIM_400000_NS6detail17trampoline_kernelINS0_14default_configENS1_32segmented_reduce_config_selectorIN3c104HalfEEEZNS1_21segmented_reduce_implIS3_PKS6_PS6_PKlS6_N6hipcub16HIPCUB_304000_NS6detail27convert_result_type_wrapperISA_SB_N2at6native12_GLOBAL__N_19CustomMinEEEEE10hipError_tPvRmT0_T1_jT2_SS_T4_T3_P12ihipStream_tbEUlT_E_NS1_11comp_targetILNS1_3genE5ELNS1_11target_archE942ELNS1_3gpuE9ELNS1_3repE0EEENS1_30default_config_static_selectorELNS0_4arch9wavefront6targetE0EEEvSR_ ; -- Begin function _ZN7rocprim17ROCPRIM_400000_NS6detail17trampoline_kernelINS0_14default_configENS1_32segmented_reduce_config_selectorIN3c104HalfEEEZNS1_21segmented_reduce_implIS3_PKS6_PS6_PKlS6_N6hipcub16HIPCUB_304000_NS6detail27convert_result_type_wrapperISA_SB_N2at6native12_GLOBAL__N_19CustomMinEEEEE10hipError_tPvRmT0_T1_jT2_SS_T4_T3_P12ihipStream_tbEUlT_E_NS1_11comp_targetILNS1_3genE5ELNS1_11target_archE942ELNS1_3gpuE9ELNS1_3repE0EEENS1_30default_config_static_selectorELNS0_4arch9wavefront6targetE0EEEvSR_
	.p2align	8
	.type	_ZN7rocprim17ROCPRIM_400000_NS6detail17trampoline_kernelINS0_14default_configENS1_32segmented_reduce_config_selectorIN3c104HalfEEEZNS1_21segmented_reduce_implIS3_PKS6_PS6_PKlS6_N6hipcub16HIPCUB_304000_NS6detail27convert_result_type_wrapperISA_SB_N2at6native12_GLOBAL__N_19CustomMinEEEEE10hipError_tPvRmT0_T1_jT2_SS_T4_T3_P12ihipStream_tbEUlT_E_NS1_11comp_targetILNS1_3genE5ELNS1_11target_archE942ELNS1_3gpuE9ELNS1_3repE0EEENS1_30default_config_static_selectorELNS0_4arch9wavefront6targetE0EEEvSR_,@function
_ZN7rocprim17ROCPRIM_400000_NS6detail17trampoline_kernelINS0_14default_configENS1_32segmented_reduce_config_selectorIN3c104HalfEEEZNS1_21segmented_reduce_implIS3_PKS6_PS6_PKlS6_N6hipcub16HIPCUB_304000_NS6detail27convert_result_type_wrapperISA_SB_N2at6native12_GLOBAL__N_19CustomMinEEEEE10hipError_tPvRmT0_T1_jT2_SS_T4_T3_P12ihipStream_tbEUlT_E_NS1_11comp_targetILNS1_3genE5ELNS1_11target_archE942ELNS1_3gpuE9ELNS1_3repE0EEENS1_30default_config_static_selectorELNS0_4arch9wavefront6targetE0EEEvSR_: ; @_ZN7rocprim17ROCPRIM_400000_NS6detail17trampoline_kernelINS0_14default_configENS1_32segmented_reduce_config_selectorIN3c104HalfEEEZNS1_21segmented_reduce_implIS3_PKS6_PS6_PKlS6_N6hipcub16HIPCUB_304000_NS6detail27convert_result_type_wrapperISA_SB_N2at6native12_GLOBAL__N_19CustomMinEEEEE10hipError_tPvRmT0_T1_jT2_SS_T4_T3_P12ihipStream_tbEUlT_E_NS1_11comp_targetILNS1_3genE5ELNS1_11target_archE942ELNS1_3gpuE9ELNS1_3repE0EEENS1_30default_config_static_selectorELNS0_4arch9wavefront6targetE0EEEvSR_
; %bb.0:
	.section	.rodata,"a",@progbits
	.p2align	6, 0x0
	.amdhsa_kernel _ZN7rocprim17ROCPRIM_400000_NS6detail17trampoline_kernelINS0_14default_configENS1_32segmented_reduce_config_selectorIN3c104HalfEEEZNS1_21segmented_reduce_implIS3_PKS6_PS6_PKlS6_N6hipcub16HIPCUB_304000_NS6detail27convert_result_type_wrapperISA_SB_N2at6native12_GLOBAL__N_19CustomMinEEEEE10hipError_tPvRmT0_T1_jT2_SS_T4_T3_P12ihipStream_tbEUlT_E_NS1_11comp_targetILNS1_3genE5ELNS1_11target_archE942ELNS1_3gpuE9ELNS1_3repE0EEENS1_30default_config_static_selectorELNS0_4arch9wavefront6targetE0EEEvSR_
		.amdhsa_group_segment_fixed_size 0
		.amdhsa_private_segment_fixed_size 0
		.amdhsa_kernarg_size 48
		.amdhsa_user_sgpr_count 6
		.amdhsa_user_sgpr_private_segment_buffer 1
		.amdhsa_user_sgpr_dispatch_ptr 0
		.amdhsa_user_sgpr_queue_ptr 0
		.amdhsa_user_sgpr_kernarg_segment_ptr 1
		.amdhsa_user_sgpr_dispatch_id 0
		.amdhsa_user_sgpr_flat_scratch_init 0
		.amdhsa_user_sgpr_private_segment_size 0
		.amdhsa_wavefront_size32 1
		.amdhsa_uses_dynamic_stack 0
		.amdhsa_system_sgpr_private_segment_wavefront_offset 0
		.amdhsa_system_sgpr_workgroup_id_x 1
		.amdhsa_system_sgpr_workgroup_id_y 0
		.amdhsa_system_sgpr_workgroup_id_z 0
		.amdhsa_system_sgpr_workgroup_info 0
		.amdhsa_system_vgpr_workitem_id 0
		.amdhsa_next_free_vgpr 1
		.amdhsa_next_free_sgpr 1
		.amdhsa_reserve_vcc 0
		.amdhsa_reserve_flat_scratch 0
		.amdhsa_float_round_mode_32 0
		.amdhsa_float_round_mode_16_64 0
		.amdhsa_float_denorm_mode_32 3
		.amdhsa_float_denorm_mode_16_64 3
		.amdhsa_dx10_clamp 1
		.amdhsa_ieee_mode 1
		.amdhsa_fp16_overflow 0
		.amdhsa_workgroup_processor_mode 1
		.amdhsa_memory_ordered 1
		.amdhsa_forward_progress 1
		.amdhsa_shared_vgpr_count 0
		.amdhsa_exception_fp_ieee_invalid_op 0
		.amdhsa_exception_fp_denorm_src 0
		.amdhsa_exception_fp_ieee_div_zero 0
		.amdhsa_exception_fp_ieee_overflow 0
		.amdhsa_exception_fp_ieee_underflow 0
		.amdhsa_exception_fp_ieee_inexact 0
		.amdhsa_exception_int_div_zero 0
	.end_amdhsa_kernel
	.section	.text._ZN7rocprim17ROCPRIM_400000_NS6detail17trampoline_kernelINS0_14default_configENS1_32segmented_reduce_config_selectorIN3c104HalfEEEZNS1_21segmented_reduce_implIS3_PKS6_PS6_PKlS6_N6hipcub16HIPCUB_304000_NS6detail27convert_result_type_wrapperISA_SB_N2at6native12_GLOBAL__N_19CustomMinEEEEE10hipError_tPvRmT0_T1_jT2_SS_T4_T3_P12ihipStream_tbEUlT_E_NS1_11comp_targetILNS1_3genE5ELNS1_11target_archE942ELNS1_3gpuE9ELNS1_3repE0EEENS1_30default_config_static_selectorELNS0_4arch9wavefront6targetE0EEEvSR_,"axG",@progbits,_ZN7rocprim17ROCPRIM_400000_NS6detail17trampoline_kernelINS0_14default_configENS1_32segmented_reduce_config_selectorIN3c104HalfEEEZNS1_21segmented_reduce_implIS3_PKS6_PS6_PKlS6_N6hipcub16HIPCUB_304000_NS6detail27convert_result_type_wrapperISA_SB_N2at6native12_GLOBAL__N_19CustomMinEEEEE10hipError_tPvRmT0_T1_jT2_SS_T4_T3_P12ihipStream_tbEUlT_E_NS1_11comp_targetILNS1_3genE5ELNS1_11target_archE942ELNS1_3gpuE9ELNS1_3repE0EEENS1_30default_config_static_selectorELNS0_4arch9wavefront6targetE0EEEvSR_,comdat
.Lfunc_end231:
	.size	_ZN7rocprim17ROCPRIM_400000_NS6detail17trampoline_kernelINS0_14default_configENS1_32segmented_reduce_config_selectorIN3c104HalfEEEZNS1_21segmented_reduce_implIS3_PKS6_PS6_PKlS6_N6hipcub16HIPCUB_304000_NS6detail27convert_result_type_wrapperISA_SB_N2at6native12_GLOBAL__N_19CustomMinEEEEE10hipError_tPvRmT0_T1_jT2_SS_T4_T3_P12ihipStream_tbEUlT_E_NS1_11comp_targetILNS1_3genE5ELNS1_11target_archE942ELNS1_3gpuE9ELNS1_3repE0EEENS1_30default_config_static_selectorELNS0_4arch9wavefront6targetE0EEEvSR_, .Lfunc_end231-_ZN7rocprim17ROCPRIM_400000_NS6detail17trampoline_kernelINS0_14default_configENS1_32segmented_reduce_config_selectorIN3c104HalfEEEZNS1_21segmented_reduce_implIS3_PKS6_PS6_PKlS6_N6hipcub16HIPCUB_304000_NS6detail27convert_result_type_wrapperISA_SB_N2at6native12_GLOBAL__N_19CustomMinEEEEE10hipError_tPvRmT0_T1_jT2_SS_T4_T3_P12ihipStream_tbEUlT_E_NS1_11comp_targetILNS1_3genE5ELNS1_11target_archE942ELNS1_3gpuE9ELNS1_3repE0EEENS1_30default_config_static_selectorELNS0_4arch9wavefront6targetE0EEEvSR_
                                        ; -- End function
	.set _ZN7rocprim17ROCPRIM_400000_NS6detail17trampoline_kernelINS0_14default_configENS1_32segmented_reduce_config_selectorIN3c104HalfEEEZNS1_21segmented_reduce_implIS3_PKS6_PS6_PKlS6_N6hipcub16HIPCUB_304000_NS6detail27convert_result_type_wrapperISA_SB_N2at6native12_GLOBAL__N_19CustomMinEEEEE10hipError_tPvRmT0_T1_jT2_SS_T4_T3_P12ihipStream_tbEUlT_E_NS1_11comp_targetILNS1_3genE5ELNS1_11target_archE942ELNS1_3gpuE9ELNS1_3repE0EEENS1_30default_config_static_selectorELNS0_4arch9wavefront6targetE0EEEvSR_.num_vgpr, 0
	.set _ZN7rocprim17ROCPRIM_400000_NS6detail17trampoline_kernelINS0_14default_configENS1_32segmented_reduce_config_selectorIN3c104HalfEEEZNS1_21segmented_reduce_implIS3_PKS6_PS6_PKlS6_N6hipcub16HIPCUB_304000_NS6detail27convert_result_type_wrapperISA_SB_N2at6native12_GLOBAL__N_19CustomMinEEEEE10hipError_tPvRmT0_T1_jT2_SS_T4_T3_P12ihipStream_tbEUlT_E_NS1_11comp_targetILNS1_3genE5ELNS1_11target_archE942ELNS1_3gpuE9ELNS1_3repE0EEENS1_30default_config_static_selectorELNS0_4arch9wavefront6targetE0EEEvSR_.num_agpr, 0
	.set _ZN7rocprim17ROCPRIM_400000_NS6detail17trampoline_kernelINS0_14default_configENS1_32segmented_reduce_config_selectorIN3c104HalfEEEZNS1_21segmented_reduce_implIS3_PKS6_PS6_PKlS6_N6hipcub16HIPCUB_304000_NS6detail27convert_result_type_wrapperISA_SB_N2at6native12_GLOBAL__N_19CustomMinEEEEE10hipError_tPvRmT0_T1_jT2_SS_T4_T3_P12ihipStream_tbEUlT_E_NS1_11comp_targetILNS1_3genE5ELNS1_11target_archE942ELNS1_3gpuE9ELNS1_3repE0EEENS1_30default_config_static_selectorELNS0_4arch9wavefront6targetE0EEEvSR_.numbered_sgpr, 0
	.set _ZN7rocprim17ROCPRIM_400000_NS6detail17trampoline_kernelINS0_14default_configENS1_32segmented_reduce_config_selectorIN3c104HalfEEEZNS1_21segmented_reduce_implIS3_PKS6_PS6_PKlS6_N6hipcub16HIPCUB_304000_NS6detail27convert_result_type_wrapperISA_SB_N2at6native12_GLOBAL__N_19CustomMinEEEEE10hipError_tPvRmT0_T1_jT2_SS_T4_T3_P12ihipStream_tbEUlT_E_NS1_11comp_targetILNS1_3genE5ELNS1_11target_archE942ELNS1_3gpuE9ELNS1_3repE0EEENS1_30default_config_static_selectorELNS0_4arch9wavefront6targetE0EEEvSR_.num_named_barrier, 0
	.set _ZN7rocprim17ROCPRIM_400000_NS6detail17trampoline_kernelINS0_14default_configENS1_32segmented_reduce_config_selectorIN3c104HalfEEEZNS1_21segmented_reduce_implIS3_PKS6_PS6_PKlS6_N6hipcub16HIPCUB_304000_NS6detail27convert_result_type_wrapperISA_SB_N2at6native12_GLOBAL__N_19CustomMinEEEEE10hipError_tPvRmT0_T1_jT2_SS_T4_T3_P12ihipStream_tbEUlT_E_NS1_11comp_targetILNS1_3genE5ELNS1_11target_archE942ELNS1_3gpuE9ELNS1_3repE0EEENS1_30default_config_static_selectorELNS0_4arch9wavefront6targetE0EEEvSR_.private_seg_size, 0
	.set _ZN7rocprim17ROCPRIM_400000_NS6detail17trampoline_kernelINS0_14default_configENS1_32segmented_reduce_config_selectorIN3c104HalfEEEZNS1_21segmented_reduce_implIS3_PKS6_PS6_PKlS6_N6hipcub16HIPCUB_304000_NS6detail27convert_result_type_wrapperISA_SB_N2at6native12_GLOBAL__N_19CustomMinEEEEE10hipError_tPvRmT0_T1_jT2_SS_T4_T3_P12ihipStream_tbEUlT_E_NS1_11comp_targetILNS1_3genE5ELNS1_11target_archE942ELNS1_3gpuE9ELNS1_3repE0EEENS1_30default_config_static_selectorELNS0_4arch9wavefront6targetE0EEEvSR_.uses_vcc, 0
	.set _ZN7rocprim17ROCPRIM_400000_NS6detail17trampoline_kernelINS0_14default_configENS1_32segmented_reduce_config_selectorIN3c104HalfEEEZNS1_21segmented_reduce_implIS3_PKS6_PS6_PKlS6_N6hipcub16HIPCUB_304000_NS6detail27convert_result_type_wrapperISA_SB_N2at6native12_GLOBAL__N_19CustomMinEEEEE10hipError_tPvRmT0_T1_jT2_SS_T4_T3_P12ihipStream_tbEUlT_E_NS1_11comp_targetILNS1_3genE5ELNS1_11target_archE942ELNS1_3gpuE9ELNS1_3repE0EEENS1_30default_config_static_selectorELNS0_4arch9wavefront6targetE0EEEvSR_.uses_flat_scratch, 0
	.set _ZN7rocprim17ROCPRIM_400000_NS6detail17trampoline_kernelINS0_14default_configENS1_32segmented_reduce_config_selectorIN3c104HalfEEEZNS1_21segmented_reduce_implIS3_PKS6_PS6_PKlS6_N6hipcub16HIPCUB_304000_NS6detail27convert_result_type_wrapperISA_SB_N2at6native12_GLOBAL__N_19CustomMinEEEEE10hipError_tPvRmT0_T1_jT2_SS_T4_T3_P12ihipStream_tbEUlT_E_NS1_11comp_targetILNS1_3genE5ELNS1_11target_archE942ELNS1_3gpuE9ELNS1_3repE0EEENS1_30default_config_static_selectorELNS0_4arch9wavefront6targetE0EEEvSR_.has_dyn_sized_stack, 0
	.set _ZN7rocprim17ROCPRIM_400000_NS6detail17trampoline_kernelINS0_14default_configENS1_32segmented_reduce_config_selectorIN3c104HalfEEEZNS1_21segmented_reduce_implIS3_PKS6_PS6_PKlS6_N6hipcub16HIPCUB_304000_NS6detail27convert_result_type_wrapperISA_SB_N2at6native12_GLOBAL__N_19CustomMinEEEEE10hipError_tPvRmT0_T1_jT2_SS_T4_T3_P12ihipStream_tbEUlT_E_NS1_11comp_targetILNS1_3genE5ELNS1_11target_archE942ELNS1_3gpuE9ELNS1_3repE0EEENS1_30default_config_static_selectorELNS0_4arch9wavefront6targetE0EEEvSR_.has_recursion, 0
	.set _ZN7rocprim17ROCPRIM_400000_NS6detail17trampoline_kernelINS0_14default_configENS1_32segmented_reduce_config_selectorIN3c104HalfEEEZNS1_21segmented_reduce_implIS3_PKS6_PS6_PKlS6_N6hipcub16HIPCUB_304000_NS6detail27convert_result_type_wrapperISA_SB_N2at6native12_GLOBAL__N_19CustomMinEEEEE10hipError_tPvRmT0_T1_jT2_SS_T4_T3_P12ihipStream_tbEUlT_E_NS1_11comp_targetILNS1_3genE5ELNS1_11target_archE942ELNS1_3gpuE9ELNS1_3repE0EEENS1_30default_config_static_selectorELNS0_4arch9wavefront6targetE0EEEvSR_.has_indirect_call, 0
	.section	.AMDGPU.csdata,"",@progbits
; Kernel info:
; codeLenInByte = 0
; TotalNumSgprs: 0
; NumVgprs: 0
; ScratchSize: 0
; MemoryBound: 0
; FloatMode: 240
; IeeeMode: 1
; LDSByteSize: 0 bytes/workgroup (compile time only)
; SGPRBlocks: 0
; VGPRBlocks: 0
; NumSGPRsForWavesPerEU: 1
; NumVGPRsForWavesPerEU: 1
; Occupancy: 16
; WaveLimiterHint : 0
; COMPUTE_PGM_RSRC2:SCRATCH_EN: 0
; COMPUTE_PGM_RSRC2:USER_SGPR: 6
; COMPUTE_PGM_RSRC2:TRAP_HANDLER: 0
; COMPUTE_PGM_RSRC2:TGID_X_EN: 1
; COMPUTE_PGM_RSRC2:TGID_Y_EN: 0
; COMPUTE_PGM_RSRC2:TGID_Z_EN: 0
; COMPUTE_PGM_RSRC2:TIDIG_COMP_CNT: 0
	.section	.text._ZN7rocprim17ROCPRIM_400000_NS6detail17trampoline_kernelINS0_14default_configENS1_32segmented_reduce_config_selectorIN3c104HalfEEEZNS1_21segmented_reduce_implIS3_PKS6_PS6_PKlS6_N6hipcub16HIPCUB_304000_NS6detail27convert_result_type_wrapperISA_SB_N2at6native12_GLOBAL__N_19CustomMinEEEEE10hipError_tPvRmT0_T1_jT2_SS_T4_T3_P12ihipStream_tbEUlT_E_NS1_11comp_targetILNS1_3genE10ELNS1_11target_archE1201ELNS1_3gpuE5ELNS1_3repE0EEENS1_30default_config_static_selectorELNS0_4arch9wavefront6targetE0EEEvSR_,"axG",@progbits,_ZN7rocprim17ROCPRIM_400000_NS6detail17trampoline_kernelINS0_14default_configENS1_32segmented_reduce_config_selectorIN3c104HalfEEEZNS1_21segmented_reduce_implIS3_PKS6_PS6_PKlS6_N6hipcub16HIPCUB_304000_NS6detail27convert_result_type_wrapperISA_SB_N2at6native12_GLOBAL__N_19CustomMinEEEEE10hipError_tPvRmT0_T1_jT2_SS_T4_T3_P12ihipStream_tbEUlT_E_NS1_11comp_targetILNS1_3genE10ELNS1_11target_archE1201ELNS1_3gpuE5ELNS1_3repE0EEENS1_30default_config_static_selectorELNS0_4arch9wavefront6targetE0EEEvSR_,comdat
	.globl	_ZN7rocprim17ROCPRIM_400000_NS6detail17trampoline_kernelINS0_14default_configENS1_32segmented_reduce_config_selectorIN3c104HalfEEEZNS1_21segmented_reduce_implIS3_PKS6_PS6_PKlS6_N6hipcub16HIPCUB_304000_NS6detail27convert_result_type_wrapperISA_SB_N2at6native12_GLOBAL__N_19CustomMinEEEEE10hipError_tPvRmT0_T1_jT2_SS_T4_T3_P12ihipStream_tbEUlT_E_NS1_11comp_targetILNS1_3genE10ELNS1_11target_archE1201ELNS1_3gpuE5ELNS1_3repE0EEENS1_30default_config_static_selectorELNS0_4arch9wavefront6targetE0EEEvSR_ ; -- Begin function _ZN7rocprim17ROCPRIM_400000_NS6detail17trampoline_kernelINS0_14default_configENS1_32segmented_reduce_config_selectorIN3c104HalfEEEZNS1_21segmented_reduce_implIS3_PKS6_PS6_PKlS6_N6hipcub16HIPCUB_304000_NS6detail27convert_result_type_wrapperISA_SB_N2at6native12_GLOBAL__N_19CustomMinEEEEE10hipError_tPvRmT0_T1_jT2_SS_T4_T3_P12ihipStream_tbEUlT_E_NS1_11comp_targetILNS1_3genE10ELNS1_11target_archE1201ELNS1_3gpuE5ELNS1_3repE0EEENS1_30default_config_static_selectorELNS0_4arch9wavefront6targetE0EEEvSR_
	.p2align	8
	.type	_ZN7rocprim17ROCPRIM_400000_NS6detail17trampoline_kernelINS0_14default_configENS1_32segmented_reduce_config_selectorIN3c104HalfEEEZNS1_21segmented_reduce_implIS3_PKS6_PS6_PKlS6_N6hipcub16HIPCUB_304000_NS6detail27convert_result_type_wrapperISA_SB_N2at6native12_GLOBAL__N_19CustomMinEEEEE10hipError_tPvRmT0_T1_jT2_SS_T4_T3_P12ihipStream_tbEUlT_E_NS1_11comp_targetILNS1_3genE10ELNS1_11target_archE1201ELNS1_3gpuE5ELNS1_3repE0EEENS1_30default_config_static_selectorELNS0_4arch9wavefront6targetE0EEEvSR_,@function
_ZN7rocprim17ROCPRIM_400000_NS6detail17trampoline_kernelINS0_14default_configENS1_32segmented_reduce_config_selectorIN3c104HalfEEEZNS1_21segmented_reduce_implIS3_PKS6_PS6_PKlS6_N6hipcub16HIPCUB_304000_NS6detail27convert_result_type_wrapperISA_SB_N2at6native12_GLOBAL__N_19CustomMinEEEEE10hipError_tPvRmT0_T1_jT2_SS_T4_T3_P12ihipStream_tbEUlT_E_NS1_11comp_targetILNS1_3genE10ELNS1_11target_archE1201ELNS1_3gpuE5ELNS1_3repE0EEENS1_30default_config_static_selectorELNS0_4arch9wavefront6targetE0EEEvSR_: ; @_ZN7rocprim17ROCPRIM_400000_NS6detail17trampoline_kernelINS0_14default_configENS1_32segmented_reduce_config_selectorIN3c104HalfEEEZNS1_21segmented_reduce_implIS3_PKS6_PS6_PKlS6_N6hipcub16HIPCUB_304000_NS6detail27convert_result_type_wrapperISA_SB_N2at6native12_GLOBAL__N_19CustomMinEEEEE10hipError_tPvRmT0_T1_jT2_SS_T4_T3_P12ihipStream_tbEUlT_E_NS1_11comp_targetILNS1_3genE10ELNS1_11target_archE1201ELNS1_3gpuE5ELNS1_3repE0EEENS1_30default_config_static_selectorELNS0_4arch9wavefront6targetE0EEEvSR_
; %bb.0:
	.section	.rodata,"a",@progbits
	.p2align	6, 0x0
	.amdhsa_kernel _ZN7rocprim17ROCPRIM_400000_NS6detail17trampoline_kernelINS0_14default_configENS1_32segmented_reduce_config_selectorIN3c104HalfEEEZNS1_21segmented_reduce_implIS3_PKS6_PS6_PKlS6_N6hipcub16HIPCUB_304000_NS6detail27convert_result_type_wrapperISA_SB_N2at6native12_GLOBAL__N_19CustomMinEEEEE10hipError_tPvRmT0_T1_jT2_SS_T4_T3_P12ihipStream_tbEUlT_E_NS1_11comp_targetILNS1_3genE10ELNS1_11target_archE1201ELNS1_3gpuE5ELNS1_3repE0EEENS1_30default_config_static_selectorELNS0_4arch9wavefront6targetE0EEEvSR_
		.amdhsa_group_segment_fixed_size 0
		.amdhsa_private_segment_fixed_size 0
		.amdhsa_kernarg_size 48
		.amdhsa_user_sgpr_count 6
		.amdhsa_user_sgpr_private_segment_buffer 1
		.amdhsa_user_sgpr_dispatch_ptr 0
		.amdhsa_user_sgpr_queue_ptr 0
		.amdhsa_user_sgpr_kernarg_segment_ptr 1
		.amdhsa_user_sgpr_dispatch_id 0
		.amdhsa_user_sgpr_flat_scratch_init 0
		.amdhsa_user_sgpr_private_segment_size 0
		.amdhsa_wavefront_size32 1
		.amdhsa_uses_dynamic_stack 0
		.amdhsa_system_sgpr_private_segment_wavefront_offset 0
		.amdhsa_system_sgpr_workgroup_id_x 1
		.amdhsa_system_sgpr_workgroup_id_y 0
		.amdhsa_system_sgpr_workgroup_id_z 0
		.amdhsa_system_sgpr_workgroup_info 0
		.amdhsa_system_vgpr_workitem_id 0
		.amdhsa_next_free_vgpr 1
		.amdhsa_next_free_sgpr 1
		.amdhsa_reserve_vcc 0
		.amdhsa_reserve_flat_scratch 0
		.amdhsa_float_round_mode_32 0
		.amdhsa_float_round_mode_16_64 0
		.amdhsa_float_denorm_mode_32 3
		.amdhsa_float_denorm_mode_16_64 3
		.amdhsa_dx10_clamp 1
		.amdhsa_ieee_mode 1
		.amdhsa_fp16_overflow 0
		.amdhsa_workgroup_processor_mode 1
		.amdhsa_memory_ordered 1
		.amdhsa_forward_progress 1
		.amdhsa_shared_vgpr_count 0
		.amdhsa_exception_fp_ieee_invalid_op 0
		.amdhsa_exception_fp_denorm_src 0
		.amdhsa_exception_fp_ieee_div_zero 0
		.amdhsa_exception_fp_ieee_overflow 0
		.amdhsa_exception_fp_ieee_underflow 0
		.amdhsa_exception_fp_ieee_inexact 0
		.amdhsa_exception_int_div_zero 0
	.end_amdhsa_kernel
	.section	.text._ZN7rocprim17ROCPRIM_400000_NS6detail17trampoline_kernelINS0_14default_configENS1_32segmented_reduce_config_selectorIN3c104HalfEEEZNS1_21segmented_reduce_implIS3_PKS6_PS6_PKlS6_N6hipcub16HIPCUB_304000_NS6detail27convert_result_type_wrapperISA_SB_N2at6native12_GLOBAL__N_19CustomMinEEEEE10hipError_tPvRmT0_T1_jT2_SS_T4_T3_P12ihipStream_tbEUlT_E_NS1_11comp_targetILNS1_3genE10ELNS1_11target_archE1201ELNS1_3gpuE5ELNS1_3repE0EEENS1_30default_config_static_selectorELNS0_4arch9wavefront6targetE0EEEvSR_,"axG",@progbits,_ZN7rocprim17ROCPRIM_400000_NS6detail17trampoline_kernelINS0_14default_configENS1_32segmented_reduce_config_selectorIN3c104HalfEEEZNS1_21segmented_reduce_implIS3_PKS6_PS6_PKlS6_N6hipcub16HIPCUB_304000_NS6detail27convert_result_type_wrapperISA_SB_N2at6native12_GLOBAL__N_19CustomMinEEEEE10hipError_tPvRmT0_T1_jT2_SS_T4_T3_P12ihipStream_tbEUlT_E_NS1_11comp_targetILNS1_3genE10ELNS1_11target_archE1201ELNS1_3gpuE5ELNS1_3repE0EEENS1_30default_config_static_selectorELNS0_4arch9wavefront6targetE0EEEvSR_,comdat
.Lfunc_end232:
	.size	_ZN7rocprim17ROCPRIM_400000_NS6detail17trampoline_kernelINS0_14default_configENS1_32segmented_reduce_config_selectorIN3c104HalfEEEZNS1_21segmented_reduce_implIS3_PKS6_PS6_PKlS6_N6hipcub16HIPCUB_304000_NS6detail27convert_result_type_wrapperISA_SB_N2at6native12_GLOBAL__N_19CustomMinEEEEE10hipError_tPvRmT0_T1_jT2_SS_T4_T3_P12ihipStream_tbEUlT_E_NS1_11comp_targetILNS1_3genE10ELNS1_11target_archE1201ELNS1_3gpuE5ELNS1_3repE0EEENS1_30default_config_static_selectorELNS0_4arch9wavefront6targetE0EEEvSR_, .Lfunc_end232-_ZN7rocprim17ROCPRIM_400000_NS6detail17trampoline_kernelINS0_14default_configENS1_32segmented_reduce_config_selectorIN3c104HalfEEEZNS1_21segmented_reduce_implIS3_PKS6_PS6_PKlS6_N6hipcub16HIPCUB_304000_NS6detail27convert_result_type_wrapperISA_SB_N2at6native12_GLOBAL__N_19CustomMinEEEEE10hipError_tPvRmT0_T1_jT2_SS_T4_T3_P12ihipStream_tbEUlT_E_NS1_11comp_targetILNS1_3genE10ELNS1_11target_archE1201ELNS1_3gpuE5ELNS1_3repE0EEENS1_30default_config_static_selectorELNS0_4arch9wavefront6targetE0EEEvSR_
                                        ; -- End function
	.set _ZN7rocprim17ROCPRIM_400000_NS6detail17trampoline_kernelINS0_14default_configENS1_32segmented_reduce_config_selectorIN3c104HalfEEEZNS1_21segmented_reduce_implIS3_PKS6_PS6_PKlS6_N6hipcub16HIPCUB_304000_NS6detail27convert_result_type_wrapperISA_SB_N2at6native12_GLOBAL__N_19CustomMinEEEEE10hipError_tPvRmT0_T1_jT2_SS_T4_T3_P12ihipStream_tbEUlT_E_NS1_11comp_targetILNS1_3genE10ELNS1_11target_archE1201ELNS1_3gpuE5ELNS1_3repE0EEENS1_30default_config_static_selectorELNS0_4arch9wavefront6targetE0EEEvSR_.num_vgpr, 0
	.set _ZN7rocprim17ROCPRIM_400000_NS6detail17trampoline_kernelINS0_14default_configENS1_32segmented_reduce_config_selectorIN3c104HalfEEEZNS1_21segmented_reduce_implIS3_PKS6_PS6_PKlS6_N6hipcub16HIPCUB_304000_NS6detail27convert_result_type_wrapperISA_SB_N2at6native12_GLOBAL__N_19CustomMinEEEEE10hipError_tPvRmT0_T1_jT2_SS_T4_T3_P12ihipStream_tbEUlT_E_NS1_11comp_targetILNS1_3genE10ELNS1_11target_archE1201ELNS1_3gpuE5ELNS1_3repE0EEENS1_30default_config_static_selectorELNS0_4arch9wavefront6targetE0EEEvSR_.num_agpr, 0
	.set _ZN7rocprim17ROCPRIM_400000_NS6detail17trampoline_kernelINS0_14default_configENS1_32segmented_reduce_config_selectorIN3c104HalfEEEZNS1_21segmented_reduce_implIS3_PKS6_PS6_PKlS6_N6hipcub16HIPCUB_304000_NS6detail27convert_result_type_wrapperISA_SB_N2at6native12_GLOBAL__N_19CustomMinEEEEE10hipError_tPvRmT0_T1_jT2_SS_T4_T3_P12ihipStream_tbEUlT_E_NS1_11comp_targetILNS1_3genE10ELNS1_11target_archE1201ELNS1_3gpuE5ELNS1_3repE0EEENS1_30default_config_static_selectorELNS0_4arch9wavefront6targetE0EEEvSR_.numbered_sgpr, 0
	.set _ZN7rocprim17ROCPRIM_400000_NS6detail17trampoline_kernelINS0_14default_configENS1_32segmented_reduce_config_selectorIN3c104HalfEEEZNS1_21segmented_reduce_implIS3_PKS6_PS6_PKlS6_N6hipcub16HIPCUB_304000_NS6detail27convert_result_type_wrapperISA_SB_N2at6native12_GLOBAL__N_19CustomMinEEEEE10hipError_tPvRmT0_T1_jT2_SS_T4_T3_P12ihipStream_tbEUlT_E_NS1_11comp_targetILNS1_3genE10ELNS1_11target_archE1201ELNS1_3gpuE5ELNS1_3repE0EEENS1_30default_config_static_selectorELNS0_4arch9wavefront6targetE0EEEvSR_.num_named_barrier, 0
	.set _ZN7rocprim17ROCPRIM_400000_NS6detail17trampoline_kernelINS0_14default_configENS1_32segmented_reduce_config_selectorIN3c104HalfEEEZNS1_21segmented_reduce_implIS3_PKS6_PS6_PKlS6_N6hipcub16HIPCUB_304000_NS6detail27convert_result_type_wrapperISA_SB_N2at6native12_GLOBAL__N_19CustomMinEEEEE10hipError_tPvRmT0_T1_jT2_SS_T4_T3_P12ihipStream_tbEUlT_E_NS1_11comp_targetILNS1_3genE10ELNS1_11target_archE1201ELNS1_3gpuE5ELNS1_3repE0EEENS1_30default_config_static_selectorELNS0_4arch9wavefront6targetE0EEEvSR_.private_seg_size, 0
	.set _ZN7rocprim17ROCPRIM_400000_NS6detail17trampoline_kernelINS0_14default_configENS1_32segmented_reduce_config_selectorIN3c104HalfEEEZNS1_21segmented_reduce_implIS3_PKS6_PS6_PKlS6_N6hipcub16HIPCUB_304000_NS6detail27convert_result_type_wrapperISA_SB_N2at6native12_GLOBAL__N_19CustomMinEEEEE10hipError_tPvRmT0_T1_jT2_SS_T4_T3_P12ihipStream_tbEUlT_E_NS1_11comp_targetILNS1_3genE10ELNS1_11target_archE1201ELNS1_3gpuE5ELNS1_3repE0EEENS1_30default_config_static_selectorELNS0_4arch9wavefront6targetE0EEEvSR_.uses_vcc, 0
	.set _ZN7rocprim17ROCPRIM_400000_NS6detail17trampoline_kernelINS0_14default_configENS1_32segmented_reduce_config_selectorIN3c104HalfEEEZNS1_21segmented_reduce_implIS3_PKS6_PS6_PKlS6_N6hipcub16HIPCUB_304000_NS6detail27convert_result_type_wrapperISA_SB_N2at6native12_GLOBAL__N_19CustomMinEEEEE10hipError_tPvRmT0_T1_jT2_SS_T4_T3_P12ihipStream_tbEUlT_E_NS1_11comp_targetILNS1_3genE10ELNS1_11target_archE1201ELNS1_3gpuE5ELNS1_3repE0EEENS1_30default_config_static_selectorELNS0_4arch9wavefront6targetE0EEEvSR_.uses_flat_scratch, 0
	.set _ZN7rocprim17ROCPRIM_400000_NS6detail17trampoline_kernelINS0_14default_configENS1_32segmented_reduce_config_selectorIN3c104HalfEEEZNS1_21segmented_reduce_implIS3_PKS6_PS6_PKlS6_N6hipcub16HIPCUB_304000_NS6detail27convert_result_type_wrapperISA_SB_N2at6native12_GLOBAL__N_19CustomMinEEEEE10hipError_tPvRmT0_T1_jT2_SS_T4_T3_P12ihipStream_tbEUlT_E_NS1_11comp_targetILNS1_3genE10ELNS1_11target_archE1201ELNS1_3gpuE5ELNS1_3repE0EEENS1_30default_config_static_selectorELNS0_4arch9wavefront6targetE0EEEvSR_.has_dyn_sized_stack, 0
	.set _ZN7rocprim17ROCPRIM_400000_NS6detail17trampoline_kernelINS0_14default_configENS1_32segmented_reduce_config_selectorIN3c104HalfEEEZNS1_21segmented_reduce_implIS3_PKS6_PS6_PKlS6_N6hipcub16HIPCUB_304000_NS6detail27convert_result_type_wrapperISA_SB_N2at6native12_GLOBAL__N_19CustomMinEEEEE10hipError_tPvRmT0_T1_jT2_SS_T4_T3_P12ihipStream_tbEUlT_E_NS1_11comp_targetILNS1_3genE10ELNS1_11target_archE1201ELNS1_3gpuE5ELNS1_3repE0EEENS1_30default_config_static_selectorELNS0_4arch9wavefront6targetE0EEEvSR_.has_recursion, 0
	.set _ZN7rocprim17ROCPRIM_400000_NS6detail17trampoline_kernelINS0_14default_configENS1_32segmented_reduce_config_selectorIN3c104HalfEEEZNS1_21segmented_reduce_implIS3_PKS6_PS6_PKlS6_N6hipcub16HIPCUB_304000_NS6detail27convert_result_type_wrapperISA_SB_N2at6native12_GLOBAL__N_19CustomMinEEEEE10hipError_tPvRmT0_T1_jT2_SS_T4_T3_P12ihipStream_tbEUlT_E_NS1_11comp_targetILNS1_3genE10ELNS1_11target_archE1201ELNS1_3gpuE5ELNS1_3repE0EEENS1_30default_config_static_selectorELNS0_4arch9wavefront6targetE0EEEvSR_.has_indirect_call, 0
	.section	.AMDGPU.csdata,"",@progbits
; Kernel info:
; codeLenInByte = 0
; TotalNumSgprs: 0
; NumVgprs: 0
; ScratchSize: 0
; MemoryBound: 0
; FloatMode: 240
; IeeeMode: 1
; LDSByteSize: 0 bytes/workgroup (compile time only)
; SGPRBlocks: 0
; VGPRBlocks: 0
; NumSGPRsForWavesPerEU: 1
; NumVGPRsForWavesPerEU: 1
; Occupancy: 16
; WaveLimiterHint : 0
; COMPUTE_PGM_RSRC2:SCRATCH_EN: 0
; COMPUTE_PGM_RSRC2:USER_SGPR: 6
; COMPUTE_PGM_RSRC2:TRAP_HANDLER: 0
; COMPUTE_PGM_RSRC2:TGID_X_EN: 1
; COMPUTE_PGM_RSRC2:TGID_Y_EN: 0
; COMPUTE_PGM_RSRC2:TGID_Z_EN: 0
; COMPUTE_PGM_RSRC2:TIDIG_COMP_CNT: 0
	.section	.text._ZN7rocprim17ROCPRIM_400000_NS6detail17trampoline_kernelINS0_14default_configENS1_32segmented_reduce_config_selectorIN3c104HalfEEEZNS1_21segmented_reduce_implIS3_PKS6_PS6_PKlS6_N6hipcub16HIPCUB_304000_NS6detail27convert_result_type_wrapperISA_SB_N2at6native12_GLOBAL__N_19CustomMinEEEEE10hipError_tPvRmT0_T1_jT2_SS_T4_T3_P12ihipStream_tbEUlT_E_NS1_11comp_targetILNS1_3genE4ELNS1_11target_archE910ELNS1_3gpuE8ELNS1_3repE0EEENS1_30default_config_static_selectorELNS0_4arch9wavefront6targetE0EEEvSR_,"axG",@progbits,_ZN7rocprim17ROCPRIM_400000_NS6detail17trampoline_kernelINS0_14default_configENS1_32segmented_reduce_config_selectorIN3c104HalfEEEZNS1_21segmented_reduce_implIS3_PKS6_PS6_PKlS6_N6hipcub16HIPCUB_304000_NS6detail27convert_result_type_wrapperISA_SB_N2at6native12_GLOBAL__N_19CustomMinEEEEE10hipError_tPvRmT0_T1_jT2_SS_T4_T3_P12ihipStream_tbEUlT_E_NS1_11comp_targetILNS1_3genE4ELNS1_11target_archE910ELNS1_3gpuE8ELNS1_3repE0EEENS1_30default_config_static_selectorELNS0_4arch9wavefront6targetE0EEEvSR_,comdat
	.globl	_ZN7rocprim17ROCPRIM_400000_NS6detail17trampoline_kernelINS0_14default_configENS1_32segmented_reduce_config_selectorIN3c104HalfEEEZNS1_21segmented_reduce_implIS3_PKS6_PS6_PKlS6_N6hipcub16HIPCUB_304000_NS6detail27convert_result_type_wrapperISA_SB_N2at6native12_GLOBAL__N_19CustomMinEEEEE10hipError_tPvRmT0_T1_jT2_SS_T4_T3_P12ihipStream_tbEUlT_E_NS1_11comp_targetILNS1_3genE4ELNS1_11target_archE910ELNS1_3gpuE8ELNS1_3repE0EEENS1_30default_config_static_selectorELNS0_4arch9wavefront6targetE0EEEvSR_ ; -- Begin function _ZN7rocprim17ROCPRIM_400000_NS6detail17trampoline_kernelINS0_14default_configENS1_32segmented_reduce_config_selectorIN3c104HalfEEEZNS1_21segmented_reduce_implIS3_PKS6_PS6_PKlS6_N6hipcub16HIPCUB_304000_NS6detail27convert_result_type_wrapperISA_SB_N2at6native12_GLOBAL__N_19CustomMinEEEEE10hipError_tPvRmT0_T1_jT2_SS_T4_T3_P12ihipStream_tbEUlT_E_NS1_11comp_targetILNS1_3genE4ELNS1_11target_archE910ELNS1_3gpuE8ELNS1_3repE0EEENS1_30default_config_static_selectorELNS0_4arch9wavefront6targetE0EEEvSR_
	.p2align	8
	.type	_ZN7rocprim17ROCPRIM_400000_NS6detail17trampoline_kernelINS0_14default_configENS1_32segmented_reduce_config_selectorIN3c104HalfEEEZNS1_21segmented_reduce_implIS3_PKS6_PS6_PKlS6_N6hipcub16HIPCUB_304000_NS6detail27convert_result_type_wrapperISA_SB_N2at6native12_GLOBAL__N_19CustomMinEEEEE10hipError_tPvRmT0_T1_jT2_SS_T4_T3_P12ihipStream_tbEUlT_E_NS1_11comp_targetILNS1_3genE4ELNS1_11target_archE910ELNS1_3gpuE8ELNS1_3repE0EEENS1_30default_config_static_selectorELNS0_4arch9wavefront6targetE0EEEvSR_,@function
_ZN7rocprim17ROCPRIM_400000_NS6detail17trampoline_kernelINS0_14default_configENS1_32segmented_reduce_config_selectorIN3c104HalfEEEZNS1_21segmented_reduce_implIS3_PKS6_PS6_PKlS6_N6hipcub16HIPCUB_304000_NS6detail27convert_result_type_wrapperISA_SB_N2at6native12_GLOBAL__N_19CustomMinEEEEE10hipError_tPvRmT0_T1_jT2_SS_T4_T3_P12ihipStream_tbEUlT_E_NS1_11comp_targetILNS1_3genE4ELNS1_11target_archE910ELNS1_3gpuE8ELNS1_3repE0EEENS1_30default_config_static_selectorELNS0_4arch9wavefront6targetE0EEEvSR_: ; @_ZN7rocprim17ROCPRIM_400000_NS6detail17trampoline_kernelINS0_14default_configENS1_32segmented_reduce_config_selectorIN3c104HalfEEEZNS1_21segmented_reduce_implIS3_PKS6_PS6_PKlS6_N6hipcub16HIPCUB_304000_NS6detail27convert_result_type_wrapperISA_SB_N2at6native12_GLOBAL__N_19CustomMinEEEEE10hipError_tPvRmT0_T1_jT2_SS_T4_T3_P12ihipStream_tbEUlT_E_NS1_11comp_targetILNS1_3genE4ELNS1_11target_archE910ELNS1_3gpuE8ELNS1_3repE0EEENS1_30default_config_static_selectorELNS0_4arch9wavefront6targetE0EEEvSR_
; %bb.0:
	.section	.rodata,"a",@progbits
	.p2align	6, 0x0
	.amdhsa_kernel _ZN7rocprim17ROCPRIM_400000_NS6detail17trampoline_kernelINS0_14default_configENS1_32segmented_reduce_config_selectorIN3c104HalfEEEZNS1_21segmented_reduce_implIS3_PKS6_PS6_PKlS6_N6hipcub16HIPCUB_304000_NS6detail27convert_result_type_wrapperISA_SB_N2at6native12_GLOBAL__N_19CustomMinEEEEE10hipError_tPvRmT0_T1_jT2_SS_T4_T3_P12ihipStream_tbEUlT_E_NS1_11comp_targetILNS1_3genE4ELNS1_11target_archE910ELNS1_3gpuE8ELNS1_3repE0EEENS1_30default_config_static_selectorELNS0_4arch9wavefront6targetE0EEEvSR_
		.amdhsa_group_segment_fixed_size 0
		.amdhsa_private_segment_fixed_size 0
		.amdhsa_kernarg_size 48
		.amdhsa_user_sgpr_count 6
		.amdhsa_user_sgpr_private_segment_buffer 1
		.amdhsa_user_sgpr_dispatch_ptr 0
		.amdhsa_user_sgpr_queue_ptr 0
		.amdhsa_user_sgpr_kernarg_segment_ptr 1
		.amdhsa_user_sgpr_dispatch_id 0
		.amdhsa_user_sgpr_flat_scratch_init 0
		.amdhsa_user_sgpr_private_segment_size 0
		.amdhsa_wavefront_size32 1
		.amdhsa_uses_dynamic_stack 0
		.amdhsa_system_sgpr_private_segment_wavefront_offset 0
		.amdhsa_system_sgpr_workgroup_id_x 1
		.amdhsa_system_sgpr_workgroup_id_y 0
		.amdhsa_system_sgpr_workgroup_id_z 0
		.amdhsa_system_sgpr_workgroup_info 0
		.amdhsa_system_vgpr_workitem_id 0
		.amdhsa_next_free_vgpr 1
		.amdhsa_next_free_sgpr 1
		.amdhsa_reserve_vcc 0
		.amdhsa_reserve_flat_scratch 0
		.amdhsa_float_round_mode_32 0
		.amdhsa_float_round_mode_16_64 0
		.amdhsa_float_denorm_mode_32 3
		.amdhsa_float_denorm_mode_16_64 3
		.amdhsa_dx10_clamp 1
		.amdhsa_ieee_mode 1
		.amdhsa_fp16_overflow 0
		.amdhsa_workgroup_processor_mode 1
		.amdhsa_memory_ordered 1
		.amdhsa_forward_progress 1
		.amdhsa_shared_vgpr_count 0
		.amdhsa_exception_fp_ieee_invalid_op 0
		.amdhsa_exception_fp_denorm_src 0
		.amdhsa_exception_fp_ieee_div_zero 0
		.amdhsa_exception_fp_ieee_overflow 0
		.amdhsa_exception_fp_ieee_underflow 0
		.amdhsa_exception_fp_ieee_inexact 0
		.amdhsa_exception_int_div_zero 0
	.end_amdhsa_kernel
	.section	.text._ZN7rocprim17ROCPRIM_400000_NS6detail17trampoline_kernelINS0_14default_configENS1_32segmented_reduce_config_selectorIN3c104HalfEEEZNS1_21segmented_reduce_implIS3_PKS6_PS6_PKlS6_N6hipcub16HIPCUB_304000_NS6detail27convert_result_type_wrapperISA_SB_N2at6native12_GLOBAL__N_19CustomMinEEEEE10hipError_tPvRmT0_T1_jT2_SS_T4_T3_P12ihipStream_tbEUlT_E_NS1_11comp_targetILNS1_3genE4ELNS1_11target_archE910ELNS1_3gpuE8ELNS1_3repE0EEENS1_30default_config_static_selectorELNS0_4arch9wavefront6targetE0EEEvSR_,"axG",@progbits,_ZN7rocprim17ROCPRIM_400000_NS6detail17trampoline_kernelINS0_14default_configENS1_32segmented_reduce_config_selectorIN3c104HalfEEEZNS1_21segmented_reduce_implIS3_PKS6_PS6_PKlS6_N6hipcub16HIPCUB_304000_NS6detail27convert_result_type_wrapperISA_SB_N2at6native12_GLOBAL__N_19CustomMinEEEEE10hipError_tPvRmT0_T1_jT2_SS_T4_T3_P12ihipStream_tbEUlT_E_NS1_11comp_targetILNS1_3genE4ELNS1_11target_archE910ELNS1_3gpuE8ELNS1_3repE0EEENS1_30default_config_static_selectorELNS0_4arch9wavefront6targetE0EEEvSR_,comdat
.Lfunc_end233:
	.size	_ZN7rocprim17ROCPRIM_400000_NS6detail17trampoline_kernelINS0_14default_configENS1_32segmented_reduce_config_selectorIN3c104HalfEEEZNS1_21segmented_reduce_implIS3_PKS6_PS6_PKlS6_N6hipcub16HIPCUB_304000_NS6detail27convert_result_type_wrapperISA_SB_N2at6native12_GLOBAL__N_19CustomMinEEEEE10hipError_tPvRmT0_T1_jT2_SS_T4_T3_P12ihipStream_tbEUlT_E_NS1_11comp_targetILNS1_3genE4ELNS1_11target_archE910ELNS1_3gpuE8ELNS1_3repE0EEENS1_30default_config_static_selectorELNS0_4arch9wavefront6targetE0EEEvSR_, .Lfunc_end233-_ZN7rocprim17ROCPRIM_400000_NS6detail17trampoline_kernelINS0_14default_configENS1_32segmented_reduce_config_selectorIN3c104HalfEEEZNS1_21segmented_reduce_implIS3_PKS6_PS6_PKlS6_N6hipcub16HIPCUB_304000_NS6detail27convert_result_type_wrapperISA_SB_N2at6native12_GLOBAL__N_19CustomMinEEEEE10hipError_tPvRmT0_T1_jT2_SS_T4_T3_P12ihipStream_tbEUlT_E_NS1_11comp_targetILNS1_3genE4ELNS1_11target_archE910ELNS1_3gpuE8ELNS1_3repE0EEENS1_30default_config_static_selectorELNS0_4arch9wavefront6targetE0EEEvSR_
                                        ; -- End function
	.set _ZN7rocprim17ROCPRIM_400000_NS6detail17trampoline_kernelINS0_14default_configENS1_32segmented_reduce_config_selectorIN3c104HalfEEEZNS1_21segmented_reduce_implIS3_PKS6_PS6_PKlS6_N6hipcub16HIPCUB_304000_NS6detail27convert_result_type_wrapperISA_SB_N2at6native12_GLOBAL__N_19CustomMinEEEEE10hipError_tPvRmT0_T1_jT2_SS_T4_T3_P12ihipStream_tbEUlT_E_NS1_11comp_targetILNS1_3genE4ELNS1_11target_archE910ELNS1_3gpuE8ELNS1_3repE0EEENS1_30default_config_static_selectorELNS0_4arch9wavefront6targetE0EEEvSR_.num_vgpr, 0
	.set _ZN7rocprim17ROCPRIM_400000_NS6detail17trampoline_kernelINS0_14default_configENS1_32segmented_reduce_config_selectorIN3c104HalfEEEZNS1_21segmented_reduce_implIS3_PKS6_PS6_PKlS6_N6hipcub16HIPCUB_304000_NS6detail27convert_result_type_wrapperISA_SB_N2at6native12_GLOBAL__N_19CustomMinEEEEE10hipError_tPvRmT0_T1_jT2_SS_T4_T3_P12ihipStream_tbEUlT_E_NS1_11comp_targetILNS1_3genE4ELNS1_11target_archE910ELNS1_3gpuE8ELNS1_3repE0EEENS1_30default_config_static_selectorELNS0_4arch9wavefront6targetE0EEEvSR_.num_agpr, 0
	.set _ZN7rocprim17ROCPRIM_400000_NS6detail17trampoline_kernelINS0_14default_configENS1_32segmented_reduce_config_selectorIN3c104HalfEEEZNS1_21segmented_reduce_implIS3_PKS6_PS6_PKlS6_N6hipcub16HIPCUB_304000_NS6detail27convert_result_type_wrapperISA_SB_N2at6native12_GLOBAL__N_19CustomMinEEEEE10hipError_tPvRmT0_T1_jT2_SS_T4_T3_P12ihipStream_tbEUlT_E_NS1_11comp_targetILNS1_3genE4ELNS1_11target_archE910ELNS1_3gpuE8ELNS1_3repE0EEENS1_30default_config_static_selectorELNS0_4arch9wavefront6targetE0EEEvSR_.numbered_sgpr, 0
	.set _ZN7rocprim17ROCPRIM_400000_NS6detail17trampoline_kernelINS0_14default_configENS1_32segmented_reduce_config_selectorIN3c104HalfEEEZNS1_21segmented_reduce_implIS3_PKS6_PS6_PKlS6_N6hipcub16HIPCUB_304000_NS6detail27convert_result_type_wrapperISA_SB_N2at6native12_GLOBAL__N_19CustomMinEEEEE10hipError_tPvRmT0_T1_jT2_SS_T4_T3_P12ihipStream_tbEUlT_E_NS1_11comp_targetILNS1_3genE4ELNS1_11target_archE910ELNS1_3gpuE8ELNS1_3repE0EEENS1_30default_config_static_selectorELNS0_4arch9wavefront6targetE0EEEvSR_.num_named_barrier, 0
	.set _ZN7rocprim17ROCPRIM_400000_NS6detail17trampoline_kernelINS0_14default_configENS1_32segmented_reduce_config_selectorIN3c104HalfEEEZNS1_21segmented_reduce_implIS3_PKS6_PS6_PKlS6_N6hipcub16HIPCUB_304000_NS6detail27convert_result_type_wrapperISA_SB_N2at6native12_GLOBAL__N_19CustomMinEEEEE10hipError_tPvRmT0_T1_jT2_SS_T4_T3_P12ihipStream_tbEUlT_E_NS1_11comp_targetILNS1_3genE4ELNS1_11target_archE910ELNS1_3gpuE8ELNS1_3repE0EEENS1_30default_config_static_selectorELNS0_4arch9wavefront6targetE0EEEvSR_.private_seg_size, 0
	.set _ZN7rocprim17ROCPRIM_400000_NS6detail17trampoline_kernelINS0_14default_configENS1_32segmented_reduce_config_selectorIN3c104HalfEEEZNS1_21segmented_reduce_implIS3_PKS6_PS6_PKlS6_N6hipcub16HIPCUB_304000_NS6detail27convert_result_type_wrapperISA_SB_N2at6native12_GLOBAL__N_19CustomMinEEEEE10hipError_tPvRmT0_T1_jT2_SS_T4_T3_P12ihipStream_tbEUlT_E_NS1_11comp_targetILNS1_3genE4ELNS1_11target_archE910ELNS1_3gpuE8ELNS1_3repE0EEENS1_30default_config_static_selectorELNS0_4arch9wavefront6targetE0EEEvSR_.uses_vcc, 0
	.set _ZN7rocprim17ROCPRIM_400000_NS6detail17trampoline_kernelINS0_14default_configENS1_32segmented_reduce_config_selectorIN3c104HalfEEEZNS1_21segmented_reduce_implIS3_PKS6_PS6_PKlS6_N6hipcub16HIPCUB_304000_NS6detail27convert_result_type_wrapperISA_SB_N2at6native12_GLOBAL__N_19CustomMinEEEEE10hipError_tPvRmT0_T1_jT2_SS_T4_T3_P12ihipStream_tbEUlT_E_NS1_11comp_targetILNS1_3genE4ELNS1_11target_archE910ELNS1_3gpuE8ELNS1_3repE0EEENS1_30default_config_static_selectorELNS0_4arch9wavefront6targetE0EEEvSR_.uses_flat_scratch, 0
	.set _ZN7rocprim17ROCPRIM_400000_NS6detail17trampoline_kernelINS0_14default_configENS1_32segmented_reduce_config_selectorIN3c104HalfEEEZNS1_21segmented_reduce_implIS3_PKS6_PS6_PKlS6_N6hipcub16HIPCUB_304000_NS6detail27convert_result_type_wrapperISA_SB_N2at6native12_GLOBAL__N_19CustomMinEEEEE10hipError_tPvRmT0_T1_jT2_SS_T4_T3_P12ihipStream_tbEUlT_E_NS1_11comp_targetILNS1_3genE4ELNS1_11target_archE910ELNS1_3gpuE8ELNS1_3repE0EEENS1_30default_config_static_selectorELNS0_4arch9wavefront6targetE0EEEvSR_.has_dyn_sized_stack, 0
	.set _ZN7rocprim17ROCPRIM_400000_NS6detail17trampoline_kernelINS0_14default_configENS1_32segmented_reduce_config_selectorIN3c104HalfEEEZNS1_21segmented_reduce_implIS3_PKS6_PS6_PKlS6_N6hipcub16HIPCUB_304000_NS6detail27convert_result_type_wrapperISA_SB_N2at6native12_GLOBAL__N_19CustomMinEEEEE10hipError_tPvRmT0_T1_jT2_SS_T4_T3_P12ihipStream_tbEUlT_E_NS1_11comp_targetILNS1_3genE4ELNS1_11target_archE910ELNS1_3gpuE8ELNS1_3repE0EEENS1_30default_config_static_selectorELNS0_4arch9wavefront6targetE0EEEvSR_.has_recursion, 0
	.set _ZN7rocprim17ROCPRIM_400000_NS6detail17trampoline_kernelINS0_14default_configENS1_32segmented_reduce_config_selectorIN3c104HalfEEEZNS1_21segmented_reduce_implIS3_PKS6_PS6_PKlS6_N6hipcub16HIPCUB_304000_NS6detail27convert_result_type_wrapperISA_SB_N2at6native12_GLOBAL__N_19CustomMinEEEEE10hipError_tPvRmT0_T1_jT2_SS_T4_T3_P12ihipStream_tbEUlT_E_NS1_11comp_targetILNS1_3genE4ELNS1_11target_archE910ELNS1_3gpuE8ELNS1_3repE0EEENS1_30default_config_static_selectorELNS0_4arch9wavefront6targetE0EEEvSR_.has_indirect_call, 0
	.section	.AMDGPU.csdata,"",@progbits
; Kernel info:
; codeLenInByte = 0
; TotalNumSgprs: 0
; NumVgprs: 0
; ScratchSize: 0
; MemoryBound: 0
; FloatMode: 240
; IeeeMode: 1
; LDSByteSize: 0 bytes/workgroup (compile time only)
; SGPRBlocks: 0
; VGPRBlocks: 0
; NumSGPRsForWavesPerEU: 1
; NumVGPRsForWavesPerEU: 1
; Occupancy: 16
; WaveLimiterHint : 0
; COMPUTE_PGM_RSRC2:SCRATCH_EN: 0
; COMPUTE_PGM_RSRC2:USER_SGPR: 6
; COMPUTE_PGM_RSRC2:TRAP_HANDLER: 0
; COMPUTE_PGM_RSRC2:TGID_X_EN: 1
; COMPUTE_PGM_RSRC2:TGID_Y_EN: 0
; COMPUTE_PGM_RSRC2:TGID_Z_EN: 0
; COMPUTE_PGM_RSRC2:TIDIG_COMP_CNT: 0
	.section	.text._ZN7rocprim17ROCPRIM_400000_NS6detail17trampoline_kernelINS0_14default_configENS1_32segmented_reduce_config_selectorIN3c104HalfEEEZNS1_21segmented_reduce_implIS3_PKS6_PS6_PKlS6_N6hipcub16HIPCUB_304000_NS6detail27convert_result_type_wrapperISA_SB_N2at6native12_GLOBAL__N_19CustomMinEEEEE10hipError_tPvRmT0_T1_jT2_SS_T4_T3_P12ihipStream_tbEUlT_E_NS1_11comp_targetILNS1_3genE3ELNS1_11target_archE908ELNS1_3gpuE7ELNS1_3repE0EEENS1_30default_config_static_selectorELNS0_4arch9wavefront6targetE0EEEvSR_,"axG",@progbits,_ZN7rocprim17ROCPRIM_400000_NS6detail17trampoline_kernelINS0_14default_configENS1_32segmented_reduce_config_selectorIN3c104HalfEEEZNS1_21segmented_reduce_implIS3_PKS6_PS6_PKlS6_N6hipcub16HIPCUB_304000_NS6detail27convert_result_type_wrapperISA_SB_N2at6native12_GLOBAL__N_19CustomMinEEEEE10hipError_tPvRmT0_T1_jT2_SS_T4_T3_P12ihipStream_tbEUlT_E_NS1_11comp_targetILNS1_3genE3ELNS1_11target_archE908ELNS1_3gpuE7ELNS1_3repE0EEENS1_30default_config_static_selectorELNS0_4arch9wavefront6targetE0EEEvSR_,comdat
	.globl	_ZN7rocprim17ROCPRIM_400000_NS6detail17trampoline_kernelINS0_14default_configENS1_32segmented_reduce_config_selectorIN3c104HalfEEEZNS1_21segmented_reduce_implIS3_PKS6_PS6_PKlS6_N6hipcub16HIPCUB_304000_NS6detail27convert_result_type_wrapperISA_SB_N2at6native12_GLOBAL__N_19CustomMinEEEEE10hipError_tPvRmT0_T1_jT2_SS_T4_T3_P12ihipStream_tbEUlT_E_NS1_11comp_targetILNS1_3genE3ELNS1_11target_archE908ELNS1_3gpuE7ELNS1_3repE0EEENS1_30default_config_static_selectorELNS0_4arch9wavefront6targetE0EEEvSR_ ; -- Begin function _ZN7rocprim17ROCPRIM_400000_NS6detail17trampoline_kernelINS0_14default_configENS1_32segmented_reduce_config_selectorIN3c104HalfEEEZNS1_21segmented_reduce_implIS3_PKS6_PS6_PKlS6_N6hipcub16HIPCUB_304000_NS6detail27convert_result_type_wrapperISA_SB_N2at6native12_GLOBAL__N_19CustomMinEEEEE10hipError_tPvRmT0_T1_jT2_SS_T4_T3_P12ihipStream_tbEUlT_E_NS1_11comp_targetILNS1_3genE3ELNS1_11target_archE908ELNS1_3gpuE7ELNS1_3repE0EEENS1_30default_config_static_selectorELNS0_4arch9wavefront6targetE0EEEvSR_
	.p2align	8
	.type	_ZN7rocprim17ROCPRIM_400000_NS6detail17trampoline_kernelINS0_14default_configENS1_32segmented_reduce_config_selectorIN3c104HalfEEEZNS1_21segmented_reduce_implIS3_PKS6_PS6_PKlS6_N6hipcub16HIPCUB_304000_NS6detail27convert_result_type_wrapperISA_SB_N2at6native12_GLOBAL__N_19CustomMinEEEEE10hipError_tPvRmT0_T1_jT2_SS_T4_T3_P12ihipStream_tbEUlT_E_NS1_11comp_targetILNS1_3genE3ELNS1_11target_archE908ELNS1_3gpuE7ELNS1_3repE0EEENS1_30default_config_static_selectorELNS0_4arch9wavefront6targetE0EEEvSR_,@function
_ZN7rocprim17ROCPRIM_400000_NS6detail17trampoline_kernelINS0_14default_configENS1_32segmented_reduce_config_selectorIN3c104HalfEEEZNS1_21segmented_reduce_implIS3_PKS6_PS6_PKlS6_N6hipcub16HIPCUB_304000_NS6detail27convert_result_type_wrapperISA_SB_N2at6native12_GLOBAL__N_19CustomMinEEEEE10hipError_tPvRmT0_T1_jT2_SS_T4_T3_P12ihipStream_tbEUlT_E_NS1_11comp_targetILNS1_3genE3ELNS1_11target_archE908ELNS1_3gpuE7ELNS1_3repE0EEENS1_30default_config_static_selectorELNS0_4arch9wavefront6targetE0EEEvSR_: ; @_ZN7rocprim17ROCPRIM_400000_NS6detail17trampoline_kernelINS0_14default_configENS1_32segmented_reduce_config_selectorIN3c104HalfEEEZNS1_21segmented_reduce_implIS3_PKS6_PS6_PKlS6_N6hipcub16HIPCUB_304000_NS6detail27convert_result_type_wrapperISA_SB_N2at6native12_GLOBAL__N_19CustomMinEEEEE10hipError_tPvRmT0_T1_jT2_SS_T4_T3_P12ihipStream_tbEUlT_E_NS1_11comp_targetILNS1_3genE3ELNS1_11target_archE908ELNS1_3gpuE7ELNS1_3repE0EEENS1_30default_config_static_selectorELNS0_4arch9wavefront6targetE0EEEvSR_
; %bb.0:
	.section	.rodata,"a",@progbits
	.p2align	6, 0x0
	.amdhsa_kernel _ZN7rocprim17ROCPRIM_400000_NS6detail17trampoline_kernelINS0_14default_configENS1_32segmented_reduce_config_selectorIN3c104HalfEEEZNS1_21segmented_reduce_implIS3_PKS6_PS6_PKlS6_N6hipcub16HIPCUB_304000_NS6detail27convert_result_type_wrapperISA_SB_N2at6native12_GLOBAL__N_19CustomMinEEEEE10hipError_tPvRmT0_T1_jT2_SS_T4_T3_P12ihipStream_tbEUlT_E_NS1_11comp_targetILNS1_3genE3ELNS1_11target_archE908ELNS1_3gpuE7ELNS1_3repE0EEENS1_30default_config_static_selectorELNS0_4arch9wavefront6targetE0EEEvSR_
		.amdhsa_group_segment_fixed_size 0
		.amdhsa_private_segment_fixed_size 0
		.amdhsa_kernarg_size 48
		.amdhsa_user_sgpr_count 6
		.amdhsa_user_sgpr_private_segment_buffer 1
		.amdhsa_user_sgpr_dispatch_ptr 0
		.amdhsa_user_sgpr_queue_ptr 0
		.amdhsa_user_sgpr_kernarg_segment_ptr 1
		.amdhsa_user_sgpr_dispatch_id 0
		.amdhsa_user_sgpr_flat_scratch_init 0
		.amdhsa_user_sgpr_private_segment_size 0
		.amdhsa_wavefront_size32 1
		.amdhsa_uses_dynamic_stack 0
		.amdhsa_system_sgpr_private_segment_wavefront_offset 0
		.amdhsa_system_sgpr_workgroup_id_x 1
		.amdhsa_system_sgpr_workgroup_id_y 0
		.amdhsa_system_sgpr_workgroup_id_z 0
		.amdhsa_system_sgpr_workgroup_info 0
		.amdhsa_system_vgpr_workitem_id 0
		.amdhsa_next_free_vgpr 1
		.amdhsa_next_free_sgpr 1
		.amdhsa_reserve_vcc 0
		.amdhsa_reserve_flat_scratch 0
		.amdhsa_float_round_mode_32 0
		.amdhsa_float_round_mode_16_64 0
		.amdhsa_float_denorm_mode_32 3
		.amdhsa_float_denorm_mode_16_64 3
		.amdhsa_dx10_clamp 1
		.amdhsa_ieee_mode 1
		.amdhsa_fp16_overflow 0
		.amdhsa_workgroup_processor_mode 1
		.amdhsa_memory_ordered 1
		.amdhsa_forward_progress 1
		.amdhsa_shared_vgpr_count 0
		.amdhsa_exception_fp_ieee_invalid_op 0
		.amdhsa_exception_fp_denorm_src 0
		.amdhsa_exception_fp_ieee_div_zero 0
		.amdhsa_exception_fp_ieee_overflow 0
		.amdhsa_exception_fp_ieee_underflow 0
		.amdhsa_exception_fp_ieee_inexact 0
		.amdhsa_exception_int_div_zero 0
	.end_amdhsa_kernel
	.section	.text._ZN7rocprim17ROCPRIM_400000_NS6detail17trampoline_kernelINS0_14default_configENS1_32segmented_reduce_config_selectorIN3c104HalfEEEZNS1_21segmented_reduce_implIS3_PKS6_PS6_PKlS6_N6hipcub16HIPCUB_304000_NS6detail27convert_result_type_wrapperISA_SB_N2at6native12_GLOBAL__N_19CustomMinEEEEE10hipError_tPvRmT0_T1_jT2_SS_T4_T3_P12ihipStream_tbEUlT_E_NS1_11comp_targetILNS1_3genE3ELNS1_11target_archE908ELNS1_3gpuE7ELNS1_3repE0EEENS1_30default_config_static_selectorELNS0_4arch9wavefront6targetE0EEEvSR_,"axG",@progbits,_ZN7rocprim17ROCPRIM_400000_NS6detail17trampoline_kernelINS0_14default_configENS1_32segmented_reduce_config_selectorIN3c104HalfEEEZNS1_21segmented_reduce_implIS3_PKS6_PS6_PKlS6_N6hipcub16HIPCUB_304000_NS6detail27convert_result_type_wrapperISA_SB_N2at6native12_GLOBAL__N_19CustomMinEEEEE10hipError_tPvRmT0_T1_jT2_SS_T4_T3_P12ihipStream_tbEUlT_E_NS1_11comp_targetILNS1_3genE3ELNS1_11target_archE908ELNS1_3gpuE7ELNS1_3repE0EEENS1_30default_config_static_selectorELNS0_4arch9wavefront6targetE0EEEvSR_,comdat
.Lfunc_end234:
	.size	_ZN7rocprim17ROCPRIM_400000_NS6detail17trampoline_kernelINS0_14default_configENS1_32segmented_reduce_config_selectorIN3c104HalfEEEZNS1_21segmented_reduce_implIS3_PKS6_PS6_PKlS6_N6hipcub16HIPCUB_304000_NS6detail27convert_result_type_wrapperISA_SB_N2at6native12_GLOBAL__N_19CustomMinEEEEE10hipError_tPvRmT0_T1_jT2_SS_T4_T3_P12ihipStream_tbEUlT_E_NS1_11comp_targetILNS1_3genE3ELNS1_11target_archE908ELNS1_3gpuE7ELNS1_3repE0EEENS1_30default_config_static_selectorELNS0_4arch9wavefront6targetE0EEEvSR_, .Lfunc_end234-_ZN7rocprim17ROCPRIM_400000_NS6detail17trampoline_kernelINS0_14default_configENS1_32segmented_reduce_config_selectorIN3c104HalfEEEZNS1_21segmented_reduce_implIS3_PKS6_PS6_PKlS6_N6hipcub16HIPCUB_304000_NS6detail27convert_result_type_wrapperISA_SB_N2at6native12_GLOBAL__N_19CustomMinEEEEE10hipError_tPvRmT0_T1_jT2_SS_T4_T3_P12ihipStream_tbEUlT_E_NS1_11comp_targetILNS1_3genE3ELNS1_11target_archE908ELNS1_3gpuE7ELNS1_3repE0EEENS1_30default_config_static_selectorELNS0_4arch9wavefront6targetE0EEEvSR_
                                        ; -- End function
	.set _ZN7rocprim17ROCPRIM_400000_NS6detail17trampoline_kernelINS0_14default_configENS1_32segmented_reduce_config_selectorIN3c104HalfEEEZNS1_21segmented_reduce_implIS3_PKS6_PS6_PKlS6_N6hipcub16HIPCUB_304000_NS6detail27convert_result_type_wrapperISA_SB_N2at6native12_GLOBAL__N_19CustomMinEEEEE10hipError_tPvRmT0_T1_jT2_SS_T4_T3_P12ihipStream_tbEUlT_E_NS1_11comp_targetILNS1_3genE3ELNS1_11target_archE908ELNS1_3gpuE7ELNS1_3repE0EEENS1_30default_config_static_selectorELNS0_4arch9wavefront6targetE0EEEvSR_.num_vgpr, 0
	.set _ZN7rocprim17ROCPRIM_400000_NS6detail17trampoline_kernelINS0_14default_configENS1_32segmented_reduce_config_selectorIN3c104HalfEEEZNS1_21segmented_reduce_implIS3_PKS6_PS6_PKlS6_N6hipcub16HIPCUB_304000_NS6detail27convert_result_type_wrapperISA_SB_N2at6native12_GLOBAL__N_19CustomMinEEEEE10hipError_tPvRmT0_T1_jT2_SS_T4_T3_P12ihipStream_tbEUlT_E_NS1_11comp_targetILNS1_3genE3ELNS1_11target_archE908ELNS1_3gpuE7ELNS1_3repE0EEENS1_30default_config_static_selectorELNS0_4arch9wavefront6targetE0EEEvSR_.num_agpr, 0
	.set _ZN7rocprim17ROCPRIM_400000_NS6detail17trampoline_kernelINS0_14default_configENS1_32segmented_reduce_config_selectorIN3c104HalfEEEZNS1_21segmented_reduce_implIS3_PKS6_PS6_PKlS6_N6hipcub16HIPCUB_304000_NS6detail27convert_result_type_wrapperISA_SB_N2at6native12_GLOBAL__N_19CustomMinEEEEE10hipError_tPvRmT0_T1_jT2_SS_T4_T3_P12ihipStream_tbEUlT_E_NS1_11comp_targetILNS1_3genE3ELNS1_11target_archE908ELNS1_3gpuE7ELNS1_3repE0EEENS1_30default_config_static_selectorELNS0_4arch9wavefront6targetE0EEEvSR_.numbered_sgpr, 0
	.set _ZN7rocprim17ROCPRIM_400000_NS6detail17trampoline_kernelINS0_14default_configENS1_32segmented_reduce_config_selectorIN3c104HalfEEEZNS1_21segmented_reduce_implIS3_PKS6_PS6_PKlS6_N6hipcub16HIPCUB_304000_NS6detail27convert_result_type_wrapperISA_SB_N2at6native12_GLOBAL__N_19CustomMinEEEEE10hipError_tPvRmT0_T1_jT2_SS_T4_T3_P12ihipStream_tbEUlT_E_NS1_11comp_targetILNS1_3genE3ELNS1_11target_archE908ELNS1_3gpuE7ELNS1_3repE0EEENS1_30default_config_static_selectorELNS0_4arch9wavefront6targetE0EEEvSR_.num_named_barrier, 0
	.set _ZN7rocprim17ROCPRIM_400000_NS6detail17trampoline_kernelINS0_14default_configENS1_32segmented_reduce_config_selectorIN3c104HalfEEEZNS1_21segmented_reduce_implIS3_PKS6_PS6_PKlS6_N6hipcub16HIPCUB_304000_NS6detail27convert_result_type_wrapperISA_SB_N2at6native12_GLOBAL__N_19CustomMinEEEEE10hipError_tPvRmT0_T1_jT2_SS_T4_T3_P12ihipStream_tbEUlT_E_NS1_11comp_targetILNS1_3genE3ELNS1_11target_archE908ELNS1_3gpuE7ELNS1_3repE0EEENS1_30default_config_static_selectorELNS0_4arch9wavefront6targetE0EEEvSR_.private_seg_size, 0
	.set _ZN7rocprim17ROCPRIM_400000_NS6detail17trampoline_kernelINS0_14default_configENS1_32segmented_reduce_config_selectorIN3c104HalfEEEZNS1_21segmented_reduce_implIS3_PKS6_PS6_PKlS6_N6hipcub16HIPCUB_304000_NS6detail27convert_result_type_wrapperISA_SB_N2at6native12_GLOBAL__N_19CustomMinEEEEE10hipError_tPvRmT0_T1_jT2_SS_T4_T3_P12ihipStream_tbEUlT_E_NS1_11comp_targetILNS1_3genE3ELNS1_11target_archE908ELNS1_3gpuE7ELNS1_3repE0EEENS1_30default_config_static_selectorELNS0_4arch9wavefront6targetE0EEEvSR_.uses_vcc, 0
	.set _ZN7rocprim17ROCPRIM_400000_NS6detail17trampoline_kernelINS0_14default_configENS1_32segmented_reduce_config_selectorIN3c104HalfEEEZNS1_21segmented_reduce_implIS3_PKS6_PS6_PKlS6_N6hipcub16HIPCUB_304000_NS6detail27convert_result_type_wrapperISA_SB_N2at6native12_GLOBAL__N_19CustomMinEEEEE10hipError_tPvRmT0_T1_jT2_SS_T4_T3_P12ihipStream_tbEUlT_E_NS1_11comp_targetILNS1_3genE3ELNS1_11target_archE908ELNS1_3gpuE7ELNS1_3repE0EEENS1_30default_config_static_selectorELNS0_4arch9wavefront6targetE0EEEvSR_.uses_flat_scratch, 0
	.set _ZN7rocprim17ROCPRIM_400000_NS6detail17trampoline_kernelINS0_14default_configENS1_32segmented_reduce_config_selectorIN3c104HalfEEEZNS1_21segmented_reduce_implIS3_PKS6_PS6_PKlS6_N6hipcub16HIPCUB_304000_NS6detail27convert_result_type_wrapperISA_SB_N2at6native12_GLOBAL__N_19CustomMinEEEEE10hipError_tPvRmT0_T1_jT2_SS_T4_T3_P12ihipStream_tbEUlT_E_NS1_11comp_targetILNS1_3genE3ELNS1_11target_archE908ELNS1_3gpuE7ELNS1_3repE0EEENS1_30default_config_static_selectorELNS0_4arch9wavefront6targetE0EEEvSR_.has_dyn_sized_stack, 0
	.set _ZN7rocprim17ROCPRIM_400000_NS6detail17trampoline_kernelINS0_14default_configENS1_32segmented_reduce_config_selectorIN3c104HalfEEEZNS1_21segmented_reduce_implIS3_PKS6_PS6_PKlS6_N6hipcub16HIPCUB_304000_NS6detail27convert_result_type_wrapperISA_SB_N2at6native12_GLOBAL__N_19CustomMinEEEEE10hipError_tPvRmT0_T1_jT2_SS_T4_T3_P12ihipStream_tbEUlT_E_NS1_11comp_targetILNS1_3genE3ELNS1_11target_archE908ELNS1_3gpuE7ELNS1_3repE0EEENS1_30default_config_static_selectorELNS0_4arch9wavefront6targetE0EEEvSR_.has_recursion, 0
	.set _ZN7rocprim17ROCPRIM_400000_NS6detail17trampoline_kernelINS0_14default_configENS1_32segmented_reduce_config_selectorIN3c104HalfEEEZNS1_21segmented_reduce_implIS3_PKS6_PS6_PKlS6_N6hipcub16HIPCUB_304000_NS6detail27convert_result_type_wrapperISA_SB_N2at6native12_GLOBAL__N_19CustomMinEEEEE10hipError_tPvRmT0_T1_jT2_SS_T4_T3_P12ihipStream_tbEUlT_E_NS1_11comp_targetILNS1_3genE3ELNS1_11target_archE908ELNS1_3gpuE7ELNS1_3repE0EEENS1_30default_config_static_selectorELNS0_4arch9wavefront6targetE0EEEvSR_.has_indirect_call, 0
	.section	.AMDGPU.csdata,"",@progbits
; Kernel info:
; codeLenInByte = 0
; TotalNumSgprs: 0
; NumVgprs: 0
; ScratchSize: 0
; MemoryBound: 0
; FloatMode: 240
; IeeeMode: 1
; LDSByteSize: 0 bytes/workgroup (compile time only)
; SGPRBlocks: 0
; VGPRBlocks: 0
; NumSGPRsForWavesPerEU: 1
; NumVGPRsForWavesPerEU: 1
; Occupancy: 16
; WaveLimiterHint : 0
; COMPUTE_PGM_RSRC2:SCRATCH_EN: 0
; COMPUTE_PGM_RSRC2:USER_SGPR: 6
; COMPUTE_PGM_RSRC2:TRAP_HANDLER: 0
; COMPUTE_PGM_RSRC2:TGID_X_EN: 1
; COMPUTE_PGM_RSRC2:TGID_Y_EN: 0
; COMPUTE_PGM_RSRC2:TGID_Z_EN: 0
; COMPUTE_PGM_RSRC2:TIDIG_COMP_CNT: 0
	.section	.text._ZN7rocprim17ROCPRIM_400000_NS6detail17trampoline_kernelINS0_14default_configENS1_32segmented_reduce_config_selectorIN3c104HalfEEEZNS1_21segmented_reduce_implIS3_PKS6_PS6_PKlS6_N6hipcub16HIPCUB_304000_NS6detail27convert_result_type_wrapperISA_SB_N2at6native12_GLOBAL__N_19CustomMinEEEEE10hipError_tPvRmT0_T1_jT2_SS_T4_T3_P12ihipStream_tbEUlT_E_NS1_11comp_targetILNS1_3genE2ELNS1_11target_archE906ELNS1_3gpuE6ELNS1_3repE0EEENS1_30default_config_static_selectorELNS0_4arch9wavefront6targetE0EEEvSR_,"axG",@progbits,_ZN7rocprim17ROCPRIM_400000_NS6detail17trampoline_kernelINS0_14default_configENS1_32segmented_reduce_config_selectorIN3c104HalfEEEZNS1_21segmented_reduce_implIS3_PKS6_PS6_PKlS6_N6hipcub16HIPCUB_304000_NS6detail27convert_result_type_wrapperISA_SB_N2at6native12_GLOBAL__N_19CustomMinEEEEE10hipError_tPvRmT0_T1_jT2_SS_T4_T3_P12ihipStream_tbEUlT_E_NS1_11comp_targetILNS1_3genE2ELNS1_11target_archE906ELNS1_3gpuE6ELNS1_3repE0EEENS1_30default_config_static_selectorELNS0_4arch9wavefront6targetE0EEEvSR_,comdat
	.globl	_ZN7rocprim17ROCPRIM_400000_NS6detail17trampoline_kernelINS0_14default_configENS1_32segmented_reduce_config_selectorIN3c104HalfEEEZNS1_21segmented_reduce_implIS3_PKS6_PS6_PKlS6_N6hipcub16HIPCUB_304000_NS6detail27convert_result_type_wrapperISA_SB_N2at6native12_GLOBAL__N_19CustomMinEEEEE10hipError_tPvRmT0_T1_jT2_SS_T4_T3_P12ihipStream_tbEUlT_E_NS1_11comp_targetILNS1_3genE2ELNS1_11target_archE906ELNS1_3gpuE6ELNS1_3repE0EEENS1_30default_config_static_selectorELNS0_4arch9wavefront6targetE0EEEvSR_ ; -- Begin function _ZN7rocprim17ROCPRIM_400000_NS6detail17trampoline_kernelINS0_14default_configENS1_32segmented_reduce_config_selectorIN3c104HalfEEEZNS1_21segmented_reduce_implIS3_PKS6_PS6_PKlS6_N6hipcub16HIPCUB_304000_NS6detail27convert_result_type_wrapperISA_SB_N2at6native12_GLOBAL__N_19CustomMinEEEEE10hipError_tPvRmT0_T1_jT2_SS_T4_T3_P12ihipStream_tbEUlT_E_NS1_11comp_targetILNS1_3genE2ELNS1_11target_archE906ELNS1_3gpuE6ELNS1_3repE0EEENS1_30default_config_static_selectorELNS0_4arch9wavefront6targetE0EEEvSR_
	.p2align	8
	.type	_ZN7rocprim17ROCPRIM_400000_NS6detail17trampoline_kernelINS0_14default_configENS1_32segmented_reduce_config_selectorIN3c104HalfEEEZNS1_21segmented_reduce_implIS3_PKS6_PS6_PKlS6_N6hipcub16HIPCUB_304000_NS6detail27convert_result_type_wrapperISA_SB_N2at6native12_GLOBAL__N_19CustomMinEEEEE10hipError_tPvRmT0_T1_jT2_SS_T4_T3_P12ihipStream_tbEUlT_E_NS1_11comp_targetILNS1_3genE2ELNS1_11target_archE906ELNS1_3gpuE6ELNS1_3repE0EEENS1_30default_config_static_selectorELNS0_4arch9wavefront6targetE0EEEvSR_,@function
_ZN7rocprim17ROCPRIM_400000_NS6detail17trampoline_kernelINS0_14default_configENS1_32segmented_reduce_config_selectorIN3c104HalfEEEZNS1_21segmented_reduce_implIS3_PKS6_PS6_PKlS6_N6hipcub16HIPCUB_304000_NS6detail27convert_result_type_wrapperISA_SB_N2at6native12_GLOBAL__N_19CustomMinEEEEE10hipError_tPvRmT0_T1_jT2_SS_T4_T3_P12ihipStream_tbEUlT_E_NS1_11comp_targetILNS1_3genE2ELNS1_11target_archE906ELNS1_3gpuE6ELNS1_3repE0EEENS1_30default_config_static_selectorELNS0_4arch9wavefront6targetE0EEEvSR_: ; @_ZN7rocprim17ROCPRIM_400000_NS6detail17trampoline_kernelINS0_14default_configENS1_32segmented_reduce_config_selectorIN3c104HalfEEEZNS1_21segmented_reduce_implIS3_PKS6_PS6_PKlS6_N6hipcub16HIPCUB_304000_NS6detail27convert_result_type_wrapperISA_SB_N2at6native12_GLOBAL__N_19CustomMinEEEEE10hipError_tPvRmT0_T1_jT2_SS_T4_T3_P12ihipStream_tbEUlT_E_NS1_11comp_targetILNS1_3genE2ELNS1_11target_archE906ELNS1_3gpuE6ELNS1_3repE0EEENS1_30default_config_static_selectorELNS0_4arch9wavefront6targetE0EEEvSR_
; %bb.0:
	.section	.rodata,"a",@progbits
	.p2align	6, 0x0
	.amdhsa_kernel _ZN7rocprim17ROCPRIM_400000_NS6detail17trampoline_kernelINS0_14default_configENS1_32segmented_reduce_config_selectorIN3c104HalfEEEZNS1_21segmented_reduce_implIS3_PKS6_PS6_PKlS6_N6hipcub16HIPCUB_304000_NS6detail27convert_result_type_wrapperISA_SB_N2at6native12_GLOBAL__N_19CustomMinEEEEE10hipError_tPvRmT0_T1_jT2_SS_T4_T3_P12ihipStream_tbEUlT_E_NS1_11comp_targetILNS1_3genE2ELNS1_11target_archE906ELNS1_3gpuE6ELNS1_3repE0EEENS1_30default_config_static_selectorELNS0_4arch9wavefront6targetE0EEEvSR_
		.amdhsa_group_segment_fixed_size 0
		.amdhsa_private_segment_fixed_size 0
		.amdhsa_kernarg_size 48
		.amdhsa_user_sgpr_count 6
		.amdhsa_user_sgpr_private_segment_buffer 1
		.amdhsa_user_sgpr_dispatch_ptr 0
		.amdhsa_user_sgpr_queue_ptr 0
		.amdhsa_user_sgpr_kernarg_segment_ptr 1
		.amdhsa_user_sgpr_dispatch_id 0
		.amdhsa_user_sgpr_flat_scratch_init 0
		.amdhsa_user_sgpr_private_segment_size 0
		.amdhsa_wavefront_size32 1
		.amdhsa_uses_dynamic_stack 0
		.amdhsa_system_sgpr_private_segment_wavefront_offset 0
		.amdhsa_system_sgpr_workgroup_id_x 1
		.amdhsa_system_sgpr_workgroup_id_y 0
		.amdhsa_system_sgpr_workgroup_id_z 0
		.amdhsa_system_sgpr_workgroup_info 0
		.amdhsa_system_vgpr_workitem_id 0
		.amdhsa_next_free_vgpr 1
		.amdhsa_next_free_sgpr 1
		.amdhsa_reserve_vcc 0
		.amdhsa_reserve_flat_scratch 0
		.amdhsa_float_round_mode_32 0
		.amdhsa_float_round_mode_16_64 0
		.amdhsa_float_denorm_mode_32 3
		.amdhsa_float_denorm_mode_16_64 3
		.amdhsa_dx10_clamp 1
		.amdhsa_ieee_mode 1
		.amdhsa_fp16_overflow 0
		.amdhsa_workgroup_processor_mode 1
		.amdhsa_memory_ordered 1
		.amdhsa_forward_progress 1
		.amdhsa_shared_vgpr_count 0
		.amdhsa_exception_fp_ieee_invalid_op 0
		.amdhsa_exception_fp_denorm_src 0
		.amdhsa_exception_fp_ieee_div_zero 0
		.amdhsa_exception_fp_ieee_overflow 0
		.amdhsa_exception_fp_ieee_underflow 0
		.amdhsa_exception_fp_ieee_inexact 0
		.amdhsa_exception_int_div_zero 0
	.end_amdhsa_kernel
	.section	.text._ZN7rocprim17ROCPRIM_400000_NS6detail17trampoline_kernelINS0_14default_configENS1_32segmented_reduce_config_selectorIN3c104HalfEEEZNS1_21segmented_reduce_implIS3_PKS6_PS6_PKlS6_N6hipcub16HIPCUB_304000_NS6detail27convert_result_type_wrapperISA_SB_N2at6native12_GLOBAL__N_19CustomMinEEEEE10hipError_tPvRmT0_T1_jT2_SS_T4_T3_P12ihipStream_tbEUlT_E_NS1_11comp_targetILNS1_3genE2ELNS1_11target_archE906ELNS1_3gpuE6ELNS1_3repE0EEENS1_30default_config_static_selectorELNS0_4arch9wavefront6targetE0EEEvSR_,"axG",@progbits,_ZN7rocprim17ROCPRIM_400000_NS6detail17trampoline_kernelINS0_14default_configENS1_32segmented_reduce_config_selectorIN3c104HalfEEEZNS1_21segmented_reduce_implIS3_PKS6_PS6_PKlS6_N6hipcub16HIPCUB_304000_NS6detail27convert_result_type_wrapperISA_SB_N2at6native12_GLOBAL__N_19CustomMinEEEEE10hipError_tPvRmT0_T1_jT2_SS_T4_T3_P12ihipStream_tbEUlT_E_NS1_11comp_targetILNS1_3genE2ELNS1_11target_archE906ELNS1_3gpuE6ELNS1_3repE0EEENS1_30default_config_static_selectorELNS0_4arch9wavefront6targetE0EEEvSR_,comdat
.Lfunc_end235:
	.size	_ZN7rocprim17ROCPRIM_400000_NS6detail17trampoline_kernelINS0_14default_configENS1_32segmented_reduce_config_selectorIN3c104HalfEEEZNS1_21segmented_reduce_implIS3_PKS6_PS6_PKlS6_N6hipcub16HIPCUB_304000_NS6detail27convert_result_type_wrapperISA_SB_N2at6native12_GLOBAL__N_19CustomMinEEEEE10hipError_tPvRmT0_T1_jT2_SS_T4_T3_P12ihipStream_tbEUlT_E_NS1_11comp_targetILNS1_3genE2ELNS1_11target_archE906ELNS1_3gpuE6ELNS1_3repE0EEENS1_30default_config_static_selectorELNS0_4arch9wavefront6targetE0EEEvSR_, .Lfunc_end235-_ZN7rocprim17ROCPRIM_400000_NS6detail17trampoline_kernelINS0_14default_configENS1_32segmented_reduce_config_selectorIN3c104HalfEEEZNS1_21segmented_reduce_implIS3_PKS6_PS6_PKlS6_N6hipcub16HIPCUB_304000_NS6detail27convert_result_type_wrapperISA_SB_N2at6native12_GLOBAL__N_19CustomMinEEEEE10hipError_tPvRmT0_T1_jT2_SS_T4_T3_P12ihipStream_tbEUlT_E_NS1_11comp_targetILNS1_3genE2ELNS1_11target_archE906ELNS1_3gpuE6ELNS1_3repE0EEENS1_30default_config_static_selectorELNS0_4arch9wavefront6targetE0EEEvSR_
                                        ; -- End function
	.set _ZN7rocprim17ROCPRIM_400000_NS6detail17trampoline_kernelINS0_14default_configENS1_32segmented_reduce_config_selectorIN3c104HalfEEEZNS1_21segmented_reduce_implIS3_PKS6_PS6_PKlS6_N6hipcub16HIPCUB_304000_NS6detail27convert_result_type_wrapperISA_SB_N2at6native12_GLOBAL__N_19CustomMinEEEEE10hipError_tPvRmT0_T1_jT2_SS_T4_T3_P12ihipStream_tbEUlT_E_NS1_11comp_targetILNS1_3genE2ELNS1_11target_archE906ELNS1_3gpuE6ELNS1_3repE0EEENS1_30default_config_static_selectorELNS0_4arch9wavefront6targetE0EEEvSR_.num_vgpr, 0
	.set _ZN7rocprim17ROCPRIM_400000_NS6detail17trampoline_kernelINS0_14default_configENS1_32segmented_reduce_config_selectorIN3c104HalfEEEZNS1_21segmented_reduce_implIS3_PKS6_PS6_PKlS6_N6hipcub16HIPCUB_304000_NS6detail27convert_result_type_wrapperISA_SB_N2at6native12_GLOBAL__N_19CustomMinEEEEE10hipError_tPvRmT0_T1_jT2_SS_T4_T3_P12ihipStream_tbEUlT_E_NS1_11comp_targetILNS1_3genE2ELNS1_11target_archE906ELNS1_3gpuE6ELNS1_3repE0EEENS1_30default_config_static_selectorELNS0_4arch9wavefront6targetE0EEEvSR_.num_agpr, 0
	.set _ZN7rocprim17ROCPRIM_400000_NS6detail17trampoline_kernelINS0_14default_configENS1_32segmented_reduce_config_selectorIN3c104HalfEEEZNS1_21segmented_reduce_implIS3_PKS6_PS6_PKlS6_N6hipcub16HIPCUB_304000_NS6detail27convert_result_type_wrapperISA_SB_N2at6native12_GLOBAL__N_19CustomMinEEEEE10hipError_tPvRmT0_T1_jT2_SS_T4_T3_P12ihipStream_tbEUlT_E_NS1_11comp_targetILNS1_3genE2ELNS1_11target_archE906ELNS1_3gpuE6ELNS1_3repE0EEENS1_30default_config_static_selectorELNS0_4arch9wavefront6targetE0EEEvSR_.numbered_sgpr, 0
	.set _ZN7rocprim17ROCPRIM_400000_NS6detail17trampoline_kernelINS0_14default_configENS1_32segmented_reduce_config_selectorIN3c104HalfEEEZNS1_21segmented_reduce_implIS3_PKS6_PS6_PKlS6_N6hipcub16HIPCUB_304000_NS6detail27convert_result_type_wrapperISA_SB_N2at6native12_GLOBAL__N_19CustomMinEEEEE10hipError_tPvRmT0_T1_jT2_SS_T4_T3_P12ihipStream_tbEUlT_E_NS1_11comp_targetILNS1_3genE2ELNS1_11target_archE906ELNS1_3gpuE6ELNS1_3repE0EEENS1_30default_config_static_selectorELNS0_4arch9wavefront6targetE0EEEvSR_.num_named_barrier, 0
	.set _ZN7rocprim17ROCPRIM_400000_NS6detail17trampoline_kernelINS0_14default_configENS1_32segmented_reduce_config_selectorIN3c104HalfEEEZNS1_21segmented_reduce_implIS3_PKS6_PS6_PKlS6_N6hipcub16HIPCUB_304000_NS6detail27convert_result_type_wrapperISA_SB_N2at6native12_GLOBAL__N_19CustomMinEEEEE10hipError_tPvRmT0_T1_jT2_SS_T4_T3_P12ihipStream_tbEUlT_E_NS1_11comp_targetILNS1_3genE2ELNS1_11target_archE906ELNS1_3gpuE6ELNS1_3repE0EEENS1_30default_config_static_selectorELNS0_4arch9wavefront6targetE0EEEvSR_.private_seg_size, 0
	.set _ZN7rocprim17ROCPRIM_400000_NS6detail17trampoline_kernelINS0_14default_configENS1_32segmented_reduce_config_selectorIN3c104HalfEEEZNS1_21segmented_reduce_implIS3_PKS6_PS6_PKlS6_N6hipcub16HIPCUB_304000_NS6detail27convert_result_type_wrapperISA_SB_N2at6native12_GLOBAL__N_19CustomMinEEEEE10hipError_tPvRmT0_T1_jT2_SS_T4_T3_P12ihipStream_tbEUlT_E_NS1_11comp_targetILNS1_3genE2ELNS1_11target_archE906ELNS1_3gpuE6ELNS1_3repE0EEENS1_30default_config_static_selectorELNS0_4arch9wavefront6targetE0EEEvSR_.uses_vcc, 0
	.set _ZN7rocprim17ROCPRIM_400000_NS6detail17trampoline_kernelINS0_14default_configENS1_32segmented_reduce_config_selectorIN3c104HalfEEEZNS1_21segmented_reduce_implIS3_PKS6_PS6_PKlS6_N6hipcub16HIPCUB_304000_NS6detail27convert_result_type_wrapperISA_SB_N2at6native12_GLOBAL__N_19CustomMinEEEEE10hipError_tPvRmT0_T1_jT2_SS_T4_T3_P12ihipStream_tbEUlT_E_NS1_11comp_targetILNS1_3genE2ELNS1_11target_archE906ELNS1_3gpuE6ELNS1_3repE0EEENS1_30default_config_static_selectorELNS0_4arch9wavefront6targetE0EEEvSR_.uses_flat_scratch, 0
	.set _ZN7rocprim17ROCPRIM_400000_NS6detail17trampoline_kernelINS0_14default_configENS1_32segmented_reduce_config_selectorIN3c104HalfEEEZNS1_21segmented_reduce_implIS3_PKS6_PS6_PKlS6_N6hipcub16HIPCUB_304000_NS6detail27convert_result_type_wrapperISA_SB_N2at6native12_GLOBAL__N_19CustomMinEEEEE10hipError_tPvRmT0_T1_jT2_SS_T4_T3_P12ihipStream_tbEUlT_E_NS1_11comp_targetILNS1_3genE2ELNS1_11target_archE906ELNS1_3gpuE6ELNS1_3repE0EEENS1_30default_config_static_selectorELNS0_4arch9wavefront6targetE0EEEvSR_.has_dyn_sized_stack, 0
	.set _ZN7rocprim17ROCPRIM_400000_NS6detail17trampoline_kernelINS0_14default_configENS1_32segmented_reduce_config_selectorIN3c104HalfEEEZNS1_21segmented_reduce_implIS3_PKS6_PS6_PKlS6_N6hipcub16HIPCUB_304000_NS6detail27convert_result_type_wrapperISA_SB_N2at6native12_GLOBAL__N_19CustomMinEEEEE10hipError_tPvRmT0_T1_jT2_SS_T4_T3_P12ihipStream_tbEUlT_E_NS1_11comp_targetILNS1_3genE2ELNS1_11target_archE906ELNS1_3gpuE6ELNS1_3repE0EEENS1_30default_config_static_selectorELNS0_4arch9wavefront6targetE0EEEvSR_.has_recursion, 0
	.set _ZN7rocprim17ROCPRIM_400000_NS6detail17trampoline_kernelINS0_14default_configENS1_32segmented_reduce_config_selectorIN3c104HalfEEEZNS1_21segmented_reduce_implIS3_PKS6_PS6_PKlS6_N6hipcub16HIPCUB_304000_NS6detail27convert_result_type_wrapperISA_SB_N2at6native12_GLOBAL__N_19CustomMinEEEEE10hipError_tPvRmT0_T1_jT2_SS_T4_T3_P12ihipStream_tbEUlT_E_NS1_11comp_targetILNS1_3genE2ELNS1_11target_archE906ELNS1_3gpuE6ELNS1_3repE0EEENS1_30default_config_static_selectorELNS0_4arch9wavefront6targetE0EEEvSR_.has_indirect_call, 0
	.section	.AMDGPU.csdata,"",@progbits
; Kernel info:
; codeLenInByte = 0
; TotalNumSgprs: 0
; NumVgprs: 0
; ScratchSize: 0
; MemoryBound: 0
; FloatMode: 240
; IeeeMode: 1
; LDSByteSize: 0 bytes/workgroup (compile time only)
; SGPRBlocks: 0
; VGPRBlocks: 0
; NumSGPRsForWavesPerEU: 1
; NumVGPRsForWavesPerEU: 1
; Occupancy: 16
; WaveLimiterHint : 0
; COMPUTE_PGM_RSRC2:SCRATCH_EN: 0
; COMPUTE_PGM_RSRC2:USER_SGPR: 6
; COMPUTE_PGM_RSRC2:TRAP_HANDLER: 0
; COMPUTE_PGM_RSRC2:TGID_X_EN: 1
; COMPUTE_PGM_RSRC2:TGID_Y_EN: 0
; COMPUTE_PGM_RSRC2:TGID_Z_EN: 0
; COMPUTE_PGM_RSRC2:TIDIG_COMP_CNT: 0
	.section	.text._ZN7rocprim17ROCPRIM_400000_NS6detail17trampoline_kernelINS0_14default_configENS1_32segmented_reduce_config_selectorIN3c104HalfEEEZNS1_21segmented_reduce_implIS3_PKS6_PS6_PKlS6_N6hipcub16HIPCUB_304000_NS6detail27convert_result_type_wrapperISA_SB_N2at6native12_GLOBAL__N_19CustomMinEEEEE10hipError_tPvRmT0_T1_jT2_SS_T4_T3_P12ihipStream_tbEUlT_E_NS1_11comp_targetILNS1_3genE9ELNS1_11target_archE1100ELNS1_3gpuE3ELNS1_3repE0EEENS1_30default_config_static_selectorELNS0_4arch9wavefront6targetE0EEEvSR_,"axG",@progbits,_ZN7rocprim17ROCPRIM_400000_NS6detail17trampoline_kernelINS0_14default_configENS1_32segmented_reduce_config_selectorIN3c104HalfEEEZNS1_21segmented_reduce_implIS3_PKS6_PS6_PKlS6_N6hipcub16HIPCUB_304000_NS6detail27convert_result_type_wrapperISA_SB_N2at6native12_GLOBAL__N_19CustomMinEEEEE10hipError_tPvRmT0_T1_jT2_SS_T4_T3_P12ihipStream_tbEUlT_E_NS1_11comp_targetILNS1_3genE9ELNS1_11target_archE1100ELNS1_3gpuE3ELNS1_3repE0EEENS1_30default_config_static_selectorELNS0_4arch9wavefront6targetE0EEEvSR_,comdat
	.globl	_ZN7rocprim17ROCPRIM_400000_NS6detail17trampoline_kernelINS0_14default_configENS1_32segmented_reduce_config_selectorIN3c104HalfEEEZNS1_21segmented_reduce_implIS3_PKS6_PS6_PKlS6_N6hipcub16HIPCUB_304000_NS6detail27convert_result_type_wrapperISA_SB_N2at6native12_GLOBAL__N_19CustomMinEEEEE10hipError_tPvRmT0_T1_jT2_SS_T4_T3_P12ihipStream_tbEUlT_E_NS1_11comp_targetILNS1_3genE9ELNS1_11target_archE1100ELNS1_3gpuE3ELNS1_3repE0EEENS1_30default_config_static_selectorELNS0_4arch9wavefront6targetE0EEEvSR_ ; -- Begin function _ZN7rocprim17ROCPRIM_400000_NS6detail17trampoline_kernelINS0_14default_configENS1_32segmented_reduce_config_selectorIN3c104HalfEEEZNS1_21segmented_reduce_implIS3_PKS6_PS6_PKlS6_N6hipcub16HIPCUB_304000_NS6detail27convert_result_type_wrapperISA_SB_N2at6native12_GLOBAL__N_19CustomMinEEEEE10hipError_tPvRmT0_T1_jT2_SS_T4_T3_P12ihipStream_tbEUlT_E_NS1_11comp_targetILNS1_3genE9ELNS1_11target_archE1100ELNS1_3gpuE3ELNS1_3repE0EEENS1_30default_config_static_selectorELNS0_4arch9wavefront6targetE0EEEvSR_
	.p2align	8
	.type	_ZN7rocprim17ROCPRIM_400000_NS6detail17trampoline_kernelINS0_14default_configENS1_32segmented_reduce_config_selectorIN3c104HalfEEEZNS1_21segmented_reduce_implIS3_PKS6_PS6_PKlS6_N6hipcub16HIPCUB_304000_NS6detail27convert_result_type_wrapperISA_SB_N2at6native12_GLOBAL__N_19CustomMinEEEEE10hipError_tPvRmT0_T1_jT2_SS_T4_T3_P12ihipStream_tbEUlT_E_NS1_11comp_targetILNS1_3genE9ELNS1_11target_archE1100ELNS1_3gpuE3ELNS1_3repE0EEENS1_30default_config_static_selectorELNS0_4arch9wavefront6targetE0EEEvSR_,@function
_ZN7rocprim17ROCPRIM_400000_NS6detail17trampoline_kernelINS0_14default_configENS1_32segmented_reduce_config_selectorIN3c104HalfEEEZNS1_21segmented_reduce_implIS3_PKS6_PS6_PKlS6_N6hipcub16HIPCUB_304000_NS6detail27convert_result_type_wrapperISA_SB_N2at6native12_GLOBAL__N_19CustomMinEEEEE10hipError_tPvRmT0_T1_jT2_SS_T4_T3_P12ihipStream_tbEUlT_E_NS1_11comp_targetILNS1_3genE9ELNS1_11target_archE1100ELNS1_3gpuE3ELNS1_3repE0EEENS1_30default_config_static_selectorELNS0_4arch9wavefront6targetE0EEEvSR_: ; @_ZN7rocprim17ROCPRIM_400000_NS6detail17trampoline_kernelINS0_14default_configENS1_32segmented_reduce_config_selectorIN3c104HalfEEEZNS1_21segmented_reduce_implIS3_PKS6_PS6_PKlS6_N6hipcub16HIPCUB_304000_NS6detail27convert_result_type_wrapperISA_SB_N2at6native12_GLOBAL__N_19CustomMinEEEEE10hipError_tPvRmT0_T1_jT2_SS_T4_T3_P12ihipStream_tbEUlT_E_NS1_11comp_targetILNS1_3genE9ELNS1_11target_archE1100ELNS1_3gpuE3ELNS1_3repE0EEENS1_30default_config_static_selectorELNS0_4arch9wavefront6targetE0EEEvSR_
; %bb.0:
	.section	.rodata,"a",@progbits
	.p2align	6, 0x0
	.amdhsa_kernel _ZN7rocprim17ROCPRIM_400000_NS6detail17trampoline_kernelINS0_14default_configENS1_32segmented_reduce_config_selectorIN3c104HalfEEEZNS1_21segmented_reduce_implIS3_PKS6_PS6_PKlS6_N6hipcub16HIPCUB_304000_NS6detail27convert_result_type_wrapperISA_SB_N2at6native12_GLOBAL__N_19CustomMinEEEEE10hipError_tPvRmT0_T1_jT2_SS_T4_T3_P12ihipStream_tbEUlT_E_NS1_11comp_targetILNS1_3genE9ELNS1_11target_archE1100ELNS1_3gpuE3ELNS1_3repE0EEENS1_30default_config_static_selectorELNS0_4arch9wavefront6targetE0EEEvSR_
		.amdhsa_group_segment_fixed_size 0
		.amdhsa_private_segment_fixed_size 0
		.amdhsa_kernarg_size 48
		.amdhsa_user_sgpr_count 6
		.amdhsa_user_sgpr_private_segment_buffer 1
		.amdhsa_user_sgpr_dispatch_ptr 0
		.amdhsa_user_sgpr_queue_ptr 0
		.amdhsa_user_sgpr_kernarg_segment_ptr 1
		.amdhsa_user_sgpr_dispatch_id 0
		.amdhsa_user_sgpr_flat_scratch_init 0
		.amdhsa_user_sgpr_private_segment_size 0
		.amdhsa_wavefront_size32 1
		.amdhsa_uses_dynamic_stack 0
		.amdhsa_system_sgpr_private_segment_wavefront_offset 0
		.amdhsa_system_sgpr_workgroup_id_x 1
		.amdhsa_system_sgpr_workgroup_id_y 0
		.amdhsa_system_sgpr_workgroup_id_z 0
		.amdhsa_system_sgpr_workgroup_info 0
		.amdhsa_system_vgpr_workitem_id 0
		.amdhsa_next_free_vgpr 1
		.amdhsa_next_free_sgpr 1
		.amdhsa_reserve_vcc 0
		.amdhsa_reserve_flat_scratch 0
		.amdhsa_float_round_mode_32 0
		.amdhsa_float_round_mode_16_64 0
		.amdhsa_float_denorm_mode_32 3
		.amdhsa_float_denorm_mode_16_64 3
		.amdhsa_dx10_clamp 1
		.amdhsa_ieee_mode 1
		.amdhsa_fp16_overflow 0
		.amdhsa_workgroup_processor_mode 1
		.amdhsa_memory_ordered 1
		.amdhsa_forward_progress 1
		.amdhsa_shared_vgpr_count 0
		.amdhsa_exception_fp_ieee_invalid_op 0
		.amdhsa_exception_fp_denorm_src 0
		.amdhsa_exception_fp_ieee_div_zero 0
		.amdhsa_exception_fp_ieee_overflow 0
		.amdhsa_exception_fp_ieee_underflow 0
		.amdhsa_exception_fp_ieee_inexact 0
		.amdhsa_exception_int_div_zero 0
	.end_amdhsa_kernel
	.section	.text._ZN7rocprim17ROCPRIM_400000_NS6detail17trampoline_kernelINS0_14default_configENS1_32segmented_reduce_config_selectorIN3c104HalfEEEZNS1_21segmented_reduce_implIS3_PKS6_PS6_PKlS6_N6hipcub16HIPCUB_304000_NS6detail27convert_result_type_wrapperISA_SB_N2at6native12_GLOBAL__N_19CustomMinEEEEE10hipError_tPvRmT0_T1_jT2_SS_T4_T3_P12ihipStream_tbEUlT_E_NS1_11comp_targetILNS1_3genE9ELNS1_11target_archE1100ELNS1_3gpuE3ELNS1_3repE0EEENS1_30default_config_static_selectorELNS0_4arch9wavefront6targetE0EEEvSR_,"axG",@progbits,_ZN7rocprim17ROCPRIM_400000_NS6detail17trampoline_kernelINS0_14default_configENS1_32segmented_reduce_config_selectorIN3c104HalfEEEZNS1_21segmented_reduce_implIS3_PKS6_PS6_PKlS6_N6hipcub16HIPCUB_304000_NS6detail27convert_result_type_wrapperISA_SB_N2at6native12_GLOBAL__N_19CustomMinEEEEE10hipError_tPvRmT0_T1_jT2_SS_T4_T3_P12ihipStream_tbEUlT_E_NS1_11comp_targetILNS1_3genE9ELNS1_11target_archE1100ELNS1_3gpuE3ELNS1_3repE0EEENS1_30default_config_static_selectorELNS0_4arch9wavefront6targetE0EEEvSR_,comdat
.Lfunc_end236:
	.size	_ZN7rocprim17ROCPRIM_400000_NS6detail17trampoline_kernelINS0_14default_configENS1_32segmented_reduce_config_selectorIN3c104HalfEEEZNS1_21segmented_reduce_implIS3_PKS6_PS6_PKlS6_N6hipcub16HIPCUB_304000_NS6detail27convert_result_type_wrapperISA_SB_N2at6native12_GLOBAL__N_19CustomMinEEEEE10hipError_tPvRmT0_T1_jT2_SS_T4_T3_P12ihipStream_tbEUlT_E_NS1_11comp_targetILNS1_3genE9ELNS1_11target_archE1100ELNS1_3gpuE3ELNS1_3repE0EEENS1_30default_config_static_selectorELNS0_4arch9wavefront6targetE0EEEvSR_, .Lfunc_end236-_ZN7rocprim17ROCPRIM_400000_NS6detail17trampoline_kernelINS0_14default_configENS1_32segmented_reduce_config_selectorIN3c104HalfEEEZNS1_21segmented_reduce_implIS3_PKS6_PS6_PKlS6_N6hipcub16HIPCUB_304000_NS6detail27convert_result_type_wrapperISA_SB_N2at6native12_GLOBAL__N_19CustomMinEEEEE10hipError_tPvRmT0_T1_jT2_SS_T4_T3_P12ihipStream_tbEUlT_E_NS1_11comp_targetILNS1_3genE9ELNS1_11target_archE1100ELNS1_3gpuE3ELNS1_3repE0EEENS1_30default_config_static_selectorELNS0_4arch9wavefront6targetE0EEEvSR_
                                        ; -- End function
	.set _ZN7rocprim17ROCPRIM_400000_NS6detail17trampoline_kernelINS0_14default_configENS1_32segmented_reduce_config_selectorIN3c104HalfEEEZNS1_21segmented_reduce_implIS3_PKS6_PS6_PKlS6_N6hipcub16HIPCUB_304000_NS6detail27convert_result_type_wrapperISA_SB_N2at6native12_GLOBAL__N_19CustomMinEEEEE10hipError_tPvRmT0_T1_jT2_SS_T4_T3_P12ihipStream_tbEUlT_E_NS1_11comp_targetILNS1_3genE9ELNS1_11target_archE1100ELNS1_3gpuE3ELNS1_3repE0EEENS1_30default_config_static_selectorELNS0_4arch9wavefront6targetE0EEEvSR_.num_vgpr, 0
	.set _ZN7rocprim17ROCPRIM_400000_NS6detail17trampoline_kernelINS0_14default_configENS1_32segmented_reduce_config_selectorIN3c104HalfEEEZNS1_21segmented_reduce_implIS3_PKS6_PS6_PKlS6_N6hipcub16HIPCUB_304000_NS6detail27convert_result_type_wrapperISA_SB_N2at6native12_GLOBAL__N_19CustomMinEEEEE10hipError_tPvRmT0_T1_jT2_SS_T4_T3_P12ihipStream_tbEUlT_E_NS1_11comp_targetILNS1_3genE9ELNS1_11target_archE1100ELNS1_3gpuE3ELNS1_3repE0EEENS1_30default_config_static_selectorELNS0_4arch9wavefront6targetE0EEEvSR_.num_agpr, 0
	.set _ZN7rocprim17ROCPRIM_400000_NS6detail17trampoline_kernelINS0_14default_configENS1_32segmented_reduce_config_selectorIN3c104HalfEEEZNS1_21segmented_reduce_implIS3_PKS6_PS6_PKlS6_N6hipcub16HIPCUB_304000_NS6detail27convert_result_type_wrapperISA_SB_N2at6native12_GLOBAL__N_19CustomMinEEEEE10hipError_tPvRmT0_T1_jT2_SS_T4_T3_P12ihipStream_tbEUlT_E_NS1_11comp_targetILNS1_3genE9ELNS1_11target_archE1100ELNS1_3gpuE3ELNS1_3repE0EEENS1_30default_config_static_selectorELNS0_4arch9wavefront6targetE0EEEvSR_.numbered_sgpr, 0
	.set _ZN7rocprim17ROCPRIM_400000_NS6detail17trampoline_kernelINS0_14default_configENS1_32segmented_reduce_config_selectorIN3c104HalfEEEZNS1_21segmented_reduce_implIS3_PKS6_PS6_PKlS6_N6hipcub16HIPCUB_304000_NS6detail27convert_result_type_wrapperISA_SB_N2at6native12_GLOBAL__N_19CustomMinEEEEE10hipError_tPvRmT0_T1_jT2_SS_T4_T3_P12ihipStream_tbEUlT_E_NS1_11comp_targetILNS1_3genE9ELNS1_11target_archE1100ELNS1_3gpuE3ELNS1_3repE0EEENS1_30default_config_static_selectorELNS0_4arch9wavefront6targetE0EEEvSR_.num_named_barrier, 0
	.set _ZN7rocprim17ROCPRIM_400000_NS6detail17trampoline_kernelINS0_14default_configENS1_32segmented_reduce_config_selectorIN3c104HalfEEEZNS1_21segmented_reduce_implIS3_PKS6_PS6_PKlS6_N6hipcub16HIPCUB_304000_NS6detail27convert_result_type_wrapperISA_SB_N2at6native12_GLOBAL__N_19CustomMinEEEEE10hipError_tPvRmT0_T1_jT2_SS_T4_T3_P12ihipStream_tbEUlT_E_NS1_11comp_targetILNS1_3genE9ELNS1_11target_archE1100ELNS1_3gpuE3ELNS1_3repE0EEENS1_30default_config_static_selectorELNS0_4arch9wavefront6targetE0EEEvSR_.private_seg_size, 0
	.set _ZN7rocprim17ROCPRIM_400000_NS6detail17trampoline_kernelINS0_14default_configENS1_32segmented_reduce_config_selectorIN3c104HalfEEEZNS1_21segmented_reduce_implIS3_PKS6_PS6_PKlS6_N6hipcub16HIPCUB_304000_NS6detail27convert_result_type_wrapperISA_SB_N2at6native12_GLOBAL__N_19CustomMinEEEEE10hipError_tPvRmT0_T1_jT2_SS_T4_T3_P12ihipStream_tbEUlT_E_NS1_11comp_targetILNS1_3genE9ELNS1_11target_archE1100ELNS1_3gpuE3ELNS1_3repE0EEENS1_30default_config_static_selectorELNS0_4arch9wavefront6targetE0EEEvSR_.uses_vcc, 0
	.set _ZN7rocprim17ROCPRIM_400000_NS6detail17trampoline_kernelINS0_14default_configENS1_32segmented_reduce_config_selectorIN3c104HalfEEEZNS1_21segmented_reduce_implIS3_PKS6_PS6_PKlS6_N6hipcub16HIPCUB_304000_NS6detail27convert_result_type_wrapperISA_SB_N2at6native12_GLOBAL__N_19CustomMinEEEEE10hipError_tPvRmT0_T1_jT2_SS_T4_T3_P12ihipStream_tbEUlT_E_NS1_11comp_targetILNS1_3genE9ELNS1_11target_archE1100ELNS1_3gpuE3ELNS1_3repE0EEENS1_30default_config_static_selectorELNS0_4arch9wavefront6targetE0EEEvSR_.uses_flat_scratch, 0
	.set _ZN7rocprim17ROCPRIM_400000_NS6detail17trampoline_kernelINS0_14default_configENS1_32segmented_reduce_config_selectorIN3c104HalfEEEZNS1_21segmented_reduce_implIS3_PKS6_PS6_PKlS6_N6hipcub16HIPCUB_304000_NS6detail27convert_result_type_wrapperISA_SB_N2at6native12_GLOBAL__N_19CustomMinEEEEE10hipError_tPvRmT0_T1_jT2_SS_T4_T3_P12ihipStream_tbEUlT_E_NS1_11comp_targetILNS1_3genE9ELNS1_11target_archE1100ELNS1_3gpuE3ELNS1_3repE0EEENS1_30default_config_static_selectorELNS0_4arch9wavefront6targetE0EEEvSR_.has_dyn_sized_stack, 0
	.set _ZN7rocprim17ROCPRIM_400000_NS6detail17trampoline_kernelINS0_14default_configENS1_32segmented_reduce_config_selectorIN3c104HalfEEEZNS1_21segmented_reduce_implIS3_PKS6_PS6_PKlS6_N6hipcub16HIPCUB_304000_NS6detail27convert_result_type_wrapperISA_SB_N2at6native12_GLOBAL__N_19CustomMinEEEEE10hipError_tPvRmT0_T1_jT2_SS_T4_T3_P12ihipStream_tbEUlT_E_NS1_11comp_targetILNS1_3genE9ELNS1_11target_archE1100ELNS1_3gpuE3ELNS1_3repE0EEENS1_30default_config_static_selectorELNS0_4arch9wavefront6targetE0EEEvSR_.has_recursion, 0
	.set _ZN7rocprim17ROCPRIM_400000_NS6detail17trampoline_kernelINS0_14default_configENS1_32segmented_reduce_config_selectorIN3c104HalfEEEZNS1_21segmented_reduce_implIS3_PKS6_PS6_PKlS6_N6hipcub16HIPCUB_304000_NS6detail27convert_result_type_wrapperISA_SB_N2at6native12_GLOBAL__N_19CustomMinEEEEE10hipError_tPvRmT0_T1_jT2_SS_T4_T3_P12ihipStream_tbEUlT_E_NS1_11comp_targetILNS1_3genE9ELNS1_11target_archE1100ELNS1_3gpuE3ELNS1_3repE0EEENS1_30default_config_static_selectorELNS0_4arch9wavefront6targetE0EEEvSR_.has_indirect_call, 0
	.section	.AMDGPU.csdata,"",@progbits
; Kernel info:
; codeLenInByte = 0
; TotalNumSgprs: 0
; NumVgprs: 0
; ScratchSize: 0
; MemoryBound: 0
; FloatMode: 240
; IeeeMode: 1
; LDSByteSize: 0 bytes/workgroup (compile time only)
; SGPRBlocks: 0
; VGPRBlocks: 0
; NumSGPRsForWavesPerEU: 1
; NumVGPRsForWavesPerEU: 1
; Occupancy: 16
; WaveLimiterHint : 0
; COMPUTE_PGM_RSRC2:SCRATCH_EN: 0
; COMPUTE_PGM_RSRC2:USER_SGPR: 6
; COMPUTE_PGM_RSRC2:TRAP_HANDLER: 0
; COMPUTE_PGM_RSRC2:TGID_X_EN: 1
; COMPUTE_PGM_RSRC2:TGID_Y_EN: 0
; COMPUTE_PGM_RSRC2:TGID_Z_EN: 0
; COMPUTE_PGM_RSRC2:TIDIG_COMP_CNT: 0
	.section	.text._ZN7rocprim17ROCPRIM_400000_NS6detail17trampoline_kernelINS0_14default_configENS1_32segmented_reduce_config_selectorIN3c104HalfEEEZNS1_21segmented_reduce_implIS3_PKS6_PS6_PKlS6_N6hipcub16HIPCUB_304000_NS6detail27convert_result_type_wrapperISA_SB_N2at6native12_GLOBAL__N_19CustomMinEEEEE10hipError_tPvRmT0_T1_jT2_SS_T4_T3_P12ihipStream_tbEUlT_E_NS1_11comp_targetILNS1_3genE8ELNS1_11target_archE1030ELNS1_3gpuE2ELNS1_3repE0EEENS1_30default_config_static_selectorELNS0_4arch9wavefront6targetE0EEEvSR_,"axG",@progbits,_ZN7rocprim17ROCPRIM_400000_NS6detail17trampoline_kernelINS0_14default_configENS1_32segmented_reduce_config_selectorIN3c104HalfEEEZNS1_21segmented_reduce_implIS3_PKS6_PS6_PKlS6_N6hipcub16HIPCUB_304000_NS6detail27convert_result_type_wrapperISA_SB_N2at6native12_GLOBAL__N_19CustomMinEEEEE10hipError_tPvRmT0_T1_jT2_SS_T4_T3_P12ihipStream_tbEUlT_E_NS1_11comp_targetILNS1_3genE8ELNS1_11target_archE1030ELNS1_3gpuE2ELNS1_3repE0EEENS1_30default_config_static_selectorELNS0_4arch9wavefront6targetE0EEEvSR_,comdat
	.globl	_ZN7rocprim17ROCPRIM_400000_NS6detail17trampoline_kernelINS0_14default_configENS1_32segmented_reduce_config_selectorIN3c104HalfEEEZNS1_21segmented_reduce_implIS3_PKS6_PS6_PKlS6_N6hipcub16HIPCUB_304000_NS6detail27convert_result_type_wrapperISA_SB_N2at6native12_GLOBAL__N_19CustomMinEEEEE10hipError_tPvRmT0_T1_jT2_SS_T4_T3_P12ihipStream_tbEUlT_E_NS1_11comp_targetILNS1_3genE8ELNS1_11target_archE1030ELNS1_3gpuE2ELNS1_3repE0EEENS1_30default_config_static_selectorELNS0_4arch9wavefront6targetE0EEEvSR_ ; -- Begin function _ZN7rocprim17ROCPRIM_400000_NS6detail17trampoline_kernelINS0_14default_configENS1_32segmented_reduce_config_selectorIN3c104HalfEEEZNS1_21segmented_reduce_implIS3_PKS6_PS6_PKlS6_N6hipcub16HIPCUB_304000_NS6detail27convert_result_type_wrapperISA_SB_N2at6native12_GLOBAL__N_19CustomMinEEEEE10hipError_tPvRmT0_T1_jT2_SS_T4_T3_P12ihipStream_tbEUlT_E_NS1_11comp_targetILNS1_3genE8ELNS1_11target_archE1030ELNS1_3gpuE2ELNS1_3repE0EEENS1_30default_config_static_selectorELNS0_4arch9wavefront6targetE0EEEvSR_
	.p2align	8
	.type	_ZN7rocprim17ROCPRIM_400000_NS6detail17trampoline_kernelINS0_14default_configENS1_32segmented_reduce_config_selectorIN3c104HalfEEEZNS1_21segmented_reduce_implIS3_PKS6_PS6_PKlS6_N6hipcub16HIPCUB_304000_NS6detail27convert_result_type_wrapperISA_SB_N2at6native12_GLOBAL__N_19CustomMinEEEEE10hipError_tPvRmT0_T1_jT2_SS_T4_T3_P12ihipStream_tbEUlT_E_NS1_11comp_targetILNS1_3genE8ELNS1_11target_archE1030ELNS1_3gpuE2ELNS1_3repE0EEENS1_30default_config_static_selectorELNS0_4arch9wavefront6targetE0EEEvSR_,@function
_ZN7rocprim17ROCPRIM_400000_NS6detail17trampoline_kernelINS0_14default_configENS1_32segmented_reduce_config_selectorIN3c104HalfEEEZNS1_21segmented_reduce_implIS3_PKS6_PS6_PKlS6_N6hipcub16HIPCUB_304000_NS6detail27convert_result_type_wrapperISA_SB_N2at6native12_GLOBAL__N_19CustomMinEEEEE10hipError_tPvRmT0_T1_jT2_SS_T4_T3_P12ihipStream_tbEUlT_E_NS1_11comp_targetILNS1_3genE8ELNS1_11target_archE1030ELNS1_3gpuE2ELNS1_3repE0EEENS1_30default_config_static_selectorELNS0_4arch9wavefront6targetE0EEEvSR_: ; @_ZN7rocprim17ROCPRIM_400000_NS6detail17trampoline_kernelINS0_14default_configENS1_32segmented_reduce_config_selectorIN3c104HalfEEEZNS1_21segmented_reduce_implIS3_PKS6_PS6_PKlS6_N6hipcub16HIPCUB_304000_NS6detail27convert_result_type_wrapperISA_SB_N2at6native12_GLOBAL__N_19CustomMinEEEEE10hipError_tPvRmT0_T1_jT2_SS_T4_T3_P12ihipStream_tbEUlT_E_NS1_11comp_targetILNS1_3genE8ELNS1_11target_archE1030ELNS1_3gpuE2ELNS1_3repE0EEENS1_30default_config_static_selectorELNS0_4arch9wavefront6targetE0EEEvSR_
; %bb.0:
	s_clause 0x2
	s_load_dwordx8 s[12:19], s[4:5], 0x0
	s_load_dword s8, s[4:5], 0x28
	s_load_dwordx2 s[0:1], s[4:5], 0x20
	s_mov_b32 s7, 0
	s_mov_b32 s22, s7
	s_waitcnt lgkmcnt(0)
	s_lshl_b64 s[2:3], s[16:17], 3
	s_lshr_b32 s9, s8, 16
	s_add_u32 s4, s18, s2
	s_addc_u32 s5, s19, s3
	s_add_u32 s8, s0, s2
	s_addc_u32 s10, s1, s3
	s_lshl_b64 s[0:1], s[6:7], 3
	s_add_u32 s2, s4, s0
	s_addc_u32 s3, s5, s1
	s_add_u32 s0, s8, s0
	s_addc_u32 s1, s10, s1
	s_load_dwordx2 s[18:19], s[2:3], 0x0
	s_load_dwordx2 s[10:11], s[0:1], 0x0
	s_mov_b32 s1, -1
	s_waitcnt lgkmcnt(0)
	v_cmp_gt_i64_e64 s0, s[10:11], s[18:19]
	s_and_b32 vcc_lo, exec_lo, s0
	v_cmp_eq_u32_e64 s0, 0, v0
	s_cbranch_vccnz .LBB237_2
; %bb.1:
	s_mov_b32 s1, 0
	s_and_b32 s22, s0, exec_lo
.LBB237_2:
	s_andn2_b32 vcc_lo, exec_lo, s1
	s_cbranch_vccnz .LBB237_68
; %bb.3:
	s_add_u32 s0, s18, 0x800
	s_addc_u32 s1, s19, 0
	v_cmp_le_i64_e64 s2, s[0:1], s[10:11]
	s_and_b32 vcc_lo, exec_lo, s2
	s_cbranch_vccz .LBB237_69
; %bb.4:
	v_lshlrev_b32_e32 v12, 1, v0
	s_lshl_b64 s[2:3], s[18:19], 1
	s_add_u32 s4, s12, s2
	s_addc_u32 s5, s13, s3
	v_add_co_u32 v1, s8, s4, v12
	v_add_co_ci_u32_e64 v2, null, s5, 0, s8
	v_add_co_u32 v1, vcc_lo, 0x800, v1
	v_add_co_ci_u32_e64 v2, null, 0, v2, vcc_lo
	s_clause 0x7
	global_load_ushort v11, v12, s[4:5]
	global_load_ushort v10, v12, s[4:5] offset:512
	global_load_ushort v9, v12, s[4:5] offset:1024
	;; [unrolled: 1-line block ×3, first 2 shown]
	global_load_ushort v7, v[1:2], off
	global_load_ushort v5, v[1:2], off offset:512
	global_load_ushort v4, v[1:2], off offset:1024
	global_load_ushort v3, v[1:2], off offset:1536
	s_mov_b32 s4, exec_lo
	s_waitcnt vmcnt(7)
	v_mov_b32_e32 v6, v11
	v_cmpx_o_f16_e32 v11, v11
	s_cbranch_execz .LBB237_8
; %bb.5:
	s_waitcnt vmcnt(6)
	v_mov_b32_e32 v6, v10
	s_mov_b32 s5, exec_lo
	v_cmpx_o_f16_e32 v10, v10
; %bb.6:
	v_cmp_lt_f16_e32 vcc_lo, v10, v11
	v_cndmask_b32_e32 v6, v11, v10, vcc_lo
; %bb.7:
	s_or_b32 exec_lo, exec_lo, s5
.LBB237_8:
	s_or_b32 exec_lo, exec_lo, s4
	s_mov_b32 s4, exec_lo
	v_cmpx_o_f16_e32 v6, v6
	s_cbranch_execz .LBB237_12
; %bb.9:
	s_waitcnt vmcnt(5)
	v_mov_b32_e32 v1, v9
	s_mov_b32 s5, exec_lo
	v_cmpx_o_f16_e32 v9, v9
; %bb.10:
	v_cmp_gt_f16_e32 vcc_lo, v6, v9
	v_cndmask_b32_e32 v1, v6, v9, vcc_lo
; %bb.11:
	s_or_b32 exec_lo, exec_lo, s5
	v_mov_b32_e32 v6, v1
.LBB237_12:
	s_or_b32 exec_lo, exec_lo, s4
	s_mov_b32 s4, exec_lo
	v_cmpx_o_f16_e32 v6, v6
	s_cbranch_execz .LBB237_16
; %bb.13:
	s_waitcnt vmcnt(4)
	v_mov_b32_e32 v1, v8
	s_mov_b32 s5, exec_lo
	v_cmpx_o_f16_e32 v8, v8
; %bb.14:
	v_cmp_gt_f16_e32 vcc_lo, v6, v8
	v_cndmask_b32_e32 v1, v6, v8, vcc_lo
; %bb.15:
	s_or_b32 exec_lo, exec_lo, s5
	v_mov_b32_e32 v6, v1
.LBB237_16:
	;; [unrolled: 16-line block ×6, first 2 shown]
	s_or_b32 exec_lo, exec_lo, s4
	s_add_u32 s4, s18, 0x1000
	s_addc_u32 s5, s19, 0
	v_cmp_ge_i64_e64 s4, s[4:5], s[10:11]
	s_and_b32 vcc_lo, exec_lo, s4
	s_cbranch_vccnz .LBB237_70
; %bb.33:
	s_add_u32 s2, s12, s2
	s_addc_u32 s3, s13, s3
	v_add_co_u32 v1, s2, s2, v12
	v_add_co_ci_u32_e64 v2, null, s3, 0, s2
	v_add_co_u32 v1, vcc_lo, 0x1000, v1
	v_add_co_ci_u32_e64 v2, null, 0, v2, vcc_lo
.LBB237_34:                             ; =>This Inner Loop Header: Depth=1
	v_add_co_u32 v13, vcc_lo, 0x800, v1
	v_add_co_ci_u32_e64 v14, null, 0, v2, vcc_lo
	s_clause 0x7
	global_load_ushort v11, v[1:2], off
	global_load_ushort v10, v[1:2], off offset:512
	global_load_ushort v9, v[1:2], off offset:1024
	;; [unrolled: 1-line block ×3, first 2 shown]
	global_load_ushort v7, v[13:14], off
	global_load_ushort v5, v[13:14], off offset:512
	global_load_ushort v4, v[13:14], off offset:1024
	;; [unrolled: 1-line block ×3, first 2 shown]
	v_mov_b32_e32 v13, v6
	s_mov_b32 s2, exec_lo
	v_cmpx_o_f16_e32 v6, v6
	s_cbranch_execz .LBB237_38
; %bb.35:                               ;   in Loop: Header=BB237_34 Depth=1
	s_waitcnt vmcnt(7)
	v_mov_b32_e32 v13, v11
	s_mov_b32 s3, exec_lo
	v_cmpx_o_f16_e32 v11, v11
; %bb.36:                               ;   in Loop: Header=BB237_34 Depth=1
	v_cmp_lt_f16_e32 vcc_lo, v11, v6
	v_cndmask_b32_e32 v13, v6, v11, vcc_lo
; %bb.37:                               ;   in Loop: Header=BB237_34 Depth=1
	s_or_b32 exec_lo, exec_lo, s3
	v_mov_b32_e32 v6, v13
.LBB237_38:                             ;   in Loop: Header=BB237_34 Depth=1
	s_or_b32 exec_lo, exec_lo, s2
	s_mov_b32 s2, exec_lo
	v_cmpx_o_f16_e32 v13, v13
	s_cbranch_execz .LBB237_42
; %bb.39:                               ;   in Loop: Header=BB237_34 Depth=1
	s_waitcnt vmcnt(6)
	v_mov_b32_e32 v14, v10
	s_mov_b32 s3, exec_lo
	v_cmpx_o_f16_e32 v10, v10
; %bb.40:                               ;   in Loop: Header=BB237_34 Depth=1
	v_cmp_gt_f16_e32 vcc_lo, v13, v10
	v_cndmask_b32_e32 v14, v6, v10, vcc_lo
; %bb.41:                               ;   in Loop: Header=BB237_34 Depth=1
	s_or_b32 exec_lo, exec_lo, s3
	v_mov_b32_e32 v13, v14
	v_mov_b32_e32 v6, v14
.LBB237_42:                             ;   in Loop: Header=BB237_34 Depth=1
	s_or_b32 exec_lo, exec_lo, s2
	s_mov_b32 s2, exec_lo
	v_cmpx_o_f16_e32 v13, v13
	s_cbranch_execz .LBB237_46
; %bb.43:                               ;   in Loop: Header=BB237_34 Depth=1
	s_waitcnt vmcnt(5)
	v_mov_b32_e32 v14, v9
	s_mov_b32 s3, exec_lo
	v_cmpx_o_f16_e32 v9, v9
; %bb.44:                               ;   in Loop: Header=BB237_34 Depth=1
	v_cmp_gt_f16_e32 vcc_lo, v13, v9
	v_cndmask_b32_e32 v14, v6, v9, vcc_lo
; %bb.45:                               ;   in Loop: Header=BB237_34 Depth=1
	s_or_b32 exec_lo, exec_lo, s3
	v_mov_b32_e32 v13, v14
	v_mov_b32_e32 v6, v14
.LBB237_46:                             ;   in Loop: Header=BB237_34 Depth=1
	;; [unrolled: 17-line block ×6, first 2 shown]
	s_or_b32 exec_lo, exec_lo, s2
	s_mov_b32 s2, exec_lo
	v_cmpx_o_f16_e32 v13, v13
	s_cbranch_execz .LBB237_66
; %bb.63:                               ;   in Loop: Header=BB237_34 Depth=1
	s_waitcnt vmcnt(0)
	v_mov_b32_e32 v14, v3
	s_mov_b32 s3, exec_lo
	v_cmpx_o_f16_e32 v3, v3
; %bb.64:                               ;   in Loop: Header=BB237_34 Depth=1
	v_cmp_gt_f16_e32 vcc_lo, v13, v3
	v_cndmask_b32_e32 v14, v6, v3, vcc_lo
; %bb.65:                               ;   in Loop: Header=BB237_34 Depth=1
	s_or_b32 exec_lo, exec_lo, s3
	v_mov_b32_e32 v6, v14
.LBB237_66:                             ;   in Loop: Header=BB237_34 Depth=1
	s_or_b32 exec_lo, exec_lo, s2
	s_add_u32 s2, s0, 0x800
	s_addc_u32 s3, s1, 0
	s_add_u32 s0, s0, 0x1000
	s_addc_u32 s1, s1, 0
	v_add_co_u32 v1, vcc_lo, 0x1000, v1
	v_cmp_lt_i64_e64 s0, s[0:1], s[10:11]
	v_add_co_ci_u32_e64 v2, null, 0, v2, vcc_lo
	s_and_b32 vcc_lo, exec_lo, s0
	s_cbranch_vccz .LBB237_71
; %bb.67:                               ;   in Loop: Header=BB237_34 Depth=1
	s_mov_b64 s[0:1], s[2:3]
	s_branch .LBB237_34
.LBB237_68:
	v_mov_b32_e32 v1, s9
	s_and_saveexec_b32 s0, s22
	s_cbranch_execnz .LBB237_281
	s_branch .LBB237_282
.LBB237_69:
                                        ; implicit-def: $vgpr2
	s_cbranch_execnz .LBB237_172
	s_branch .LBB237_274
.LBB237_70:
	s_mov_b64 s[2:3], s[0:1]
.LBB237_71:
	s_sub_i32 s23, s10, s2
	s_lshl_b64 s[0:1], s[2:3], 1
	v_cmp_gt_u32_e64 s8, s23, v0
	s_add_u32 s20, s12, s0
	s_addc_u32 s21, s13, s1
	s_and_saveexec_b32 s0, s8
	s_cbranch_execz .LBB237_73
; %bb.72:
	global_load_ushort v11, v12, s[20:21]
.LBB237_73:
	s_or_b32 exec_lo, exec_lo, s0
	v_or_b32_e32 v1, 0x100, v0
	v_cmp_gt_u32_e64 s5, s23, v1
	s_and_saveexec_b32 s0, s5
	s_cbranch_execz .LBB237_75
; %bb.74:
	global_load_ushort v10, v12, s[20:21] offset:512
.LBB237_75:
	s_or_b32 exec_lo, exec_lo, s0
	v_or_b32_e32 v1, 0x200, v0
	v_cmp_gt_u32_e64 s4, s23, v1
	s_and_saveexec_b32 s0, s4
	s_cbranch_execz .LBB237_77
; %bb.76:
	global_load_ushort v9, v12, s[20:21] offset:1024
.LBB237_77:
	;; [unrolled: 8-line block ×3, first 2 shown]
	s_or_b32 exec_lo, exec_lo, s0
	v_or_b32_e32 v1, 0x400, v0
	v_cmp_gt_u32_e64 s2, s23, v1
	s_and_saveexec_b32 s0, s2
	s_cbranch_execz .LBB237_81
; %bb.80:
	v_lshlrev_b32_e32 v1, 1, v1
	global_load_ushort v7, v1, s[20:21]
.LBB237_81:
	s_or_b32 exec_lo, exec_lo, s0
	v_or_b32_e32 v1, 0x500, v0
	v_cmp_gt_u32_e64 s1, s23, v1
	s_and_saveexec_b32 s0, s1
	s_cbranch_execz .LBB237_83
; %bb.82:
	v_lshlrev_b32_e32 v1, 1, v1
	global_load_ushort v5, v1, s[20:21]
.LBB237_83:
	;; [unrolled: 9-line block ×3, first 2 shown]
	s_or_b32 exec_lo, exec_lo, s24
	v_or_b32_e32 v1, 0x700, v0
	v_cmp_gt_u32_e32 vcc_lo, s23, v1
	s_and_saveexec_b32 s23, vcc_lo
	s_cbranch_execnz .LBB237_94
; %bb.86:
	s_or_b32 exec_lo, exec_lo, s23
	s_and_saveexec_b32 s20, s8
	s_cbranch_execnz .LBB237_95
.LBB237_87:
	s_or_b32 exec_lo, exec_lo, s20
	s_and_saveexec_b32 s8, s5
	s_cbranch_execnz .LBB237_100
.LBB237_88:
	s_or_b32 exec_lo, exec_lo, s8
	s_and_saveexec_b32 s5, s4
	s_cbranch_execnz .LBB237_105
.LBB237_89:
	s_or_b32 exec_lo, exec_lo, s5
	s_and_saveexec_b32 s4, s3
	s_cbranch_execnz .LBB237_110
.LBB237_90:
	s_or_b32 exec_lo, exec_lo, s4
	s_and_saveexec_b32 s3, s2
	s_cbranch_execnz .LBB237_115
.LBB237_91:
	s_or_b32 exec_lo, exec_lo, s3
	s_and_saveexec_b32 s2, s1
	s_cbranch_execnz .LBB237_120
.LBB237_92:
	s_or_b32 exec_lo, exec_lo, s2
	s_and_saveexec_b32 s1, s0
	s_cbranch_execnz .LBB237_125
.LBB237_93:
	s_or_b32 exec_lo, exec_lo, s1
	s_and_saveexec_b32 s0, vcc_lo
	s_cbranch_execnz .LBB237_130
	s_branch .LBB237_135
.LBB237_94:
	v_lshlrev_b32_e32 v1, 1, v1
	global_load_ushort v3, v1, s[20:21]
	s_or_b32 exec_lo, exec_lo, s23
	s_and_saveexec_b32 s20, s8
	s_cbranch_execz .LBB237_87
.LBB237_95:
	s_mov_b32 s21, exec_lo
	v_cmpx_o_f16_e32 v6, v6
	s_cbranch_execz .LBB237_99
; %bb.96:
	s_mov_b32 s23, exec_lo
	s_waitcnt vmcnt(0)
	v_cmpx_o_f16_e32 v11, v11
; %bb.97:
	v_cmp_lt_f16_e64 s8, v11, v6
	v_cndmask_b32_e64 v11, v6, v11, s8
; %bb.98:
	s_or_b32 exec_lo, exec_lo, s23
	v_mov_b32_e32 v6, v11
.LBB237_99:
	s_or_b32 exec_lo, exec_lo, s21
	s_or_b32 exec_lo, exec_lo, s20
	s_and_saveexec_b32 s8, s5
	s_cbranch_execz .LBB237_88
.LBB237_100:
	s_mov_b32 s20, exec_lo
	v_cmpx_o_f16_e32 v6, v6
	s_cbranch_execz .LBB237_104
; %bb.101:
	s_mov_b32 s21, exec_lo
	s_waitcnt vmcnt(0)
	v_cmpx_o_f16_e32 v10, v10
; %bb.102:
	v_cmp_lt_f16_e64 s5, v10, v6
	v_cndmask_b32_e64 v10, v6, v10, s5
; %bb.103:
	s_or_b32 exec_lo, exec_lo, s21
	v_mov_b32_e32 v6, v10
.LBB237_104:
	s_or_b32 exec_lo, exec_lo, s20
	s_or_b32 exec_lo, exec_lo, s8
	s_and_saveexec_b32 s5, s4
	s_cbranch_execz .LBB237_89
.LBB237_105:
	s_mov_b32 s8, exec_lo
	v_cmpx_o_f16_e32 v6, v6
	s_cbranch_execz .LBB237_109
; %bb.106:
	s_mov_b32 s20, exec_lo
	s_waitcnt vmcnt(0)
	v_cmpx_o_f16_e32 v9, v9
; %bb.107:
	v_cmp_lt_f16_e64 s4, v9, v6
	v_cndmask_b32_e64 v9, v6, v9, s4
; %bb.108:
	s_or_b32 exec_lo, exec_lo, s20
	v_mov_b32_e32 v6, v9
.LBB237_109:
	s_or_b32 exec_lo, exec_lo, s8
	s_or_b32 exec_lo, exec_lo, s5
	s_and_saveexec_b32 s4, s3
	s_cbranch_execz .LBB237_90
.LBB237_110:
	s_mov_b32 s5, exec_lo
	v_cmpx_o_f16_e32 v6, v6
	s_cbranch_execz .LBB237_114
; %bb.111:
	s_mov_b32 s8, exec_lo
	s_waitcnt vmcnt(0)
	v_cmpx_o_f16_e32 v8, v8
; %bb.112:
	v_cmp_lt_f16_e64 s3, v8, v6
	v_cndmask_b32_e64 v8, v6, v8, s3
; %bb.113:
	s_or_b32 exec_lo, exec_lo, s8
	v_mov_b32_e32 v6, v8
.LBB237_114:
	s_or_b32 exec_lo, exec_lo, s5
	s_or_b32 exec_lo, exec_lo, s4
	s_and_saveexec_b32 s3, s2
	s_cbranch_execz .LBB237_91
.LBB237_115:
	s_mov_b32 s4, exec_lo
	v_cmpx_o_f16_e32 v6, v6
	s_cbranch_execz .LBB237_119
; %bb.116:
	s_mov_b32 s5, exec_lo
	s_waitcnt vmcnt(0)
	v_cmpx_o_f16_e32 v7, v7
; %bb.117:
	v_cmp_lt_f16_e64 s2, v7, v6
	v_cndmask_b32_e64 v7, v6, v7, s2
; %bb.118:
	s_or_b32 exec_lo, exec_lo, s5
	v_mov_b32_e32 v6, v7
.LBB237_119:
	s_or_b32 exec_lo, exec_lo, s4
	s_or_b32 exec_lo, exec_lo, s3
	s_and_saveexec_b32 s2, s1
	s_cbranch_execz .LBB237_92
.LBB237_120:
	s_mov_b32 s3, exec_lo
	v_cmpx_o_f16_e32 v6, v6
	s_cbranch_execz .LBB237_124
; %bb.121:
	s_mov_b32 s4, exec_lo
	s_waitcnt vmcnt(0)
	v_cmpx_o_f16_e32 v5, v5
; %bb.122:
	v_cmp_lt_f16_e64 s1, v5, v6
	v_cndmask_b32_e64 v5, v6, v5, s1
; %bb.123:
	s_or_b32 exec_lo, exec_lo, s4
	v_mov_b32_e32 v6, v5
.LBB237_124:
	s_or_b32 exec_lo, exec_lo, s3
	s_or_b32 exec_lo, exec_lo, s2
	s_and_saveexec_b32 s1, s0
	s_cbranch_execz .LBB237_93
.LBB237_125:
	s_mov_b32 s2, exec_lo
	v_cmpx_o_f16_e32 v6, v6
	s_cbranch_execz .LBB237_129
; %bb.126:
	s_mov_b32 s3, exec_lo
	s_waitcnt vmcnt(0)
	v_cmpx_o_f16_e32 v4, v4
; %bb.127:
	v_cmp_lt_f16_e64 s0, v4, v6
	v_cndmask_b32_e64 v4, v6, v4, s0
; %bb.128:
	s_or_b32 exec_lo, exec_lo, s3
	v_mov_b32_e32 v6, v4
.LBB237_129:
	s_or_b32 exec_lo, exec_lo, s2
	s_or_b32 exec_lo, exec_lo, s1
	s_and_saveexec_b32 s0, vcc_lo
	s_cbranch_execz .LBB237_135
.LBB237_130:
	s_mov_b32 s1, exec_lo
	v_cmpx_o_f16_e32 v6, v6
	s_cbranch_execz .LBB237_134
; %bb.131:
	s_mov_b32 s2, exec_lo
	s_waitcnt vmcnt(0)
	v_cmpx_o_f16_e32 v3, v3
; %bb.132:
	v_cmp_lt_f16_e32 vcc_lo, v3, v6
	v_cndmask_b32_e32 v3, v6, v3, vcc_lo
; %bb.133:
	s_or_b32 exec_lo, exec_lo, s2
	v_mov_b32_e32 v6, v3
.LBB237_134:
	s_or_b32 exec_lo, exec_lo, s1
.LBB237_135:
	s_or_b32 exec_lo, exec_lo, s0
	v_and_b32_e32 v1, 0xffff, v6
	s_mov_b32 s0, exec_lo
	v_mov_b32_dpp v1, v1 quad_perm:[1,0,3,2] row_mask:0xf bank_mask:0xf
	v_cmpx_o_f16_e32 v1, v1
	s_xor_b32 s0, exec_lo, s0
	s_cbranch_execz .LBB237_139
; %bb.136:
	s_mov_b32 s1, exec_lo
	v_cmpx_o_f16_e32 v6, v6
; %bb.137:
	v_cmp_lt_f16_e32 vcc_lo, v6, v1
	v_cndmask_b32_e32 v6, v1, v6, vcc_lo
; %bb.138:
	s_or_b32 exec_lo, exec_lo, s1
	v_mov_b32_e32 v1, v6
.LBB237_139:
	s_or_b32 exec_lo, exec_lo, s0
	v_and_b32_e32 v2, 0xffff, v1
	s_mov_b32 s0, exec_lo
	v_mov_b32_dpp v2, v2 quad_perm:[2,3,0,1] row_mask:0xf bank_mask:0xf
	v_cmpx_o_f16_e32 v2, v2
	s_cbranch_execz .LBB237_143
; %bb.140:
	s_mov_b32 s1, exec_lo
	v_cmpx_o_f16_e32 v1, v1
; %bb.141:
	v_cmp_lt_f16_e32 vcc_lo, v1, v2
	v_cndmask_b32_e32 v1, v2, v1, vcc_lo
; %bb.142:
	s_or_b32 exec_lo, exec_lo, s1
	v_mov_b32_e32 v2, v1
.LBB237_143:
	s_or_b32 exec_lo, exec_lo, s0
	v_and_b32_e32 v1, 0xffff, v2
	s_mov_b32 s0, exec_lo
	v_mov_b32_dpp v1, v1 row_ror:4 row_mask:0xf bank_mask:0xf
	v_cmpx_o_f16_e32 v1, v1
	s_cbranch_execz .LBB237_147
; %bb.144:
	s_mov_b32 s1, exec_lo
	v_cmpx_o_f16_e32 v2, v2
; %bb.145:
	v_cmp_lt_f16_e32 vcc_lo, v2, v1
	v_cndmask_b32_e32 v2, v1, v2, vcc_lo
; %bb.146:
	s_or_b32 exec_lo, exec_lo, s1
	v_mov_b32_e32 v1, v2
.LBB237_147:
	s_or_b32 exec_lo, exec_lo, s0
	v_and_b32_e32 v2, 0xffff, v1
	s_mov_b32 s0, exec_lo
	v_mov_b32_dpp v2, v2 row_ror:8 row_mask:0xf bank_mask:0xf
	v_cmpx_o_f16_e32 v2, v2
	s_cbranch_execz .LBB237_151
; %bb.148:
	s_mov_b32 s1, exec_lo
	v_cmpx_o_f16_e32 v1, v1
; %bb.149:
	v_cmp_lt_f16_e32 vcc_lo, v1, v2
	v_cndmask_b32_e32 v1, v2, v1, vcc_lo
; %bb.150:
	s_or_b32 exec_lo, exec_lo, s1
	v_mov_b32_e32 v2, v1
.LBB237_151:
	s_or_b32 exec_lo, exec_lo, s0
	v_and_b32_e32 v1, 0xffff, v2
	s_mov_b32 s0, exec_lo
	ds_swizzle_b32 v1, v1 offset:swizzle(BROADCAST,32,15)
	s_waitcnt lgkmcnt(0)
	v_cmpx_o_f16_e32 v1, v1
	s_cbranch_execz .LBB237_155
; %bb.152:
	s_mov_b32 s1, exec_lo
	v_cmpx_o_f16_e32 v2, v2
; %bb.153:
	v_cmp_lt_f16_e32 vcc_lo, v2, v1
	v_cndmask_b32_e32 v2, v1, v2, vcc_lo
; %bb.154:
	s_or_b32 exec_lo, exec_lo, s1
	v_mov_b32_e32 v1, v2
.LBB237_155:
	s_or_b32 exec_lo, exec_lo, s0
	v_and_b32_e32 v1, 0xffff, v1
	v_mov_b32_e32 v2, 0
	s_mov_b32 s0, exec_lo
	ds_bpermute_b32 v2, v2, v1 offset:124
	v_mbcnt_lo_u32_b32 v1, -1, 0
	v_cmpx_eq_u32_e32 0, v1
	s_cbranch_execz .LBB237_157
; %bb.156:
	s_waitcnt vmcnt(0)
	v_lshrrev_b32_e32 v3, 4, v0
	v_and_b32_e32 v3, 14, v3
	s_waitcnt lgkmcnt(0)
	ds_write_b16 v3, v2
.LBB237_157:
	s_or_b32 exec_lo, exec_lo, s0
	s_mov_b32 s0, exec_lo
	s_waitcnt vmcnt(0) lgkmcnt(0)
	s_barrier
	buffer_gl0_inv
	v_cmpx_gt_u32_e32 32, v0
	s_cbranch_execz .LBB237_171
; %bb.158:
	v_and_b32_e32 v3, 7, v1
	s_mov_b32 s1, exec_lo
	v_lshlrev_b32_e32 v2, 1, v3
	v_cmp_ne_u32_e32 vcc_lo, 7, v3
	ds_read_u16 v2, v2
	v_add_co_ci_u32_e64 v4, null, 0, v1, vcc_lo
	v_lshlrev_b32_e32 v4, 2, v4
	s_waitcnt lgkmcnt(0)
	v_and_b32_e32 v5, 0xffff, v2
	ds_bpermute_b32 v4, v4, v5
	v_cmpx_o_f16_e32 v2, v2
	s_cbranch_execz .LBB237_162
; %bb.159:
	s_mov_b32 s2, exec_lo
	s_waitcnt lgkmcnt(0)
	v_cmpx_o_f16_e32 v4, v4
; %bb.160:
	v_cmp_gt_f16_e32 vcc_lo, v2, v4
	v_cndmask_b32_e32 v4, v2, v4, vcc_lo
; %bb.161:
	s_or_b32 exec_lo, exec_lo, s2
	v_mov_b32_e32 v2, v4
.LBB237_162:
	s_or_b32 exec_lo, exec_lo, s1
	v_cmp_gt_u32_e32 vcc_lo, 6, v3
	s_waitcnt lgkmcnt(0)
	v_and_b32_e32 v4, 0xffff, v2
	s_mov_b32 s1, exec_lo
	v_cndmask_b32_e64 v3, 0, 2, vcc_lo
	v_add_lshl_u32 v3, v3, v1, 2
	v_lshlrev_b32_e32 v1, 2, v1
	ds_bpermute_b32 v3, v3, v4
	v_cmpx_o_f16_e32 v2, v2
	s_cbranch_execz .LBB237_166
; %bb.163:
	s_mov_b32 s2, exec_lo
	s_waitcnt lgkmcnt(0)
	v_cmpx_o_f16_e32 v3, v3
; %bb.164:
	v_cmp_gt_f16_e32 vcc_lo, v2, v3
	v_cndmask_b32_e32 v3, v2, v3, vcc_lo
; %bb.165:
	s_or_b32 exec_lo, exec_lo, s2
	v_mov_b32_e32 v2, v3
.LBB237_166:
	s_or_b32 exec_lo, exec_lo, s1
	v_or_b32_e32 v1, 16, v1
	s_waitcnt lgkmcnt(0)
	v_and_b32_e32 v3, 0xffff, v2
	s_mov_b32 s1, exec_lo
	ds_bpermute_b32 v1, v1, v3
	v_cmpx_o_f16_e32 v2, v2
	s_cbranch_execz .LBB237_170
; %bb.167:
	s_mov_b32 s2, exec_lo
	s_waitcnt lgkmcnt(0)
	v_cmpx_o_f16_e32 v1, v1
; %bb.168:
	v_cmp_gt_f16_e32 vcc_lo, v2, v1
	v_cndmask_b32_e32 v1, v2, v1, vcc_lo
; %bb.169:
	s_or_b32 exec_lo, exec_lo, s2
	v_mov_b32_e32 v2, v1
.LBB237_170:
	s_or_b32 exec_lo, exec_lo, s1
.LBB237_171:
	s_or_b32 exec_lo, exec_lo, s0
	s_branch .LBB237_274
.LBB237_172:
	s_sub_i32 s1, s10, s18
	s_mov_b32 s2, exec_lo
                                        ; implicit-def: $vgpr5
	v_cmpx_gt_u32_e64 s1, v0
	s_cbranch_execz .LBB237_182
; %bb.173:
	s_waitcnt lgkmcnt(0)
	v_add_co_u32 v1, s0, s18, v0
	v_add_co_ci_u32_e64 v2, null, s19, 0, s0
	s_mov_b32 s3, exec_lo
	v_lshlrev_b64 v[3:4], 1, v[1:2]
	v_add_co_u32 v3, vcc_lo, s12, v3
	v_add_co_ci_u32_e64 v4, null, s13, v4, vcc_lo
	v_add_co_u32 v1, vcc_lo, 0x100, v1
	v_add_co_ci_u32_e64 v2, null, 0, v2, vcc_lo
	global_load_ushort v5, v[3:4], off
	v_cmpx_gt_i64_e64 s[10:11], v[1:2]
	s_cbranch_execz .LBB237_181
; %bb.174:
	v_add_co_u32 v3, vcc_lo, 0x200, v3
	v_add_co_ci_u32_e64 v4, null, 0, v4, vcc_lo
	s_mov_b32 s4, 0
	s_inst_prefetch 0x1
	s_branch .LBB237_177
	.p2align	6
.LBB237_175:                            ;   in Loop: Header=BB237_177 Depth=1
	s_or_b32 exec_lo, exec_lo, s5
	v_mov_b32_e32 v5, v6
.LBB237_176:                            ;   in Loop: Header=BB237_177 Depth=1
	s_or_b32 exec_lo, exec_lo, s0
	v_add_co_u32 v1, vcc_lo, 0x100, v1
	v_add_co_ci_u32_e64 v2, null, 0, v2, vcc_lo
	v_add_co_u32 v3, s0, 0x200, v3
	v_add_co_ci_u32_e64 v4, null, 0, v4, s0
	v_cmp_le_i64_e32 vcc_lo, s[10:11], v[1:2]
	s_or_b32 s4, vcc_lo, s4
	s_andn2_b32 exec_lo, exec_lo, s4
	s_cbranch_execz .LBB237_180
.LBB237_177:                            ; =>This Inner Loop Header: Depth=1
	s_mov_b32 s0, exec_lo
	s_waitcnt vmcnt(0)
	v_cmpx_o_f16_e32 v5, v5
	s_cbranch_execz .LBB237_176
; %bb.178:                              ;   in Loop: Header=BB237_177 Depth=1
	global_load_ushort v6, v[3:4], off
	s_mov_b32 s5, exec_lo
	s_waitcnt vmcnt(0)
	v_cmpx_o_f16_e32 v6, v6
	s_cbranch_execz .LBB237_175
; %bb.179:                              ;   in Loop: Header=BB237_177 Depth=1
	v_cmp_lt_f16_e32 vcc_lo, v6, v5
	v_cndmask_b32_e32 v6, v5, v6, vcc_lo
	s_branch .LBB237_175
.LBB237_180:
	s_inst_prefetch 0x2
	s_or_b32 exec_lo, exec_lo, s4
.LBB237_181:
	s_or_b32 exec_lo, exec_lo, s3
.LBB237_182:
	s_or_b32 exec_lo, exec_lo, s2
	v_lshrrev_b32_e32 v3, 5, v0
	s_waitcnt lgkmcnt(0)
	v_mbcnt_lo_u32_b32 v1, -1, 0
	s_waitcnt vmcnt(0)
	v_and_b32_e32 v4, 0xffff, v5
	s_cmpk_lt_u32 s1, 0x100
	s_mov_b32 s0, -1
                                        ; implicit-def: $vgpr2
	s_cbranch_scc0 .LBB237_236
; %bb.183:
	v_cmp_ne_u32_e32 vcc_lo, 31, v1
	v_mov_b32_e32 v8, v4
	v_add_co_ci_u32_e64 v2, null, 0, v1, vcc_lo
	v_lshlrev_b32_e32 v2, 2, v2
	ds_bpermute_b32 v7, v2, v4
	v_and_b32_e32 v2, 0xe0, v0
	v_sub_nc_u32_e64 v6, s1, v2 clamp
	v_add_nc_u32_e32 v2, 1, v1
	v_cmp_lt_u32_e32 vcc_lo, v2, v6
	v_mov_b32_e32 v2, v5
	s_and_saveexec_b32 s0, vcc_lo
	s_cbranch_execz .LBB237_189
; %bb.184:
	v_mov_b32_e32 v2, v5
	s_mov_b32 s2, exec_lo
	v_cmpx_o_f16_e32 v5, v5
	s_cbranch_execz .LBB237_188
; %bb.185:
	s_mov_b32 s3, exec_lo
	s_waitcnt lgkmcnt(0)
	v_cmpx_o_f16_e32 v7, v7
; %bb.186:
	v_cmp_gt_f16_e32 vcc_lo, v5, v7
	v_cndmask_b32_e32 v7, v5, v7, vcc_lo
; %bb.187:
	s_or_b32 exec_lo, exec_lo, s3
	v_mov_b32_e32 v2, v7
.LBB237_188:
	s_or_b32 exec_lo, exec_lo, s2
	v_and_b32_e32 v8, 0xffff, v2
.LBB237_189:
	s_or_b32 exec_lo, exec_lo, s0
	v_cmp_gt_u32_e32 vcc_lo, 30, v1
	v_add_nc_u32_e32 v9, 2, v1
	s_mov_b32 s0, exec_lo
	s_waitcnt lgkmcnt(0)
	v_cndmask_b32_e64 v7, 0, 2, vcc_lo
	v_add_lshl_u32 v7, v7, v1, 2
	ds_bpermute_b32 v7, v7, v8
	v_cmpx_lt_u32_e64 v9, v6
	s_cbranch_execz .LBB237_195
; %bb.190:
	s_mov_b32 s2, exec_lo
	v_cmpx_o_f16_e32 v2, v2
	s_cbranch_execz .LBB237_194
; %bb.191:
	s_mov_b32 s3, exec_lo
	s_waitcnt lgkmcnt(0)
	v_cmpx_o_f16_e32 v7, v7
; %bb.192:
	v_cmp_gt_f16_e32 vcc_lo, v2, v7
	v_cndmask_b32_e32 v7, v2, v7, vcc_lo
; %bb.193:
	s_or_b32 exec_lo, exec_lo, s3
	v_mov_b32_e32 v2, v7
.LBB237_194:
	s_or_b32 exec_lo, exec_lo, s2
	v_and_b32_e32 v8, 0xffff, v2
.LBB237_195:
	s_or_b32 exec_lo, exec_lo, s0
	v_cmp_gt_u32_e32 vcc_lo, 28, v1
	v_add_nc_u32_e32 v9, 4, v1
	s_mov_b32 s0, exec_lo
	s_waitcnt lgkmcnt(0)
	v_cndmask_b32_e64 v7, 0, 4, vcc_lo
	v_add_lshl_u32 v7, v7, v1, 2
	ds_bpermute_b32 v7, v7, v8
	v_cmpx_lt_u32_e64 v9, v6
	s_cbranch_execz .LBB237_201
; %bb.196:
	s_mov_b32 s2, exec_lo
	v_cmpx_o_f16_e32 v2, v2
	s_cbranch_execz .LBB237_200
; %bb.197:
	s_mov_b32 s3, exec_lo
	s_waitcnt lgkmcnt(0)
	v_cmpx_o_f16_e32 v7, v7
; %bb.198:
	v_cmp_gt_f16_e32 vcc_lo, v2, v7
	v_cndmask_b32_e32 v7, v2, v7, vcc_lo
; %bb.199:
	s_or_b32 exec_lo, exec_lo, s3
	v_mov_b32_e32 v2, v7
.LBB237_200:
	s_or_b32 exec_lo, exec_lo, s2
	v_and_b32_e32 v8, 0xffff, v2
.LBB237_201:
	;; [unrolled: 28-line block ×3, first 2 shown]
	s_or_b32 exec_lo, exec_lo, s0
	s_waitcnt lgkmcnt(0)
	v_lshlrev_b32_e32 v7, 2, v1
	s_mov_b32 s0, exec_lo
	v_or_b32_e32 v9, 64, v7
	ds_bpermute_b32 v8, v9, v8
	v_add_nc_u32_e32 v9, 16, v1
	v_cmpx_lt_u32_e64 v9, v6
	s_cbranch_execz .LBB237_213
; %bb.208:
	s_mov_b32 s2, exec_lo
	v_cmpx_o_f16_e32 v2, v2
	s_cbranch_execz .LBB237_212
; %bb.209:
	s_mov_b32 s3, exec_lo
	s_waitcnt lgkmcnt(0)
	v_cmpx_o_f16_e32 v8, v8
; %bb.210:
	v_cmp_gt_f16_e32 vcc_lo, v2, v8
	v_cndmask_b32_e32 v8, v2, v8, vcc_lo
; %bb.211:
	s_or_b32 exec_lo, exec_lo, s3
	v_mov_b32_e32 v2, v8
.LBB237_212:
	s_or_b32 exec_lo, exec_lo, s2
.LBB237_213:
	s_or_b32 exec_lo, exec_lo, s0
	s_mov_b32 s0, exec_lo
	v_cmpx_eq_u32_e32 0, v1
; %bb.214:
	v_lshlrev_b32_e32 v6, 1, v3
	ds_write_b16 v6, v2
; %bb.215:
	s_or_b32 exec_lo, exec_lo, s0
	s_mov_b32 s0, exec_lo
	s_waitcnt lgkmcnt(0)
	s_barrier
	buffer_gl0_inv
	v_cmpx_gt_u32_e32 8, v0
	s_cbranch_execz .LBB237_235
; %bb.216:
	v_lshlrev_b32_e32 v2, 1, v1
	v_and_b32_e32 v6, 7, v1
	s_add_i32 s1, s1, 31
	s_mov_b32 s2, exec_lo
	s_lshr_b32 s1, s1, 5
	ds_read_u16 v2, v2
	v_cmp_ne_u32_e32 vcc_lo, 7, v6
	v_add_nc_u32_e32 v10, 1, v6
	v_add_co_ci_u32_e64 v8, null, 0, v1, vcc_lo
	v_lshlrev_b32_e32 v9, 2, v8
	s_waitcnt lgkmcnt(0)
	v_and_b32_e32 v8, 0xffff, v2
	ds_bpermute_b32 v9, v9, v8
	v_cmpx_gt_u32_e64 s1, v10
	s_cbranch_execz .LBB237_222
; %bb.217:
	s_mov_b32 s3, exec_lo
	v_cmpx_o_f16_e32 v2, v2
	s_cbranch_execz .LBB237_221
; %bb.218:
	s_mov_b32 s4, exec_lo
	s_waitcnt lgkmcnt(0)
	v_cmpx_o_f16_e32 v9, v9
; %bb.219:
	v_cmp_gt_f16_e32 vcc_lo, v2, v9
	v_cndmask_b32_e32 v9, v2, v9, vcc_lo
; %bb.220:
	s_or_b32 exec_lo, exec_lo, s4
	v_mov_b32_e32 v2, v9
.LBB237_221:
	s_or_b32 exec_lo, exec_lo, s3
	v_and_b32_e32 v8, 0xffff, v2
.LBB237_222:
	s_or_b32 exec_lo, exec_lo, s2
	v_cmp_gt_u32_e32 vcc_lo, 6, v6
	v_add_nc_u32_e32 v10, 2, v6
	s_mov_b32 s2, exec_lo
	s_waitcnt lgkmcnt(0)
	v_cndmask_b32_e64 v9, 0, 2, vcc_lo
	v_add_lshl_u32 v9, v9, v1, 2
	ds_bpermute_b32 v9, v9, v8
	v_cmpx_gt_u32_e64 s1, v10
	s_cbranch_execz .LBB237_228
; %bb.223:
	s_mov_b32 s3, exec_lo
	v_cmpx_o_f16_e32 v2, v2
	s_cbranch_execz .LBB237_227
; %bb.224:
	s_mov_b32 s4, exec_lo
	s_waitcnt lgkmcnt(0)
	v_cmpx_o_f16_e32 v9, v9
; %bb.225:
	v_cmp_gt_f16_e32 vcc_lo, v2, v9
	v_cndmask_b32_e32 v9, v2, v9, vcc_lo
; %bb.226:
	s_or_b32 exec_lo, exec_lo, s4
	v_mov_b32_e32 v2, v9
.LBB237_227:
	s_or_b32 exec_lo, exec_lo, s3
	v_and_b32_e32 v8, 0xffff, v2
.LBB237_228:
	s_or_b32 exec_lo, exec_lo, s2
	v_or_b32_e32 v7, 16, v7
	v_add_nc_u32_e32 v6, 4, v6
	ds_bpermute_b32 v7, v7, v8
	v_cmp_gt_u32_e32 vcc_lo, s1, v6
	s_and_saveexec_b32 s1, vcc_lo
	s_cbranch_execz .LBB237_234
; %bb.229:
	s_mov_b32 s2, exec_lo
	v_cmpx_o_f16_e32 v2, v2
	s_cbranch_execz .LBB237_233
; %bb.230:
	s_mov_b32 s3, exec_lo
	s_waitcnt lgkmcnt(0)
	v_cmpx_o_f16_e32 v7, v7
; %bb.231:
	v_cmp_gt_f16_e32 vcc_lo, v2, v7
	v_cndmask_b32_e32 v7, v2, v7, vcc_lo
; %bb.232:
	s_or_b32 exec_lo, exec_lo, s3
	v_mov_b32_e32 v2, v7
.LBB237_233:
	s_or_b32 exec_lo, exec_lo, s2
.LBB237_234:
	s_or_b32 exec_lo, exec_lo, s1
.LBB237_235:
	s_or_b32 exec_lo, exec_lo, s0
	s_mov_b32 s0, 0
.LBB237_236:
	s_and_b32 vcc_lo, exec_lo, s0
	s_cbranch_vccz .LBB237_274
; %bb.237:
	v_mov_b32_dpp v2, v4 quad_perm:[1,0,3,2] row_mask:0xf bank_mask:0xf
	s_mov_b32 s0, exec_lo
	v_cmpx_o_f16_e32 v2, v2
	s_cbranch_execz .LBB237_241
; %bb.238:
	s_mov_b32 s1, exec_lo
	v_cmpx_o_f16_e32 v5, v5
; %bb.239:
	v_cmp_lt_f16_e32 vcc_lo, v5, v2
	v_cndmask_b32_e32 v5, v2, v5, vcc_lo
; %bb.240:
	s_or_b32 exec_lo, exec_lo, s1
	v_mov_b32_e32 v2, v5
.LBB237_241:
	s_or_b32 exec_lo, exec_lo, s0
	v_and_b32_e32 v4, 0xffff, v2
	s_mov_b32 s0, exec_lo
	v_mov_b32_dpp v4, v4 quad_perm:[2,3,0,1] row_mask:0xf bank_mask:0xf
	v_cmpx_o_f16_e32 v4, v4
	s_cbranch_execz .LBB237_245
; %bb.242:
	s_mov_b32 s1, exec_lo
	v_cmpx_o_f16_e32 v2, v2
; %bb.243:
	v_cmp_lt_f16_e32 vcc_lo, v2, v4
	v_cndmask_b32_e32 v2, v4, v2, vcc_lo
; %bb.244:
	s_or_b32 exec_lo, exec_lo, s1
	v_mov_b32_e32 v4, v2
.LBB237_245:
	s_or_b32 exec_lo, exec_lo, s0
	v_and_b32_e32 v2, 0xffff, v4
	s_mov_b32 s0, exec_lo
	v_mov_b32_dpp v2, v2 row_ror:4 row_mask:0xf bank_mask:0xf
	v_cmpx_o_f16_e32 v2, v2
	s_cbranch_execz .LBB237_249
; %bb.246:
	s_mov_b32 s1, exec_lo
	v_cmpx_o_f16_e32 v4, v4
; %bb.247:
	v_cmp_lt_f16_e32 vcc_lo, v4, v2
	v_cndmask_b32_e32 v4, v2, v4, vcc_lo
; %bb.248:
	s_or_b32 exec_lo, exec_lo, s1
	v_mov_b32_e32 v2, v4
.LBB237_249:
	s_or_b32 exec_lo, exec_lo, s0
	v_and_b32_e32 v4, 0xffff, v2
	s_mov_b32 s0, exec_lo
	v_mov_b32_dpp v4, v4 row_ror:8 row_mask:0xf bank_mask:0xf
	v_cmpx_o_f16_e32 v4, v4
	s_cbranch_execz .LBB237_253
; %bb.250:
	s_mov_b32 s1, exec_lo
	v_cmpx_o_f16_e32 v2, v2
; %bb.251:
	v_cmp_lt_f16_e32 vcc_lo, v2, v4
	v_cndmask_b32_e32 v2, v4, v2, vcc_lo
; %bb.252:
	s_or_b32 exec_lo, exec_lo, s1
	v_mov_b32_e32 v4, v2
.LBB237_253:
	s_or_b32 exec_lo, exec_lo, s0
	v_and_b32_e32 v2, 0xffff, v4
	s_mov_b32 s0, exec_lo
	ds_swizzle_b32 v2, v2 offset:swizzle(BROADCAST,32,15)
	s_waitcnt lgkmcnt(0)
	v_cmpx_o_f16_e32 v2, v2
	s_cbranch_execz .LBB237_257
; %bb.254:
	s_mov_b32 s1, exec_lo
	v_cmpx_o_f16_e32 v4, v4
; %bb.255:
	v_cmp_lt_f16_e32 vcc_lo, v4, v2
	v_cndmask_b32_e32 v4, v2, v4, vcc_lo
; %bb.256:
	s_or_b32 exec_lo, exec_lo, s1
	v_mov_b32_e32 v2, v4
.LBB237_257:
	s_or_b32 exec_lo, exec_lo, s0
	v_and_b32_e32 v2, 0xffff, v2
	v_mov_b32_e32 v4, 0
	s_mov_b32 s0, exec_lo
	ds_bpermute_b32 v2, v4, v2 offset:124
	v_cmpx_eq_u32_e32 0, v1
	s_cbranch_execz .LBB237_259
; %bb.258:
	v_lshlrev_b32_e32 v3, 1, v3
	s_waitcnt lgkmcnt(0)
	ds_write_b16 v3, v2
.LBB237_259:
	s_or_b32 exec_lo, exec_lo, s0
	s_mov_b32 s0, exec_lo
	s_waitcnt lgkmcnt(0)
	s_barrier
	buffer_gl0_inv
	v_cmpx_gt_u32_e32 32, v0
	s_cbranch_execz .LBB237_273
; %bb.260:
	v_and_b32_e32 v3, 7, v1
	s_mov_b32 s1, exec_lo
	v_lshlrev_b32_e32 v2, 1, v3
	v_cmp_ne_u32_e32 vcc_lo, 7, v3
	ds_read_u16 v2, v2
	v_add_co_ci_u32_e64 v4, null, 0, v1, vcc_lo
	v_lshlrev_b32_e32 v4, 2, v4
	s_waitcnt lgkmcnt(0)
	v_and_b32_e32 v5, 0xffff, v2
	ds_bpermute_b32 v4, v4, v5
	v_cmpx_o_f16_e32 v2, v2
	s_cbranch_execz .LBB237_264
; %bb.261:
	s_mov_b32 s2, exec_lo
	s_waitcnt lgkmcnt(0)
	v_cmpx_o_f16_e32 v4, v4
; %bb.262:
	v_cmp_gt_f16_e32 vcc_lo, v2, v4
	v_cndmask_b32_e32 v4, v2, v4, vcc_lo
; %bb.263:
	s_or_b32 exec_lo, exec_lo, s2
	v_mov_b32_e32 v2, v4
.LBB237_264:
	s_or_b32 exec_lo, exec_lo, s1
	v_cmp_gt_u32_e32 vcc_lo, 6, v3
	s_waitcnt lgkmcnt(0)
	v_and_b32_e32 v4, 0xffff, v2
	s_mov_b32 s1, exec_lo
	v_cndmask_b32_e64 v3, 0, 2, vcc_lo
	v_add_lshl_u32 v3, v3, v1, 2
	v_lshlrev_b32_e32 v1, 2, v1
	ds_bpermute_b32 v3, v3, v4
	v_cmpx_o_f16_e32 v2, v2
	s_cbranch_execz .LBB237_268
; %bb.265:
	s_mov_b32 s2, exec_lo
	s_waitcnt lgkmcnt(0)
	v_cmpx_o_f16_e32 v3, v3
; %bb.266:
	v_cmp_gt_f16_e32 vcc_lo, v2, v3
	v_cndmask_b32_e32 v3, v2, v3, vcc_lo
; %bb.267:
	s_or_b32 exec_lo, exec_lo, s2
	v_mov_b32_e32 v2, v3
.LBB237_268:
	s_or_b32 exec_lo, exec_lo, s1
	v_or_b32_e32 v1, 16, v1
	s_waitcnt lgkmcnt(0)
	v_and_b32_e32 v3, 0xffff, v2
	s_mov_b32 s1, exec_lo
	ds_bpermute_b32 v1, v1, v3
	v_cmpx_o_f16_e32 v2, v2
	s_cbranch_execz .LBB237_272
; %bb.269:
	s_mov_b32 s2, exec_lo
	s_waitcnt lgkmcnt(0)
	v_cmpx_o_f16_e32 v1, v1
; %bb.270:
	v_cmp_gt_f16_e32 vcc_lo, v2, v1
	v_cndmask_b32_e32 v1, v2, v1, vcc_lo
; %bb.271:
	s_or_b32 exec_lo, exec_lo, s2
	v_mov_b32_e32 v2, v1
.LBB237_272:
	s_or_b32 exec_lo, exec_lo, s1
.LBB237_273:
	s_or_b32 exec_lo, exec_lo, s0
.LBB237_274:
	s_mov_b32 s0, exec_lo
                                        ; implicit-def: $vgpr1
	v_cmpx_eq_u32_e32 0, v0
	s_cbranch_execz .LBB237_280
; %bb.275:
	v_cmp_u_f16_e64 s1, s9, s9
	s_waitcnt lgkmcnt(0)
	v_mov_b32_e32 v1, s9
	s_and_b32 vcc_lo, exec_lo, s1
	s_cbranch_vccnz .LBB237_279
; %bb.276:
	s_mov_b32 s1, exec_lo
	v_cmpx_o_f16_e32 v2, v2
; %bb.277:
	v_cmp_gt_f16_e32 vcc_lo, s9, v2
	v_cndmask_b32_e32 v2, s9, v2, vcc_lo
; %bb.278:
	s_or_b32 exec_lo, exec_lo, s1
	v_mov_b32_e32 v1, v2
.LBB237_279:
	s_or_b32 s22, s22, exec_lo
.LBB237_280:
	s_or_b32 exec_lo, exec_lo, s0
	s_and_saveexec_b32 s0, s22
	s_cbranch_execz .LBB237_282
.LBB237_281:
	s_lshl_b64 s[0:1], s[16:17], 1
	v_mov_b32_e32 v0, 0
	s_add_u32 s2, s14, s0
	s_addc_u32 s3, s15, s1
	s_lshl_b64 s[0:1], s[6:7], 1
	s_add_u32 s0, s2, s0
	s_addc_u32 s1, s3, s1
	s_waitcnt lgkmcnt(0)
	global_store_short v0, v1, s[0:1]
.LBB237_282:
	s_endpgm
	.section	.rodata,"a",@progbits
	.p2align	6, 0x0
	.amdhsa_kernel _ZN7rocprim17ROCPRIM_400000_NS6detail17trampoline_kernelINS0_14default_configENS1_32segmented_reduce_config_selectorIN3c104HalfEEEZNS1_21segmented_reduce_implIS3_PKS6_PS6_PKlS6_N6hipcub16HIPCUB_304000_NS6detail27convert_result_type_wrapperISA_SB_N2at6native12_GLOBAL__N_19CustomMinEEEEE10hipError_tPvRmT0_T1_jT2_SS_T4_T3_P12ihipStream_tbEUlT_E_NS1_11comp_targetILNS1_3genE8ELNS1_11target_archE1030ELNS1_3gpuE2ELNS1_3repE0EEENS1_30default_config_static_selectorELNS0_4arch9wavefront6targetE0EEEvSR_
		.amdhsa_group_segment_fixed_size 16
		.amdhsa_private_segment_fixed_size 0
		.amdhsa_kernarg_size 48
		.amdhsa_user_sgpr_count 6
		.amdhsa_user_sgpr_private_segment_buffer 1
		.amdhsa_user_sgpr_dispatch_ptr 0
		.amdhsa_user_sgpr_queue_ptr 0
		.amdhsa_user_sgpr_kernarg_segment_ptr 1
		.amdhsa_user_sgpr_dispatch_id 0
		.amdhsa_user_sgpr_flat_scratch_init 0
		.amdhsa_user_sgpr_private_segment_size 0
		.amdhsa_wavefront_size32 1
		.amdhsa_uses_dynamic_stack 0
		.amdhsa_system_sgpr_private_segment_wavefront_offset 0
		.amdhsa_system_sgpr_workgroup_id_x 1
		.amdhsa_system_sgpr_workgroup_id_y 0
		.amdhsa_system_sgpr_workgroup_id_z 0
		.amdhsa_system_sgpr_workgroup_info 0
		.amdhsa_system_vgpr_workitem_id 0
		.amdhsa_next_free_vgpr 15
		.amdhsa_next_free_sgpr 25
		.amdhsa_reserve_vcc 1
		.amdhsa_reserve_flat_scratch 0
		.amdhsa_float_round_mode_32 0
		.amdhsa_float_round_mode_16_64 0
		.amdhsa_float_denorm_mode_32 3
		.amdhsa_float_denorm_mode_16_64 3
		.amdhsa_dx10_clamp 1
		.amdhsa_ieee_mode 1
		.amdhsa_fp16_overflow 0
		.amdhsa_workgroup_processor_mode 1
		.amdhsa_memory_ordered 1
		.amdhsa_forward_progress 1
		.amdhsa_shared_vgpr_count 0
		.amdhsa_exception_fp_ieee_invalid_op 0
		.amdhsa_exception_fp_denorm_src 0
		.amdhsa_exception_fp_ieee_div_zero 0
		.amdhsa_exception_fp_ieee_overflow 0
		.amdhsa_exception_fp_ieee_underflow 0
		.amdhsa_exception_fp_ieee_inexact 0
		.amdhsa_exception_int_div_zero 0
	.end_amdhsa_kernel
	.section	.text._ZN7rocprim17ROCPRIM_400000_NS6detail17trampoline_kernelINS0_14default_configENS1_32segmented_reduce_config_selectorIN3c104HalfEEEZNS1_21segmented_reduce_implIS3_PKS6_PS6_PKlS6_N6hipcub16HIPCUB_304000_NS6detail27convert_result_type_wrapperISA_SB_N2at6native12_GLOBAL__N_19CustomMinEEEEE10hipError_tPvRmT0_T1_jT2_SS_T4_T3_P12ihipStream_tbEUlT_E_NS1_11comp_targetILNS1_3genE8ELNS1_11target_archE1030ELNS1_3gpuE2ELNS1_3repE0EEENS1_30default_config_static_selectorELNS0_4arch9wavefront6targetE0EEEvSR_,"axG",@progbits,_ZN7rocprim17ROCPRIM_400000_NS6detail17trampoline_kernelINS0_14default_configENS1_32segmented_reduce_config_selectorIN3c104HalfEEEZNS1_21segmented_reduce_implIS3_PKS6_PS6_PKlS6_N6hipcub16HIPCUB_304000_NS6detail27convert_result_type_wrapperISA_SB_N2at6native12_GLOBAL__N_19CustomMinEEEEE10hipError_tPvRmT0_T1_jT2_SS_T4_T3_P12ihipStream_tbEUlT_E_NS1_11comp_targetILNS1_3genE8ELNS1_11target_archE1030ELNS1_3gpuE2ELNS1_3repE0EEENS1_30default_config_static_selectorELNS0_4arch9wavefront6targetE0EEEvSR_,comdat
.Lfunc_end237:
	.size	_ZN7rocprim17ROCPRIM_400000_NS6detail17trampoline_kernelINS0_14default_configENS1_32segmented_reduce_config_selectorIN3c104HalfEEEZNS1_21segmented_reduce_implIS3_PKS6_PS6_PKlS6_N6hipcub16HIPCUB_304000_NS6detail27convert_result_type_wrapperISA_SB_N2at6native12_GLOBAL__N_19CustomMinEEEEE10hipError_tPvRmT0_T1_jT2_SS_T4_T3_P12ihipStream_tbEUlT_E_NS1_11comp_targetILNS1_3genE8ELNS1_11target_archE1030ELNS1_3gpuE2ELNS1_3repE0EEENS1_30default_config_static_selectorELNS0_4arch9wavefront6targetE0EEEvSR_, .Lfunc_end237-_ZN7rocprim17ROCPRIM_400000_NS6detail17trampoline_kernelINS0_14default_configENS1_32segmented_reduce_config_selectorIN3c104HalfEEEZNS1_21segmented_reduce_implIS3_PKS6_PS6_PKlS6_N6hipcub16HIPCUB_304000_NS6detail27convert_result_type_wrapperISA_SB_N2at6native12_GLOBAL__N_19CustomMinEEEEE10hipError_tPvRmT0_T1_jT2_SS_T4_T3_P12ihipStream_tbEUlT_E_NS1_11comp_targetILNS1_3genE8ELNS1_11target_archE1030ELNS1_3gpuE2ELNS1_3repE0EEENS1_30default_config_static_selectorELNS0_4arch9wavefront6targetE0EEEvSR_
                                        ; -- End function
	.set _ZN7rocprim17ROCPRIM_400000_NS6detail17trampoline_kernelINS0_14default_configENS1_32segmented_reduce_config_selectorIN3c104HalfEEEZNS1_21segmented_reduce_implIS3_PKS6_PS6_PKlS6_N6hipcub16HIPCUB_304000_NS6detail27convert_result_type_wrapperISA_SB_N2at6native12_GLOBAL__N_19CustomMinEEEEE10hipError_tPvRmT0_T1_jT2_SS_T4_T3_P12ihipStream_tbEUlT_E_NS1_11comp_targetILNS1_3genE8ELNS1_11target_archE1030ELNS1_3gpuE2ELNS1_3repE0EEENS1_30default_config_static_selectorELNS0_4arch9wavefront6targetE0EEEvSR_.num_vgpr, 15
	.set _ZN7rocprim17ROCPRIM_400000_NS6detail17trampoline_kernelINS0_14default_configENS1_32segmented_reduce_config_selectorIN3c104HalfEEEZNS1_21segmented_reduce_implIS3_PKS6_PS6_PKlS6_N6hipcub16HIPCUB_304000_NS6detail27convert_result_type_wrapperISA_SB_N2at6native12_GLOBAL__N_19CustomMinEEEEE10hipError_tPvRmT0_T1_jT2_SS_T4_T3_P12ihipStream_tbEUlT_E_NS1_11comp_targetILNS1_3genE8ELNS1_11target_archE1030ELNS1_3gpuE2ELNS1_3repE0EEENS1_30default_config_static_selectorELNS0_4arch9wavefront6targetE0EEEvSR_.num_agpr, 0
	.set _ZN7rocprim17ROCPRIM_400000_NS6detail17trampoline_kernelINS0_14default_configENS1_32segmented_reduce_config_selectorIN3c104HalfEEEZNS1_21segmented_reduce_implIS3_PKS6_PS6_PKlS6_N6hipcub16HIPCUB_304000_NS6detail27convert_result_type_wrapperISA_SB_N2at6native12_GLOBAL__N_19CustomMinEEEEE10hipError_tPvRmT0_T1_jT2_SS_T4_T3_P12ihipStream_tbEUlT_E_NS1_11comp_targetILNS1_3genE8ELNS1_11target_archE1030ELNS1_3gpuE2ELNS1_3repE0EEENS1_30default_config_static_selectorELNS0_4arch9wavefront6targetE0EEEvSR_.numbered_sgpr, 25
	.set _ZN7rocprim17ROCPRIM_400000_NS6detail17trampoline_kernelINS0_14default_configENS1_32segmented_reduce_config_selectorIN3c104HalfEEEZNS1_21segmented_reduce_implIS3_PKS6_PS6_PKlS6_N6hipcub16HIPCUB_304000_NS6detail27convert_result_type_wrapperISA_SB_N2at6native12_GLOBAL__N_19CustomMinEEEEE10hipError_tPvRmT0_T1_jT2_SS_T4_T3_P12ihipStream_tbEUlT_E_NS1_11comp_targetILNS1_3genE8ELNS1_11target_archE1030ELNS1_3gpuE2ELNS1_3repE0EEENS1_30default_config_static_selectorELNS0_4arch9wavefront6targetE0EEEvSR_.num_named_barrier, 0
	.set _ZN7rocprim17ROCPRIM_400000_NS6detail17trampoline_kernelINS0_14default_configENS1_32segmented_reduce_config_selectorIN3c104HalfEEEZNS1_21segmented_reduce_implIS3_PKS6_PS6_PKlS6_N6hipcub16HIPCUB_304000_NS6detail27convert_result_type_wrapperISA_SB_N2at6native12_GLOBAL__N_19CustomMinEEEEE10hipError_tPvRmT0_T1_jT2_SS_T4_T3_P12ihipStream_tbEUlT_E_NS1_11comp_targetILNS1_3genE8ELNS1_11target_archE1030ELNS1_3gpuE2ELNS1_3repE0EEENS1_30default_config_static_selectorELNS0_4arch9wavefront6targetE0EEEvSR_.private_seg_size, 0
	.set _ZN7rocprim17ROCPRIM_400000_NS6detail17trampoline_kernelINS0_14default_configENS1_32segmented_reduce_config_selectorIN3c104HalfEEEZNS1_21segmented_reduce_implIS3_PKS6_PS6_PKlS6_N6hipcub16HIPCUB_304000_NS6detail27convert_result_type_wrapperISA_SB_N2at6native12_GLOBAL__N_19CustomMinEEEEE10hipError_tPvRmT0_T1_jT2_SS_T4_T3_P12ihipStream_tbEUlT_E_NS1_11comp_targetILNS1_3genE8ELNS1_11target_archE1030ELNS1_3gpuE2ELNS1_3repE0EEENS1_30default_config_static_selectorELNS0_4arch9wavefront6targetE0EEEvSR_.uses_vcc, 1
	.set _ZN7rocprim17ROCPRIM_400000_NS6detail17trampoline_kernelINS0_14default_configENS1_32segmented_reduce_config_selectorIN3c104HalfEEEZNS1_21segmented_reduce_implIS3_PKS6_PS6_PKlS6_N6hipcub16HIPCUB_304000_NS6detail27convert_result_type_wrapperISA_SB_N2at6native12_GLOBAL__N_19CustomMinEEEEE10hipError_tPvRmT0_T1_jT2_SS_T4_T3_P12ihipStream_tbEUlT_E_NS1_11comp_targetILNS1_3genE8ELNS1_11target_archE1030ELNS1_3gpuE2ELNS1_3repE0EEENS1_30default_config_static_selectorELNS0_4arch9wavefront6targetE0EEEvSR_.uses_flat_scratch, 0
	.set _ZN7rocprim17ROCPRIM_400000_NS6detail17trampoline_kernelINS0_14default_configENS1_32segmented_reduce_config_selectorIN3c104HalfEEEZNS1_21segmented_reduce_implIS3_PKS6_PS6_PKlS6_N6hipcub16HIPCUB_304000_NS6detail27convert_result_type_wrapperISA_SB_N2at6native12_GLOBAL__N_19CustomMinEEEEE10hipError_tPvRmT0_T1_jT2_SS_T4_T3_P12ihipStream_tbEUlT_E_NS1_11comp_targetILNS1_3genE8ELNS1_11target_archE1030ELNS1_3gpuE2ELNS1_3repE0EEENS1_30default_config_static_selectorELNS0_4arch9wavefront6targetE0EEEvSR_.has_dyn_sized_stack, 0
	.set _ZN7rocprim17ROCPRIM_400000_NS6detail17trampoline_kernelINS0_14default_configENS1_32segmented_reduce_config_selectorIN3c104HalfEEEZNS1_21segmented_reduce_implIS3_PKS6_PS6_PKlS6_N6hipcub16HIPCUB_304000_NS6detail27convert_result_type_wrapperISA_SB_N2at6native12_GLOBAL__N_19CustomMinEEEEE10hipError_tPvRmT0_T1_jT2_SS_T4_T3_P12ihipStream_tbEUlT_E_NS1_11comp_targetILNS1_3genE8ELNS1_11target_archE1030ELNS1_3gpuE2ELNS1_3repE0EEENS1_30default_config_static_selectorELNS0_4arch9wavefront6targetE0EEEvSR_.has_recursion, 0
	.set _ZN7rocprim17ROCPRIM_400000_NS6detail17trampoline_kernelINS0_14default_configENS1_32segmented_reduce_config_selectorIN3c104HalfEEEZNS1_21segmented_reduce_implIS3_PKS6_PS6_PKlS6_N6hipcub16HIPCUB_304000_NS6detail27convert_result_type_wrapperISA_SB_N2at6native12_GLOBAL__N_19CustomMinEEEEE10hipError_tPvRmT0_T1_jT2_SS_T4_T3_P12ihipStream_tbEUlT_E_NS1_11comp_targetILNS1_3genE8ELNS1_11target_archE1030ELNS1_3gpuE2ELNS1_3repE0EEENS1_30default_config_static_selectorELNS0_4arch9wavefront6targetE0EEEvSR_.has_indirect_call, 0
	.section	.AMDGPU.csdata,"",@progbits
; Kernel info:
; codeLenInByte = 4840
; TotalNumSgprs: 27
; NumVgprs: 15
; ScratchSize: 0
; MemoryBound: 0
; FloatMode: 240
; IeeeMode: 1
; LDSByteSize: 16 bytes/workgroup (compile time only)
; SGPRBlocks: 0
; VGPRBlocks: 1
; NumSGPRsForWavesPerEU: 27
; NumVGPRsForWavesPerEU: 15
; Occupancy: 16
; WaveLimiterHint : 1
; COMPUTE_PGM_RSRC2:SCRATCH_EN: 0
; COMPUTE_PGM_RSRC2:USER_SGPR: 6
; COMPUTE_PGM_RSRC2:TRAP_HANDLER: 0
; COMPUTE_PGM_RSRC2:TGID_X_EN: 1
; COMPUTE_PGM_RSRC2:TGID_Y_EN: 0
; COMPUTE_PGM_RSRC2:TGID_Z_EN: 0
; COMPUTE_PGM_RSRC2:TIDIG_COMP_CNT: 0
	.section	.text._ZN7rocprim17ROCPRIM_400000_NS6detail17trampoline_kernelINS0_14default_configENS1_32segmented_reduce_config_selectorIN3c104HalfEEEZNS1_21segmented_reduce_implIS3_PKS6_PS6_PKlS6_N6hipcub16HIPCUB_304000_NS6detail27convert_result_type_wrapperISA_SB_N2at6native12_GLOBAL__N_110CustomProdEEEEE10hipError_tPvRmT0_T1_jT2_SS_T4_T3_P12ihipStream_tbEUlT_E_NS1_11comp_targetILNS1_3genE0ELNS1_11target_archE4294967295ELNS1_3gpuE0ELNS1_3repE0EEENS1_30default_config_static_selectorELNS0_4arch9wavefront6targetE0EEEvSR_,"axG",@progbits,_ZN7rocprim17ROCPRIM_400000_NS6detail17trampoline_kernelINS0_14default_configENS1_32segmented_reduce_config_selectorIN3c104HalfEEEZNS1_21segmented_reduce_implIS3_PKS6_PS6_PKlS6_N6hipcub16HIPCUB_304000_NS6detail27convert_result_type_wrapperISA_SB_N2at6native12_GLOBAL__N_110CustomProdEEEEE10hipError_tPvRmT0_T1_jT2_SS_T4_T3_P12ihipStream_tbEUlT_E_NS1_11comp_targetILNS1_3genE0ELNS1_11target_archE4294967295ELNS1_3gpuE0ELNS1_3repE0EEENS1_30default_config_static_selectorELNS0_4arch9wavefront6targetE0EEEvSR_,comdat
	.globl	_ZN7rocprim17ROCPRIM_400000_NS6detail17trampoline_kernelINS0_14default_configENS1_32segmented_reduce_config_selectorIN3c104HalfEEEZNS1_21segmented_reduce_implIS3_PKS6_PS6_PKlS6_N6hipcub16HIPCUB_304000_NS6detail27convert_result_type_wrapperISA_SB_N2at6native12_GLOBAL__N_110CustomProdEEEEE10hipError_tPvRmT0_T1_jT2_SS_T4_T3_P12ihipStream_tbEUlT_E_NS1_11comp_targetILNS1_3genE0ELNS1_11target_archE4294967295ELNS1_3gpuE0ELNS1_3repE0EEENS1_30default_config_static_selectorELNS0_4arch9wavefront6targetE0EEEvSR_ ; -- Begin function _ZN7rocprim17ROCPRIM_400000_NS6detail17trampoline_kernelINS0_14default_configENS1_32segmented_reduce_config_selectorIN3c104HalfEEEZNS1_21segmented_reduce_implIS3_PKS6_PS6_PKlS6_N6hipcub16HIPCUB_304000_NS6detail27convert_result_type_wrapperISA_SB_N2at6native12_GLOBAL__N_110CustomProdEEEEE10hipError_tPvRmT0_T1_jT2_SS_T4_T3_P12ihipStream_tbEUlT_E_NS1_11comp_targetILNS1_3genE0ELNS1_11target_archE4294967295ELNS1_3gpuE0ELNS1_3repE0EEENS1_30default_config_static_selectorELNS0_4arch9wavefront6targetE0EEEvSR_
	.p2align	8
	.type	_ZN7rocprim17ROCPRIM_400000_NS6detail17trampoline_kernelINS0_14default_configENS1_32segmented_reduce_config_selectorIN3c104HalfEEEZNS1_21segmented_reduce_implIS3_PKS6_PS6_PKlS6_N6hipcub16HIPCUB_304000_NS6detail27convert_result_type_wrapperISA_SB_N2at6native12_GLOBAL__N_110CustomProdEEEEE10hipError_tPvRmT0_T1_jT2_SS_T4_T3_P12ihipStream_tbEUlT_E_NS1_11comp_targetILNS1_3genE0ELNS1_11target_archE4294967295ELNS1_3gpuE0ELNS1_3repE0EEENS1_30default_config_static_selectorELNS0_4arch9wavefront6targetE0EEEvSR_,@function
_ZN7rocprim17ROCPRIM_400000_NS6detail17trampoline_kernelINS0_14default_configENS1_32segmented_reduce_config_selectorIN3c104HalfEEEZNS1_21segmented_reduce_implIS3_PKS6_PS6_PKlS6_N6hipcub16HIPCUB_304000_NS6detail27convert_result_type_wrapperISA_SB_N2at6native12_GLOBAL__N_110CustomProdEEEEE10hipError_tPvRmT0_T1_jT2_SS_T4_T3_P12ihipStream_tbEUlT_E_NS1_11comp_targetILNS1_3genE0ELNS1_11target_archE4294967295ELNS1_3gpuE0ELNS1_3repE0EEENS1_30default_config_static_selectorELNS0_4arch9wavefront6targetE0EEEvSR_: ; @_ZN7rocprim17ROCPRIM_400000_NS6detail17trampoline_kernelINS0_14default_configENS1_32segmented_reduce_config_selectorIN3c104HalfEEEZNS1_21segmented_reduce_implIS3_PKS6_PS6_PKlS6_N6hipcub16HIPCUB_304000_NS6detail27convert_result_type_wrapperISA_SB_N2at6native12_GLOBAL__N_110CustomProdEEEEE10hipError_tPvRmT0_T1_jT2_SS_T4_T3_P12ihipStream_tbEUlT_E_NS1_11comp_targetILNS1_3genE0ELNS1_11target_archE4294967295ELNS1_3gpuE0ELNS1_3repE0EEENS1_30default_config_static_selectorELNS0_4arch9wavefront6targetE0EEEvSR_
; %bb.0:
	.section	.rodata,"a",@progbits
	.p2align	6, 0x0
	.amdhsa_kernel _ZN7rocprim17ROCPRIM_400000_NS6detail17trampoline_kernelINS0_14default_configENS1_32segmented_reduce_config_selectorIN3c104HalfEEEZNS1_21segmented_reduce_implIS3_PKS6_PS6_PKlS6_N6hipcub16HIPCUB_304000_NS6detail27convert_result_type_wrapperISA_SB_N2at6native12_GLOBAL__N_110CustomProdEEEEE10hipError_tPvRmT0_T1_jT2_SS_T4_T3_P12ihipStream_tbEUlT_E_NS1_11comp_targetILNS1_3genE0ELNS1_11target_archE4294967295ELNS1_3gpuE0ELNS1_3repE0EEENS1_30default_config_static_selectorELNS0_4arch9wavefront6targetE0EEEvSR_
		.amdhsa_group_segment_fixed_size 0
		.amdhsa_private_segment_fixed_size 0
		.amdhsa_kernarg_size 48
		.amdhsa_user_sgpr_count 6
		.amdhsa_user_sgpr_private_segment_buffer 1
		.amdhsa_user_sgpr_dispatch_ptr 0
		.amdhsa_user_sgpr_queue_ptr 0
		.amdhsa_user_sgpr_kernarg_segment_ptr 1
		.amdhsa_user_sgpr_dispatch_id 0
		.amdhsa_user_sgpr_flat_scratch_init 0
		.amdhsa_user_sgpr_private_segment_size 0
		.amdhsa_wavefront_size32 1
		.amdhsa_uses_dynamic_stack 0
		.amdhsa_system_sgpr_private_segment_wavefront_offset 0
		.amdhsa_system_sgpr_workgroup_id_x 1
		.amdhsa_system_sgpr_workgroup_id_y 0
		.amdhsa_system_sgpr_workgroup_id_z 0
		.amdhsa_system_sgpr_workgroup_info 0
		.amdhsa_system_vgpr_workitem_id 0
		.amdhsa_next_free_vgpr 1
		.amdhsa_next_free_sgpr 1
		.amdhsa_reserve_vcc 0
		.amdhsa_reserve_flat_scratch 0
		.amdhsa_float_round_mode_32 0
		.amdhsa_float_round_mode_16_64 0
		.amdhsa_float_denorm_mode_32 3
		.amdhsa_float_denorm_mode_16_64 3
		.amdhsa_dx10_clamp 1
		.amdhsa_ieee_mode 1
		.amdhsa_fp16_overflow 0
		.amdhsa_workgroup_processor_mode 1
		.amdhsa_memory_ordered 1
		.amdhsa_forward_progress 1
		.amdhsa_shared_vgpr_count 0
		.amdhsa_exception_fp_ieee_invalid_op 0
		.amdhsa_exception_fp_denorm_src 0
		.amdhsa_exception_fp_ieee_div_zero 0
		.amdhsa_exception_fp_ieee_overflow 0
		.amdhsa_exception_fp_ieee_underflow 0
		.amdhsa_exception_fp_ieee_inexact 0
		.amdhsa_exception_int_div_zero 0
	.end_amdhsa_kernel
	.section	.text._ZN7rocprim17ROCPRIM_400000_NS6detail17trampoline_kernelINS0_14default_configENS1_32segmented_reduce_config_selectorIN3c104HalfEEEZNS1_21segmented_reduce_implIS3_PKS6_PS6_PKlS6_N6hipcub16HIPCUB_304000_NS6detail27convert_result_type_wrapperISA_SB_N2at6native12_GLOBAL__N_110CustomProdEEEEE10hipError_tPvRmT0_T1_jT2_SS_T4_T3_P12ihipStream_tbEUlT_E_NS1_11comp_targetILNS1_3genE0ELNS1_11target_archE4294967295ELNS1_3gpuE0ELNS1_3repE0EEENS1_30default_config_static_selectorELNS0_4arch9wavefront6targetE0EEEvSR_,"axG",@progbits,_ZN7rocprim17ROCPRIM_400000_NS6detail17trampoline_kernelINS0_14default_configENS1_32segmented_reduce_config_selectorIN3c104HalfEEEZNS1_21segmented_reduce_implIS3_PKS6_PS6_PKlS6_N6hipcub16HIPCUB_304000_NS6detail27convert_result_type_wrapperISA_SB_N2at6native12_GLOBAL__N_110CustomProdEEEEE10hipError_tPvRmT0_T1_jT2_SS_T4_T3_P12ihipStream_tbEUlT_E_NS1_11comp_targetILNS1_3genE0ELNS1_11target_archE4294967295ELNS1_3gpuE0ELNS1_3repE0EEENS1_30default_config_static_selectorELNS0_4arch9wavefront6targetE0EEEvSR_,comdat
.Lfunc_end238:
	.size	_ZN7rocprim17ROCPRIM_400000_NS6detail17trampoline_kernelINS0_14default_configENS1_32segmented_reduce_config_selectorIN3c104HalfEEEZNS1_21segmented_reduce_implIS3_PKS6_PS6_PKlS6_N6hipcub16HIPCUB_304000_NS6detail27convert_result_type_wrapperISA_SB_N2at6native12_GLOBAL__N_110CustomProdEEEEE10hipError_tPvRmT0_T1_jT2_SS_T4_T3_P12ihipStream_tbEUlT_E_NS1_11comp_targetILNS1_3genE0ELNS1_11target_archE4294967295ELNS1_3gpuE0ELNS1_3repE0EEENS1_30default_config_static_selectorELNS0_4arch9wavefront6targetE0EEEvSR_, .Lfunc_end238-_ZN7rocprim17ROCPRIM_400000_NS6detail17trampoline_kernelINS0_14default_configENS1_32segmented_reduce_config_selectorIN3c104HalfEEEZNS1_21segmented_reduce_implIS3_PKS6_PS6_PKlS6_N6hipcub16HIPCUB_304000_NS6detail27convert_result_type_wrapperISA_SB_N2at6native12_GLOBAL__N_110CustomProdEEEEE10hipError_tPvRmT0_T1_jT2_SS_T4_T3_P12ihipStream_tbEUlT_E_NS1_11comp_targetILNS1_3genE0ELNS1_11target_archE4294967295ELNS1_3gpuE0ELNS1_3repE0EEENS1_30default_config_static_selectorELNS0_4arch9wavefront6targetE0EEEvSR_
                                        ; -- End function
	.set _ZN7rocprim17ROCPRIM_400000_NS6detail17trampoline_kernelINS0_14default_configENS1_32segmented_reduce_config_selectorIN3c104HalfEEEZNS1_21segmented_reduce_implIS3_PKS6_PS6_PKlS6_N6hipcub16HIPCUB_304000_NS6detail27convert_result_type_wrapperISA_SB_N2at6native12_GLOBAL__N_110CustomProdEEEEE10hipError_tPvRmT0_T1_jT2_SS_T4_T3_P12ihipStream_tbEUlT_E_NS1_11comp_targetILNS1_3genE0ELNS1_11target_archE4294967295ELNS1_3gpuE0ELNS1_3repE0EEENS1_30default_config_static_selectorELNS0_4arch9wavefront6targetE0EEEvSR_.num_vgpr, 0
	.set _ZN7rocprim17ROCPRIM_400000_NS6detail17trampoline_kernelINS0_14default_configENS1_32segmented_reduce_config_selectorIN3c104HalfEEEZNS1_21segmented_reduce_implIS3_PKS6_PS6_PKlS6_N6hipcub16HIPCUB_304000_NS6detail27convert_result_type_wrapperISA_SB_N2at6native12_GLOBAL__N_110CustomProdEEEEE10hipError_tPvRmT0_T1_jT2_SS_T4_T3_P12ihipStream_tbEUlT_E_NS1_11comp_targetILNS1_3genE0ELNS1_11target_archE4294967295ELNS1_3gpuE0ELNS1_3repE0EEENS1_30default_config_static_selectorELNS0_4arch9wavefront6targetE0EEEvSR_.num_agpr, 0
	.set _ZN7rocprim17ROCPRIM_400000_NS6detail17trampoline_kernelINS0_14default_configENS1_32segmented_reduce_config_selectorIN3c104HalfEEEZNS1_21segmented_reduce_implIS3_PKS6_PS6_PKlS6_N6hipcub16HIPCUB_304000_NS6detail27convert_result_type_wrapperISA_SB_N2at6native12_GLOBAL__N_110CustomProdEEEEE10hipError_tPvRmT0_T1_jT2_SS_T4_T3_P12ihipStream_tbEUlT_E_NS1_11comp_targetILNS1_3genE0ELNS1_11target_archE4294967295ELNS1_3gpuE0ELNS1_3repE0EEENS1_30default_config_static_selectorELNS0_4arch9wavefront6targetE0EEEvSR_.numbered_sgpr, 0
	.set _ZN7rocprim17ROCPRIM_400000_NS6detail17trampoline_kernelINS0_14default_configENS1_32segmented_reduce_config_selectorIN3c104HalfEEEZNS1_21segmented_reduce_implIS3_PKS6_PS6_PKlS6_N6hipcub16HIPCUB_304000_NS6detail27convert_result_type_wrapperISA_SB_N2at6native12_GLOBAL__N_110CustomProdEEEEE10hipError_tPvRmT0_T1_jT2_SS_T4_T3_P12ihipStream_tbEUlT_E_NS1_11comp_targetILNS1_3genE0ELNS1_11target_archE4294967295ELNS1_3gpuE0ELNS1_3repE0EEENS1_30default_config_static_selectorELNS0_4arch9wavefront6targetE0EEEvSR_.num_named_barrier, 0
	.set _ZN7rocprim17ROCPRIM_400000_NS6detail17trampoline_kernelINS0_14default_configENS1_32segmented_reduce_config_selectorIN3c104HalfEEEZNS1_21segmented_reduce_implIS3_PKS6_PS6_PKlS6_N6hipcub16HIPCUB_304000_NS6detail27convert_result_type_wrapperISA_SB_N2at6native12_GLOBAL__N_110CustomProdEEEEE10hipError_tPvRmT0_T1_jT2_SS_T4_T3_P12ihipStream_tbEUlT_E_NS1_11comp_targetILNS1_3genE0ELNS1_11target_archE4294967295ELNS1_3gpuE0ELNS1_3repE0EEENS1_30default_config_static_selectorELNS0_4arch9wavefront6targetE0EEEvSR_.private_seg_size, 0
	.set _ZN7rocprim17ROCPRIM_400000_NS6detail17trampoline_kernelINS0_14default_configENS1_32segmented_reduce_config_selectorIN3c104HalfEEEZNS1_21segmented_reduce_implIS3_PKS6_PS6_PKlS6_N6hipcub16HIPCUB_304000_NS6detail27convert_result_type_wrapperISA_SB_N2at6native12_GLOBAL__N_110CustomProdEEEEE10hipError_tPvRmT0_T1_jT2_SS_T4_T3_P12ihipStream_tbEUlT_E_NS1_11comp_targetILNS1_3genE0ELNS1_11target_archE4294967295ELNS1_3gpuE0ELNS1_3repE0EEENS1_30default_config_static_selectorELNS0_4arch9wavefront6targetE0EEEvSR_.uses_vcc, 0
	.set _ZN7rocprim17ROCPRIM_400000_NS6detail17trampoline_kernelINS0_14default_configENS1_32segmented_reduce_config_selectorIN3c104HalfEEEZNS1_21segmented_reduce_implIS3_PKS6_PS6_PKlS6_N6hipcub16HIPCUB_304000_NS6detail27convert_result_type_wrapperISA_SB_N2at6native12_GLOBAL__N_110CustomProdEEEEE10hipError_tPvRmT0_T1_jT2_SS_T4_T3_P12ihipStream_tbEUlT_E_NS1_11comp_targetILNS1_3genE0ELNS1_11target_archE4294967295ELNS1_3gpuE0ELNS1_3repE0EEENS1_30default_config_static_selectorELNS0_4arch9wavefront6targetE0EEEvSR_.uses_flat_scratch, 0
	.set _ZN7rocprim17ROCPRIM_400000_NS6detail17trampoline_kernelINS0_14default_configENS1_32segmented_reduce_config_selectorIN3c104HalfEEEZNS1_21segmented_reduce_implIS3_PKS6_PS6_PKlS6_N6hipcub16HIPCUB_304000_NS6detail27convert_result_type_wrapperISA_SB_N2at6native12_GLOBAL__N_110CustomProdEEEEE10hipError_tPvRmT0_T1_jT2_SS_T4_T3_P12ihipStream_tbEUlT_E_NS1_11comp_targetILNS1_3genE0ELNS1_11target_archE4294967295ELNS1_3gpuE0ELNS1_3repE0EEENS1_30default_config_static_selectorELNS0_4arch9wavefront6targetE0EEEvSR_.has_dyn_sized_stack, 0
	.set _ZN7rocprim17ROCPRIM_400000_NS6detail17trampoline_kernelINS0_14default_configENS1_32segmented_reduce_config_selectorIN3c104HalfEEEZNS1_21segmented_reduce_implIS3_PKS6_PS6_PKlS6_N6hipcub16HIPCUB_304000_NS6detail27convert_result_type_wrapperISA_SB_N2at6native12_GLOBAL__N_110CustomProdEEEEE10hipError_tPvRmT0_T1_jT2_SS_T4_T3_P12ihipStream_tbEUlT_E_NS1_11comp_targetILNS1_3genE0ELNS1_11target_archE4294967295ELNS1_3gpuE0ELNS1_3repE0EEENS1_30default_config_static_selectorELNS0_4arch9wavefront6targetE0EEEvSR_.has_recursion, 0
	.set _ZN7rocprim17ROCPRIM_400000_NS6detail17trampoline_kernelINS0_14default_configENS1_32segmented_reduce_config_selectorIN3c104HalfEEEZNS1_21segmented_reduce_implIS3_PKS6_PS6_PKlS6_N6hipcub16HIPCUB_304000_NS6detail27convert_result_type_wrapperISA_SB_N2at6native12_GLOBAL__N_110CustomProdEEEEE10hipError_tPvRmT0_T1_jT2_SS_T4_T3_P12ihipStream_tbEUlT_E_NS1_11comp_targetILNS1_3genE0ELNS1_11target_archE4294967295ELNS1_3gpuE0ELNS1_3repE0EEENS1_30default_config_static_selectorELNS0_4arch9wavefront6targetE0EEEvSR_.has_indirect_call, 0
	.section	.AMDGPU.csdata,"",@progbits
; Kernel info:
; codeLenInByte = 0
; TotalNumSgprs: 0
; NumVgprs: 0
; ScratchSize: 0
; MemoryBound: 0
; FloatMode: 240
; IeeeMode: 1
; LDSByteSize: 0 bytes/workgroup (compile time only)
; SGPRBlocks: 0
; VGPRBlocks: 0
; NumSGPRsForWavesPerEU: 1
; NumVGPRsForWavesPerEU: 1
; Occupancy: 16
; WaveLimiterHint : 0
; COMPUTE_PGM_RSRC2:SCRATCH_EN: 0
; COMPUTE_PGM_RSRC2:USER_SGPR: 6
; COMPUTE_PGM_RSRC2:TRAP_HANDLER: 0
; COMPUTE_PGM_RSRC2:TGID_X_EN: 1
; COMPUTE_PGM_RSRC2:TGID_Y_EN: 0
; COMPUTE_PGM_RSRC2:TGID_Z_EN: 0
; COMPUTE_PGM_RSRC2:TIDIG_COMP_CNT: 0
	.section	.text._ZN7rocprim17ROCPRIM_400000_NS6detail17trampoline_kernelINS0_14default_configENS1_32segmented_reduce_config_selectorIN3c104HalfEEEZNS1_21segmented_reduce_implIS3_PKS6_PS6_PKlS6_N6hipcub16HIPCUB_304000_NS6detail27convert_result_type_wrapperISA_SB_N2at6native12_GLOBAL__N_110CustomProdEEEEE10hipError_tPvRmT0_T1_jT2_SS_T4_T3_P12ihipStream_tbEUlT_E_NS1_11comp_targetILNS1_3genE5ELNS1_11target_archE942ELNS1_3gpuE9ELNS1_3repE0EEENS1_30default_config_static_selectorELNS0_4arch9wavefront6targetE0EEEvSR_,"axG",@progbits,_ZN7rocprim17ROCPRIM_400000_NS6detail17trampoline_kernelINS0_14default_configENS1_32segmented_reduce_config_selectorIN3c104HalfEEEZNS1_21segmented_reduce_implIS3_PKS6_PS6_PKlS6_N6hipcub16HIPCUB_304000_NS6detail27convert_result_type_wrapperISA_SB_N2at6native12_GLOBAL__N_110CustomProdEEEEE10hipError_tPvRmT0_T1_jT2_SS_T4_T3_P12ihipStream_tbEUlT_E_NS1_11comp_targetILNS1_3genE5ELNS1_11target_archE942ELNS1_3gpuE9ELNS1_3repE0EEENS1_30default_config_static_selectorELNS0_4arch9wavefront6targetE0EEEvSR_,comdat
	.globl	_ZN7rocprim17ROCPRIM_400000_NS6detail17trampoline_kernelINS0_14default_configENS1_32segmented_reduce_config_selectorIN3c104HalfEEEZNS1_21segmented_reduce_implIS3_PKS6_PS6_PKlS6_N6hipcub16HIPCUB_304000_NS6detail27convert_result_type_wrapperISA_SB_N2at6native12_GLOBAL__N_110CustomProdEEEEE10hipError_tPvRmT0_T1_jT2_SS_T4_T3_P12ihipStream_tbEUlT_E_NS1_11comp_targetILNS1_3genE5ELNS1_11target_archE942ELNS1_3gpuE9ELNS1_3repE0EEENS1_30default_config_static_selectorELNS0_4arch9wavefront6targetE0EEEvSR_ ; -- Begin function _ZN7rocprim17ROCPRIM_400000_NS6detail17trampoline_kernelINS0_14default_configENS1_32segmented_reduce_config_selectorIN3c104HalfEEEZNS1_21segmented_reduce_implIS3_PKS6_PS6_PKlS6_N6hipcub16HIPCUB_304000_NS6detail27convert_result_type_wrapperISA_SB_N2at6native12_GLOBAL__N_110CustomProdEEEEE10hipError_tPvRmT0_T1_jT2_SS_T4_T3_P12ihipStream_tbEUlT_E_NS1_11comp_targetILNS1_3genE5ELNS1_11target_archE942ELNS1_3gpuE9ELNS1_3repE0EEENS1_30default_config_static_selectorELNS0_4arch9wavefront6targetE0EEEvSR_
	.p2align	8
	.type	_ZN7rocprim17ROCPRIM_400000_NS6detail17trampoline_kernelINS0_14default_configENS1_32segmented_reduce_config_selectorIN3c104HalfEEEZNS1_21segmented_reduce_implIS3_PKS6_PS6_PKlS6_N6hipcub16HIPCUB_304000_NS6detail27convert_result_type_wrapperISA_SB_N2at6native12_GLOBAL__N_110CustomProdEEEEE10hipError_tPvRmT0_T1_jT2_SS_T4_T3_P12ihipStream_tbEUlT_E_NS1_11comp_targetILNS1_3genE5ELNS1_11target_archE942ELNS1_3gpuE9ELNS1_3repE0EEENS1_30default_config_static_selectorELNS0_4arch9wavefront6targetE0EEEvSR_,@function
_ZN7rocprim17ROCPRIM_400000_NS6detail17trampoline_kernelINS0_14default_configENS1_32segmented_reduce_config_selectorIN3c104HalfEEEZNS1_21segmented_reduce_implIS3_PKS6_PS6_PKlS6_N6hipcub16HIPCUB_304000_NS6detail27convert_result_type_wrapperISA_SB_N2at6native12_GLOBAL__N_110CustomProdEEEEE10hipError_tPvRmT0_T1_jT2_SS_T4_T3_P12ihipStream_tbEUlT_E_NS1_11comp_targetILNS1_3genE5ELNS1_11target_archE942ELNS1_3gpuE9ELNS1_3repE0EEENS1_30default_config_static_selectorELNS0_4arch9wavefront6targetE0EEEvSR_: ; @_ZN7rocprim17ROCPRIM_400000_NS6detail17trampoline_kernelINS0_14default_configENS1_32segmented_reduce_config_selectorIN3c104HalfEEEZNS1_21segmented_reduce_implIS3_PKS6_PS6_PKlS6_N6hipcub16HIPCUB_304000_NS6detail27convert_result_type_wrapperISA_SB_N2at6native12_GLOBAL__N_110CustomProdEEEEE10hipError_tPvRmT0_T1_jT2_SS_T4_T3_P12ihipStream_tbEUlT_E_NS1_11comp_targetILNS1_3genE5ELNS1_11target_archE942ELNS1_3gpuE9ELNS1_3repE0EEENS1_30default_config_static_selectorELNS0_4arch9wavefront6targetE0EEEvSR_
; %bb.0:
	.section	.rodata,"a",@progbits
	.p2align	6, 0x0
	.amdhsa_kernel _ZN7rocprim17ROCPRIM_400000_NS6detail17trampoline_kernelINS0_14default_configENS1_32segmented_reduce_config_selectorIN3c104HalfEEEZNS1_21segmented_reduce_implIS3_PKS6_PS6_PKlS6_N6hipcub16HIPCUB_304000_NS6detail27convert_result_type_wrapperISA_SB_N2at6native12_GLOBAL__N_110CustomProdEEEEE10hipError_tPvRmT0_T1_jT2_SS_T4_T3_P12ihipStream_tbEUlT_E_NS1_11comp_targetILNS1_3genE5ELNS1_11target_archE942ELNS1_3gpuE9ELNS1_3repE0EEENS1_30default_config_static_selectorELNS0_4arch9wavefront6targetE0EEEvSR_
		.amdhsa_group_segment_fixed_size 0
		.amdhsa_private_segment_fixed_size 0
		.amdhsa_kernarg_size 48
		.amdhsa_user_sgpr_count 6
		.amdhsa_user_sgpr_private_segment_buffer 1
		.amdhsa_user_sgpr_dispatch_ptr 0
		.amdhsa_user_sgpr_queue_ptr 0
		.amdhsa_user_sgpr_kernarg_segment_ptr 1
		.amdhsa_user_sgpr_dispatch_id 0
		.amdhsa_user_sgpr_flat_scratch_init 0
		.amdhsa_user_sgpr_private_segment_size 0
		.amdhsa_wavefront_size32 1
		.amdhsa_uses_dynamic_stack 0
		.amdhsa_system_sgpr_private_segment_wavefront_offset 0
		.amdhsa_system_sgpr_workgroup_id_x 1
		.amdhsa_system_sgpr_workgroup_id_y 0
		.amdhsa_system_sgpr_workgroup_id_z 0
		.amdhsa_system_sgpr_workgroup_info 0
		.amdhsa_system_vgpr_workitem_id 0
		.amdhsa_next_free_vgpr 1
		.amdhsa_next_free_sgpr 1
		.amdhsa_reserve_vcc 0
		.amdhsa_reserve_flat_scratch 0
		.amdhsa_float_round_mode_32 0
		.amdhsa_float_round_mode_16_64 0
		.amdhsa_float_denorm_mode_32 3
		.amdhsa_float_denorm_mode_16_64 3
		.amdhsa_dx10_clamp 1
		.amdhsa_ieee_mode 1
		.amdhsa_fp16_overflow 0
		.amdhsa_workgroup_processor_mode 1
		.amdhsa_memory_ordered 1
		.amdhsa_forward_progress 1
		.amdhsa_shared_vgpr_count 0
		.amdhsa_exception_fp_ieee_invalid_op 0
		.amdhsa_exception_fp_denorm_src 0
		.amdhsa_exception_fp_ieee_div_zero 0
		.amdhsa_exception_fp_ieee_overflow 0
		.amdhsa_exception_fp_ieee_underflow 0
		.amdhsa_exception_fp_ieee_inexact 0
		.amdhsa_exception_int_div_zero 0
	.end_amdhsa_kernel
	.section	.text._ZN7rocprim17ROCPRIM_400000_NS6detail17trampoline_kernelINS0_14default_configENS1_32segmented_reduce_config_selectorIN3c104HalfEEEZNS1_21segmented_reduce_implIS3_PKS6_PS6_PKlS6_N6hipcub16HIPCUB_304000_NS6detail27convert_result_type_wrapperISA_SB_N2at6native12_GLOBAL__N_110CustomProdEEEEE10hipError_tPvRmT0_T1_jT2_SS_T4_T3_P12ihipStream_tbEUlT_E_NS1_11comp_targetILNS1_3genE5ELNS1_11target_archE942ELNS1_3gpuE9ELNS1_3repE0EEENS1_30default_config_static_selectorELNS0_4arch9wavefront6targetE0EEEvSR_,"axG",@progbits,_ZN7rocprim17ROCPRIM_400000_NS6detail17trampoline_kernelINS0_14default_configENS1_32segmented_reduce_config_selectorIN3c104HalfEEEZNS1_21segmented_reduce_implIS3_PKS6_PS6_PKlS6_N6hipcub16HIPCUB_304000_NS6detail27convert_result_type_wrapperISA_SB_N2at6native12_GLOBAL__N_110CustomProdEEEEE10hipError_tPvRmT0_T1_jT2_SS_T4_T3_P12ihipStream_tbEUlT_E_NS1_11comp_targetILNS1_3genE5ELNS1_11target_archE942ELNS1_3gpuE9ELNS1_3repE0EEENS1_30default_config_static_selectorELNS0_4arch9wavefront6targetE0EEEvSR_,comdat
.Lfunc_end239:
	.size	_ZN7rocprim17ROCPRIM_400000_NS6detail17trampoline_kernelINS0_14default_configENS1_32segmented_reduce_config_selectorIN3c104HalfEEEZNS1_21segmented_reduce_implIS3_PKS6_PS6_PKlS6_N6hipcub16HIPCUB_304000_NS6detail27convert_result_type_wrapperISA_SB_N2at6native12_GLOBAL__N_110CustomProdEEEEE10hipError_tPvRmT0_T1_jT2_SS_T4_T3_P12ihipStream_tbEUlT_E_NS1_11comp_targetILNS1_3genE5ELNS1_11target_archE942ELNS1_3gpuE9ELNS1_3repE0EEENS1_30default_config_static_selectorELNS0_4arch9wavefront6targetE0EEEvSR_, .Lfunc_end239-_ZN7rocprim17ROCPRIM_400000_NS6detail17trampoline_kernelINS0_14default_configENS1_32segmented_reduce_config_selectorIN3c104HalfEEEZNS1_21segmented_reduce_implIS3_PKS6_PS6_PKlS6_N6hipcub16HIPCUB_304000_NS6detail27convert_result_type_wrapperISA_SB_N2at6native12_GLOBAL__N_110CustomProdEEEEE10hipError_tPvRmT0_T1_jT2_SS_T4_T3_P12ihipStream_tbEUlT_E_NS1_11comp_targetILNS1_3genE5ELNS1_11target_archE942ELNS1_3gpuE9ELNS1_3repE0EEENS1_30default_config_static_selectorELNS0_4arch9wavefront6targetE0EEEvSR_
                                        ; -- End function
	.set _ZN7rocprim17ROCPRIM_400000_NS6detail17trampoline_kernelINS0_14default_configENS1_32segmented_reduce_config_selectorIN3c104HalfEEEZNS1_21segmented_reduce_implIS3_PKS6_PS6_PKlS6_N6hipcub16HIPCUB_304000_NS6detail27convert_result_type_wrapperISA_SB_N2at6native12_GLOBAL__N_110CustomProdEEEEE10hipError_tPvRmT0_T1_jT2_SS_T4_T3_P12ihipStream_tbEUlT_E_NS1_11comp_targetILNS1_3genE5ELNS1_11target_archE942ELNS1_3gpuE9ELNS1_3repE0EEENS1_30default_config_static_selectorELNS0_4arch9wavefront6targetE0EEEvSR_.num_vgpr, 0
	.set _ZN7rocprim17ROCPRIM_400000_NS6detail17trampoline_kernelINS0_14default_configENS1_32segmented_reduce_config_selectorIN3c104HalfEEEZNS1_21segmented_reduce_implIS3_PKS6_PS6_PKlS6_N6hipcub16HIPCUB_304000_NS6detail27convert_result_type_wrapperISA_SB_N2at6native12_GLOBAL__N_110CustomProdEEEEE10hipError_tPvRmT0_T1_jT2_SS_T4_T3_P12ihipStream_tbEUlT_E_NS1_11comp_targetILNS1_3genE5ELNS1_11target_archE942ELNS1_3gpuE9ELNS1_3repE0EEENS1_30default_config_static_selectorELNS0_4arch9wavefront6targetE0EEEvSR_.num_agpr, 0
	.set _ZN7rocprim17ROCPRIM_400000_NS6detail17trampoline_kernelINS0_14default_configENS1_32segmented_reduce_config_selectorIN3c104HalfEEEZNS1_21segmented_reduce_implIS3_PKS6_PS6_PKlS6_N6hipcub16HIPCUB_304000_NS6detail27convert_result_type_wrapperISA_SB_N2at6native12_GLOBAL__N_110CustomProdEEEEE10hipError_tPvRmT0_T1_jT2_SS_T4_T3_P12ihipStream_tbEUlT_E_NS1_11comp_targetILNS1_3genE5ELNS1_11target_archE942ELNS1_3gpuE9ELNS1_3repE0EEENS1_30default_config_static_selectorELNS0_4arch9wavefront6targetE0EEEvSR_.numbered_sgpr, 0
	.set _ZN7rocprim17ROCPRIM_400000_NS6detail17trampoline_kernelINS0_14default_configENS1_32segmented_reduce_config_selectorIN3c104HalfEEEZNS1_21segmented_reduce_implIS3_PKS6_PS6_PKlS6_N6hipcub16HIPCUB_304000_NS6detail27convert_result_type_wrapperISA_SB_N2at6native12_GLOBAL__N_110CustomProdEEEEE10hipError_tPvRmT0_T1_jT2_SS_T4_T3_P12ihipStream_tbEUlT_E_NS1_11comp_targetILNS1_3genE5ELNS1_11target_archE942ELNS1_3gpuE9ELNS1_3repE0EEENS1_30default_config_static_selectorELNS0_4arch9wavefront6targetE0EEEvSR_.num_named_barrier, 0
	.set _ZN7rocprim17ROCPRIM_400000_NS6detail17trampoline_kernelINS0_14default_configENS1_32segmented_reduce_config_selectorIN3c104HalfEEEZNS1_21segmented_reduce_implIS3_PKS6_PS6_PKlS6_N6hipcub16HIPCUB_304000_NS6detail27convert_result_type_wrapperISA_SB_N2at6native12_GLOBAL__N_110CustomProdEEEEE10hipError_tPvRmT0_T1_jT2_SS_T4_T3_P12ihipStream_tbEUlT_E_NS1_11comp_targetILNS1_3genE5ELNS1_11target_archE942ELNS1_3gpuE9ELNS1_3repE0EEENS1_30default_config_static_selectorELNS0_4arch9wavefront6targetE0EEEvSR_.private_seg_size, 0
	.set _ZN7rocprim17ROCPRIM_400000_NS6detail17trampoline_kernelINS0_14default_configENS1_32segmented_reduce_config_selectorIN3c104HalfEEEZNS1_21segmented_reduce_implIS3_PKS6_PS6_PKlS6_N6hipcub16HIPCUB_304000_NS6detail27convert_result_type_wrapperISA_SB_N2at6native12_GLOBAL__N_110CustomProdEEEEE10hipError_tPvRmT0_T1_jT2_SS_T4_T3_P12ihipStream_tbEUlT_E_NS1_11comp_targetILNS1_3genE5ELNS1_11target_archE942ELNS1_3gpuE9ELNS1_3repE0EEENS1_30default_config_static_selectorELNS0_4arch9wavefront6targetE0EEEvSR_.uses_vcc, 0
	.set _ZN7rocprim17ROCPRIM_400000_NS6detail17trampoline_kernelINS0_14default_configENS1_32segmented_reduce_config_selectorIN3c104HalfEEEZNS1_21segmented_reduce_implIS3_PKS6_PS6_PKlS6_N6hipcub16HIPCUB_304000_NS6detail27convert_result_type_wrapperISA_SB_N2at6native12_GLOBAL__N_110CustomProdEEEEE10hipError_tPvRmT0_T1_jT2_SS_T4_T3_P12ihipStream_tbEUlT_E_NS1_11comp_targetILNS1_3genE5ELNS1_11target_archE942ELNS1_3gpuE9ELNS1_3repE0EEENS1_30default_config_static_selectorELNS0_4arch9wavefront6targetE0EEEvSR_.uses_flat_scratch, 0
	.set _ZN7rocprim17ROCPRIM_400000_NS6detail17trampoline_kernelINS0_14default_configENS1_32segmented_reduce_config_selectorIN3c104HalfEEEZNS1_21segmented_reduce_implIS3_PKS6_PS6_PKlS6_N6hipcub16HIPCUB_304000_NS6detail27convert_result_type_wrapperISA_SB_N2at6native12_GLOBAL__N_110CustomProdEEEEE10hipError_tPvRmT0_T1_jT2_SS_T4_T3_P12ihipStream_tbEUlT_E_NS1_11comp_targetILNS1_3genE5ELNS1_11target_archE942ELNS1_3gpuE9ELNS1_3repE0EEENS1_30default_config_static_selectorELNS0_4arch9wavefront6targetE0EEEvSR_.has_dyn_sized_stack, 0
	.set _ZN7rocprim17ROCPRIM_400000_NS6detail17trampoline_kernelINS0_14default_configENS1_32segmented_reduce_config_selectorIN3c104HalfEEEZNS1_21segmented_reduce_implIS3_PKS6_PS6_PKlS6_N6hipcub16HIPCUB_304000_NS6detail27convert_result_type_wrapperISA_SB_N2at6native12_GLOBAL__N_110CustomProdEEEEE10hipError_tPvRmT0_T1_jT2_SS_T4_T3_P12ihipStream_tbEUlT_E_NS1_11comp_targetILNS1_3genE5ELNS1_11target_archE942ELNS1_3gpuE9ELNS1_3repE0EEENS1_30default_config_static_selectorELNS0_4arch9wavefront6targetE0EEEvSR_.has_recursion, 0
	.set _ZN7rocprim17ROCPRIM_400000_NS6detail17trampoline_kernelINS0_14default_configENS1_32segmented_reduce_config_selectorIN3c104HalfEEEZNS1_21segmented_reduce_implIS3_PKS6_PS6_PKlS6_N6hipcub16HIPCUB_304000_NS6detail27convert_result_type_wrapperISA_SB_N2at6native12_GLOBAL__N_110CustomProdEEEEE10hipError_tPvRmT0_T1_jT2_SS_T4_T3_P12ihipStream_tbEUlT_E_NS1_11comp_targetILNS1_3genE5ELNS1_11target_archE942ELNS1_3gpuE9ELNS1_3repE0EEENS1_30default_config_static_selectorELNS0_4arch9wavefront6targetE0EEEvSR_.has_indirect_call, 0
	.section	.AMDGPU.csdata,"",@progbits
; Kernel info:
; codeLenInByte = 0
; TotalNumSgprs: 0
; NumVgprs: 0
; ScratchSize: 0
; MemoryBound: 0
; FloatMode: 240
; IeeeMode: 1
; LDSByteSize: 0 bytes/workgroup (compile time only)
; SGPRBlocks: 0
; VGPRBlocks: 0
; NumSGPRsForWavesPerEU: 1
; NumVGPRsForWavesPerEU: 1
; Occupancy: 16
; WaveLimiterHint : 0
; COMPUTE_PGM_RSRC2:SCRATCH_EN: 0
; COMPUTE_PGM_RSRC2:USER_SGPR: 6
; COMPUTE_PGM_RSRC2:TRAP_HANDLER: 0
; COMPUTE_PGM_RSRC2:TGID_X_EN: 1
; COMPUTE_PGM_RSRC2:TGID_Y_EN: 0
; COMPUTE_PGM_RSRC2:TGID_Z_EN: 0
; COMPUTE_PGM_RSRC2:TIDIG_COMP_CNT: 0
	.section	.text._ZN7rocprim17ROCPRIM_400000_NS6detail17trampoline_kernelINS0_14default_configENS1_32segmented_reduce_config_selectorIN3c104HalfEEEZNS1_21segmented_reduce_implIS3_PKS6_PS6_PKlS6_N6hipcub16HIPCUB_304000_NS6detail27convert_result_type_wrapperISA_SB_N2at6native12_GLOBAL__N_110CustomProdEEEEE10hipError_tPvRmT0_T1_jT2_SS_T4_T3_P12ihipStream_tbEUlT_E_NS1_11comp_targetILNS1_3genE10ELNS1_11target_archE1201ELNS1_3gpuE5ELNS1_3repE0EEENS1_30default_config_static_selectorELNS0_4arch9wavefront6targetE0EEEvSR_,"axG",@progbits,_ZN7rocprim17ROCPRIM_400000_NS6detail17trampoline_kernelINS0_14default_configENS1_32segmented_reduce_config_selectorIN3c104HalfEEEZNS1_21segmented_reduce_implIS3_PKS6_PS6_PKlS6_N6hipcub16HIPCUB_304000_NS6detail27convert_result_type_wrapperISA_SB_N2at6native12_GLOBAL__N_110CustomProdEEEEE10hipError_tPvRmT0_T1_jT2_SS_T4_T3_P12ihipStream_tbEUlT_E_NS1_11comp_targetILNS1_3genE10ELNS1_11target_archE1201ELNS1_3gpuE5ELNS1_3repE0EEENS1_30default_config_static_selectorELNS0_4arch9wavefront6targetE0EEEvSR_,comdat
	.globl	_ZN7rocprim17ROCPRIM_400000_NS6detail17trampoline_kernelINS0_14default_configENS1_32segmented_reduce_config_selectorIN3c104HalfEEEZNS1_21segmented_reduce_implIS3_PKS6_PS6_PKlS6_N6hipcub16HIPCUB_304000_NS6detail27convert_result_type_wrapperISA_SB_N2at6native12_GLOBAL__N_110CustomProdEEEEE10hipError_tPvRmT0_T1_jT2_SS_T4_T3_P12ihipStream_tbEUlT_E_NS1_11comp_targetILNS1_3genE10ELNS1_11target_archE1201ELNS1_3gpuE5ELNS1_3repE0EEENS1_30default_config_static_selectorELNS0_4arch9wavefront6targetE0EEEvSR_ ; -- Begin function _ZN7rocprim17ROCPRIM_400000_NS6detail17trampoline_kernelINS0_14default_configENS1_32segmented_reduce_config_selectorIN3c104HalfEEEZNS1_21segmented_reduce_implIS3_PKS6_PS6_PKlS6_N6hipcub16HIPCUB_304000_NS6detail27convert_result_type_wrapperISA_SB_N2at6native12_GLOBAL__N_110CustomProdEEEEE10hipError_tPvRmT0_T1_jT2_SS_T4_T3_P12ihipStream_tbEUlT_E_NS1_11comp_targetILNS1_3genE10ELNS1_11target_archE1201ELNS1_3gpuE5ELNS1_3repE0EEENS1_30default_config_static_selectorELNS0_4arch9wavefront6targetE0EEEvSR_
	.p2align	8
	.type	_ZN7rocprim17ROCPRIM_400000_NS6detail17trampoline_kernelINS0_14default_configENS1_32segmented_reduce_config_selectorIN3c104HalfEEEZNS1_21segmented_reduce_implIS3_PKS6_PS6_PKlS6_N6hipcub16HIPCUB_304000_NS6detail27convert_result_type_wrapperISA_SB_N2at6native12_GLOBAL__N_110CustomProdEEEEE10hipError_tPvRmT0_T1_jT2_SS_T4_T3_P12ihipStream_tbEUlT_E_NS1_11comp_targetILNS1_3genE10ELNS1_11target_archE1201ELNS1_3gpuE5ELNS1_3repE0EEENS1_30default_config_static_selectorELNS0_4arch9wavefront6targetE0EEEvSR_,@function
_ZN7rocprim17ROCPRIM_400000_NS6detail17trampoline_kernelINS0_14default_configENS1_32segmented_reduce_config_selectorIN3c104HalfEEEZNS1_21segmented_reduce_implIS3_PKS6_PS6_PKlS6_N6hipcub16HIPCUB_304000_NS6detail27convert_result_type_wrapperISA_SB_N2at6native12_GLOBAL__N_110CustomProdEEEEE10hipError_tPvRmT0_T1_jT2_SS_T4_T3_P12ihipStream_tbEUlT_E_NS1_11comp_targetILNS1_3genE10ELNS1_11target_archE1201ELNS1_3gpuE5ELNS1_3repE0EEENS1_30default_config_static_selectorELNS0_4arch9wavefront6targetE0EEEvSR_: ; @_ZN7rocprim17ROCPRIM_400000_NS6detail17trampoline_kernelINS0_14default_configENS1_32segmented_reduce_config_selectorIN3c104HalfEEEZNS1_21segmented_reduce_implIS3_PKS6_PS6_PKlS6_N6hipcub16HIPCUB_304000_NS6detail27convert_result_type_wrapperISA_SB_N2at6native12_GLOBAL__N_110CustomProdEEEEE10hipError_tPvRmT0_T1_jT2_SS_T4_T3_P12ihipStream_tbEUlT_E_NS1_11comp_targetILNS1_3genE10ELNS1_11target_archE1201ELNS1_3gpuE5ELNS1_3repE0EEENS1_30default_config_static_selectorELNS0_4arch9wavefront6targetE0EEEvSR_
; %bb.0:
	.section	.rodata,"a",@progbits
	.p2align	6, 0x0
	.amdhsa_kernel _ZN7rocprim17ROCPRIM_400000_NS6detail17trampoline_kernelINS0_14default_configENS1_32segmented_reduce_config_selectorIN3c104HalfEEEZNS1_21segmented_reduce_implIS3_PKS6_PS6_PKlS6_N6hipcub16HIPCUB_304000_NS6detail27convert_result_type_wrapperISA_SB_N2at6native12_GLOBAL__N_110CustomProdEEEEE10hipError_tPvRmT0_T1_jT2_SS_T4_T3_P12ihipStream_tbEUlT_E_NS1_11comp_targetILNS1_3genE10ELNS1_11target_archE1201ELNS1_3gpuE5ELNS1_3repE0EEENS1_30default_config_static_selectorELNS0_4arch9wavefront6targetE0EEEvSR_
		.amdhsa_group_segment_fixed_size 0
		.amdhsa_private_segment_fixed_size 0
		.amdhsa_kernarg_size 48
		.amdhsa_user_sgpr_count 6
		.amdhsa_user_sgpr_private_segment_buffer 1
		.amdhsa_user_sgpr_dispatch_ptr 0
		.amdhsa_user_sgpr_queue_ptr 0
		.amdhsa_user_sgpr_kernarg_segment_ptr 1
		.amdhsa_user_sgpr_dispatch_id 0
		.amdhsa_user_sgpr_flat_scratch_init 0
		.amdhsa_user_sgpr_private_segment_size 0
		.amdhsa_wavefront_size32 1
		.amdhsa_uses_dynamic_stack 0
		.amdhsa_system_sgpr_private_segment_wavefront_offset 0
		.amdhsa_system_sgpr_workgroup_id_x 1
		.amdhsa_system_sgpr_workgroup_id_y 0
		.amdhsa_system_sgpr_workgroup_id_z 0
		.amdhsa_system_sgpr_workgroup_info 0
		.amdhsa_system_vgpr_workitem_id 0
		.amdhsa_next_free_vgpr 1
		.amdhsa_next_free_sgpr 1
		.amdhsa_reserve_vcc 0
		.amdhsa_reserve_flat_scratch 0
		.amdhsa_float_round_mode_32 0
		.amdhsa_float_round_mode_16_64 0
		.amdhsa_float_denorm_mode_32 3
		.amdhsa_float_denorm_mode_16_64 3
		.amdhsa_dx10_clamp 1
		.amdhsa_ieee_mode 1
		.amdhsa_fp16_overflow 0
		.amdhsa_workgroup_processor_mode 1
		.amdhsa_memory_ordered 1
		.amdhsa_forward_progress 1
		.amdhsa_shared_vgpr_count 0
		.amdhsa_exception_fp_ieee_invalid_op 0
		.amdhsa_exception_fp_denorm_src 0
		.amdhsa_exception_fp_ieee_div_zero 0
		.amdhsa_exception_fp_ieee_overflow 0
		.amdhsa_exception_fp_ieee_underflow 0
		.amdhsa_exception_fp_ieee_inexact 0
		.amdhsa_exception_int_div_zero 0
	.end_amdhsa_kernel
	.section	.text._ZN7rocprim17ROCPRIM_400000_NS6detail17trampoline_kernelINS0_14default_configENS1_32segmented_reduce_config_selectorIN3c104HalfEEEZNS1_21segmented_reduce_implIS3_PKS6_PS6_PKlS6_N6hipcub16HIPCUB_304000_NS6detail27convert_result_type_wrapperISA_SB_N2at6native12_GLOBAL__N_110CustomProdEEEEE10hipError_tPvRmT0_T1_jT2_SS_T4_T3_P12ihipStream_tbEUlT_E_NS1_11comp_targetILNS1_3genE10ELNS1_11target_archE1201ELNS1_3gpuE5ELNS1_3repE0EEENS1_30default_config_static_selectorELNS0_4arch9wavefront6targetE0EEEvSR_,"axG",@progbits,_ZN7rocprim17ROCPRIM_400000_NS6detail17trampoline_kernelINS0_14default_configENS1_32segmented_reduce_config_selectorIN3c104HalfEEEZNS1_21segmented_reduce_implIS3_PKS6_PS6_PKlS6_N6hipcub16HIPCUB_304000_NS6detail27convert_result_type_wrapperISA_SB_N2at6native12_GLOBAL__N_110CustomProdEEEEE10hipError_tPvRmT0_T1_jT2_SS_T4_T3_P12ihipStream_tbEUlT_E_NS1_11comp_targetILNS1_3genE10ELNS1_11target_archE1201ELNS1_3gpuE5ELNS1_3repE0EEENS1_30default_config_static_selectorELNS0_4arch9wavefront6targetE0EEEvSR_,comdat
.Lfunc_end240:
	.size	_ZN7rocprim17ROCPRIM_400000_NS6detail17trampoline_kernelINS0_14default_configENS1_32segmented_reduce_config_selectorIN3c104HalfEEEZNS1_21segmented_reduce_implIS3_PKS6_PS6_PKlS6_N6hipcub16HIPCUB_304000_NS6detail27convert_result_type_wrapperISA_SB_N2at6native12_GLOBAL__N_110CustomProdEEEEE10hipError_tPvRmT0_T1_jT2_SS_T4_T3_P12ihipStream_tbEUlT_E_NS1_11comp_targetILNS1_3genE10ELNS1_11target_archE1201ELNS1_3gpuE5ELNS1_3repE0EEENS1_30default_config_static_selectorELNS0_4arch9wavefront6targetE0EEEvSR_, .Lfunc_end240-_ZN7rocprim17ROCPRIM_400000_NS6detail17trampoline_kernelINS0_14default_configENS1_32segmented_reduce_config_selectorIN3c104HalfEEEZNS1_21segmented_reduce_implIS3_PKS6_PS6_PKlS6_N6hipcub16HIPCUB_304000_NS6detail27convert_result_type_wrapperISA_SB_N2at6native12_GLOBAL__N_110CustomProdEEEEE10hipError_tPvRmT0_T1_jT2_SS_T4_T3_P12ihipStream_tbEUlT_E_NS1_11comp_targetILNS1_3genE10ELNS1_11target_archE1201ELNS1_3gpuE5ELNS1_3repE0EEENS1_30default_config_static_selectorELNS0_4arch9wavefront6targetE0EEEvSR_
                                        ; -- End function
	.set _ZN7rocprim17ROCPRIM_400000_NS6detail17trampoline_kernelINS0_14default_configENS1_32segmented_reduce_config_selectorIN3c104HalfEEEZNS1_21segmented_reduce_implIS3_PKS6_PS6_PKlS6_N6hipcub16HIPCUB_304000_NS6detail27convert_result_type_wrapperISA_SB_N2at6native12_GLOBAL__N_110CustomProdEEEEE10hipError_tPvRmT0_T1_jT2_SS_T4_T3_P12ihipStream_tbEUlT_E_NS1_11comp_targetILNS1_3genE10ELNS1_11target_archE1201ELNS1_3gpuE5ELNS1_3repE0EEENS1_30default_config_static_selectorELNS0_4arch9wavefront6targetE0EEEvSR_.num_vgpr, 0
	.set _ZN7rocprim17ROCPRIM_400000_NS6detail17trampoline_kernelINS0_14default_configENS1_32segmented_reduce_config_selectorIN3c104HalfEEEZNS1_21segmented_reduce_implIS3_PKS6_PS6_PKlS6_N6hipcub16HIPCUB_304000_NS6detail27convert_result_type_wrapperISA_SB_N2at6native12_GLOBAL__N_110CustomProdEEEEE10hipError_tPvRmT0_T1_jT2_SS_T4_T3_P12ihipStream_tbEUlT_E_NS1_11comp_targetILNS1_3genE10ELNS1_11target_archE1201ELNS1_3gpuE5ELNS1_3repE0EEENS1_30default_config_static_selectorELNS0_4arch9wavefront6targetE0EEEvSR_.num_agpr, 0
	.set _ZN7rocprim17ROCPRIM_400000_NS6detail17trampoline_kernelINS0_14default_configENS1_32segmented_reduce_config_selectorIN3c104HalfEEEZNS1_21segmented_reduce_implIS3_PKS6_PS6_PKlS6_N6hipcub16HIPCUB_304000_NS6detail27convert_result_type_wrapperISA_SB_N2at6native12_GLOBAL__N_110CustomProdEEEEE10hipError_tPvRmT0_T1_jT2_SS_T4_T3_P12ihipStream_tbEUlT_E_NS1_11comp_targetILNS1_3genE10ELNS1_11target_archE1201ELNS1_3gpuE5ELNS1_3repE0EEENS1_30default_config_static_selectorELNS0_4arch9wavefront6targetE0EEEvSR_.numbered_sgpr, 0
	.set _ZN7rocprim17ROCPRIM_400000_NS6detail17trampoline_kernelINS0_14default_configENS1_32segmented_reduce_config_selectorIN3c104HalfEEEZNS1_21segmented_reduce_implIS3_PKS6_PS6_PKlS6_N6hipcub16HIPCUB_304000_NS6detail27convert_result_type_wrapperISA_SB_N2at6native12_GLOBAL__N_110CustomProdEEEEE10hipError_tPvRmT0_T1_jT2_SS_T4_T3_P12ihipStream_tbEUlT_E_NS1_11comp_targetILNS1_3genE10ELNS1_11target_archE1201ELNS1_3gpuE5ELNS1_3repE0EEENS1_30default_config_static_selectorELNS0_4arch9wavefront6targetE0EEEvSR_.num_named_barrier, 0
	.set _ZN7rocprim17ROCPRIM_400000_NS6detail17trampoline_kernelINS0_14default_configENS1_32segmented_reduce_config_selectorIN3c104HalfEEEZNS1_21segmented_reduce_implIS3_PKS6_PS6_PKlS6_N6hipcub16HIPCUB_304000_NS6detail27convert_result_type_wrapperISA_SB_N2at6native12_GLOBAL__N_110CustomProdEEEEE10hipError_tPvRmT0_T1_jT2_SS_T4_T3_P12ihipStream_tbEUlT_E_NS1_11comp_targetILNS1_3genE10ELNS1_11target_archE1201ELNS1_3gpuE5ELNS1_3repE0EEENS1_30default_config_static_selectorELNS0_4arch9wavefront6targetE0EEEvSR_.private_seg_size, 0
	.set _ZN7rocprim17ROCPRIM_400000_NS6detail17trampoline_kernelINS0_14default_configENS1_32segmented_reduce_config_selectorIN3c104HalfEEEZNS1_21segmented_reduce_implIS3_PKS6_PS6_PKlS6_N6hipcub16HIPCUB_304000_NS6detail27convert_result_type_wrapperISA_SB_N2at6native12_GLOBAL__N_110CustomProdEEEEE10hipError_tPvRmT0_T1_jT2_SS_T4_T3_P12ihipStream_tbEUlT_E_NS1_11comp_targetILNS1_3genE10ELNS1_11target_archE1201ELNS1_3gpuE5ELNS1_3repE0EEENS1_30default_config_static_selectorELNS0_4arch9wavefront6targetE0EEEvSR_.uses_vcc, 0
	.set _ZN7rocprim17ROCPRIM_400000_NS6detail17trampoline_kernelINS0_14default_configENS1_32segmented_reduce_config_selectorIN3c104HalfEEEZNS1_21segmented_reduce_implIS3_PKS6_PS6_PKlS6_N6hipcub16HIPCUB_304000_NS6detail27convert_result_type_wrapperISA_SB_N2at6native12_GLOBAL__N_110CustomProdEEEEE10hipError_tPvRmT0_T1_jT2_SS_T4_T3_P12ihipStream_tbEUlT_E_NS1_11comp_targetILNS1_3genE10ELNS1_11target_archE1201ELNS1_3gpuE5ELNS1_3repE0EEENS1_30default_config_static_selectorELNS0_4arch9wavefront6targetE0EEEvSR_.uses_flat_scratch, 0
	.set _ZN7rocprim17ROCPRIM_400000_NS6detail17trampoline_kernelINS0_14default_configENS1_32segmented_reduce_config_selectorIN3c104HalfEEEZNS1_21segmented_reduce_implIS3_PKS6_PS6_PKlS6_N6hipcub16HIPCUB_304000_NS6detail27convert_result_type_wrapperISA_SB_N2at6native12_GLOBAL__N_110CustomProdEEEEE10hipError_tPvRmT0_T1_jT2_SS_T4_T3_P12ihipStream_tbEUlT_E_NS1_11comp_targetILNS1_3genE10ELNS1_11target_archE1201ELNS1_3gpuE5ELNS1_3repE0EEENS1_30default_config_static_selectorELNS0_4arch9wavefront6targetE0EEEvSR_.has_dyn_sized_stack, 0
	.set _ZN7rocprim17ROCPRIM_400000_NS6detail17trampoline_kernelINS0_14default_configENS1_32segmented_reduce_config_selectorIN3c104HalfEEEZNS1_21segmented_reduce_implIS3_PKS6_PS6_PKlS6_N6hipcub16HIPCUB_304000_NS6detail27convert_result_type_wrapperISA_SB_N2at6native12_GLOBAL__N_110CustomProdEEEEE10hipError_tPvRmT0_T1_jT2_SS_T4_T3_P12ihipStream_tbEUlT_E_NS1_11comp_targetILNS1_3genE10ELNS1_11target_archE1201ELNS1_3gpuE5ELNS1_3repE0EEENS1_30default_config_static_selectorELNS0_4arch9wavefront6targetE0EEEvSR_.has_recursion, 0
	.set _ZN7rocprim17ROCPRIM_400000_NS6detail17trampoline_kernelINS0_14default_configENS1_32segmented_reduce_config_selectorIN3c104HalfEEEZNS1_21segmented_reduce_implIS3_PKS6_PS6_PKlS6_N6hipcub16HIPCUB_304000_NS6detail27convert_result_type_wrapperISA_SB_N2at6native12_GLOBAL__N_110CustomProdEEEEE10hipError_tPvRmT0_T1_jT2_SS_T4_T3_P12ihipStream_tbEUlT_E_NS1_11comp_targetILNS1_3genE10ELNS1_11target_archE1201ELNS1_3gpuE5ELNS1_3repE0EEENS1_30default_config_static_selectorELNS0_4arch9wavefront6targetE0EEEvSR_.has_indirect_call, 0
	.section	.AMDGPU.csdata,"",@progbits
; Kernel info:
; codeLenInByte = 0
; TotalNumSgprs: 0
; NumVgprs: 0
; ScratchSize: 0
; MemoryBound: 0
; FloatMode: 240
; IeeeMode: 1
; LDSByteSize: 0 bytes/workgroup (compile time only)
; SGPRBlocks: 0
; VGPRBlocks: 0
; NumSGPRsForWavesPerEU: 1
; NumVGPRsForWavesPerEU: 1
; Occupancy: 16
; WaveLimiterHint : 0
; COMPUTE_PGM_RSRC2:SCRATCH_EN: 0
; COMPUTE_PGM_RSRC2:USER_SGPR: 6
; COMPUTE_PGM_RSRC2:TRAP_HANDLER: 0
; COMPUTE_PGM_RSRC2:TGID_X_EN: 1
; COMPUTE_PGM_RSRC2:TGID_Y_EN: 0
; COMPUTE_PGM_RSRC2:TGID_Z_EN: 0
; COMPUTE_PGM_RSRC2:TIDIG_COMP_CNT: 0
	.section	.text._ZN7rocprim17ROCPRIM_400000_NS6detail17trampoline_kernelINS0_14default_configENS1_32segmented_reduce_config_selectorIN3c104HalfEEEZNS1_21segmented_reduce_implIS3_PKS6_PS6_PKlS6_N6hipcub16HIPCUB_304000_NS6detail27convert_result_type_wrapperISA_SB_N2at6native12_GLOBAL__N_110CustomProdEEEEE10hipError_tPvRmT0_T1_jT2_SS_T4_T3_P12ihipStream_tbEUlT_E_NS1_11comp_targetILNS1_3genE4ELNS1_11target_archE910ELNS1_3gpuE8ELNS1_3repE0EEENS1_30default_config_static_selectorELNS0_4arch9wavefront6targetE0EEEvSR_,"axG",@progbits,_ZN7rocprim17ROCPRIM_400000_NS6detail17trampoline_kernelINS0_14default_configENS1_32segmented_reduce_config_selectorIN3c104HalfEEEZNS1_21segmented_reduce_implIS3_PKS6_PS6_PKlS6_N6hipcub16HIPCUB_304000_NS6detail27convert_result_type_wrapperISA_SB_N2at6native12_GLOBAL__N_110CustomProdEEEEE10hipError_tPvRmT0_T1_jT2_SS_T4_T3_P12ihipStream_tbEUlT_E_NS1_11comp_targetILNS1_3genE4ELNS1_11target_archE910ELNS1_3gpuE8ELNS1_3repE0EEENS1_30default_config_static_selectorELNS0_4arch9wavefront6targetE0EEEvSR_,comdat
	.globl	_ZN7rocprim17ROCPRIM_400000_NS6detail17trampoline_kernelINS0_14default_configENS1_32segmented_reduce_config_selectorIN3c104HalfEEEZNS1_21segmented_reduce_implIS3_PKS6_PS6_PKlS6_N6hipcub16HIPCUB_304000_NS6detail27convert_result_type_wrapperISA_SB_N2at6native12_GLOBAL__N_110CustomProdEEEEE10hipError_tPvRmT0_T1_jT2_SS_T4_T3_P12ihipStream_tbEUlT_E_NS1_11comp_targetILNS1_3genE4ELNS1_11target_archE910ELNS1_3gpuE8ELNS1_3repE0EEENS1_30default_config_static_selectorELNS0_4arch9wavefront6targetE0EEEvSR_ ; -- Begin function _ZN7rocprim17ROCPRIM_400000_NS6detail17trampoline_kernelINS0_14default_configENS1_32segmented_reduce_config_selectorIN3c104HalfEEEZNS1_21segmented_reduce_implIS3_PKS6_PS6_PKlS6_N6hipcub16HIPCUB_304000_NS6detail27convert_result_type_wrapperISA_SB_N2at6native12_GLOBAL__N_110CustomProdEEEEE10hipError_tPvRmT0_T1_jT2_SS_T4_T3_P12ihipStream_tbEUlT_E_NS1_11comp_targetILNS1_3genE4ELNS1_11target_archE910ELNS1_3gpuE8ELNS1_3repE0EEENS1_30default_config_static_selectorELNS0_4arch9wavefront6targetE0EEEvSR_
	.p2align	8
	.type	_ZN7rocprim17ROCPRIM_400000_NS6detail17trampoline_kernelINS0_14default_configENS1_32segmented_reduce_config_selectorIN3c104HalfEEEZNS1_21segmented_reduce_implIS3_PKS6_PS6_PKlS6_N6hipcub16HIPCUB_304000_NS6detail27convert_result_type_wrapperISA_SB_N2at6native12_GLOBAL__N_110CustomProdEEEEE10hipError_tPvRmT0_T1_jT2_SS_T4_T3_P12ihipStream_tbEUlT_E_NS1_11comp_targetILNS1_3genE4ELNS1_11target_archE910ELNS1_3gpuE8ELNS1_3repE0EEENS1_30default_config_static_selectorELNS0_4arch9wavefront6targetE0EEEvSR_,@function
_ZN7rocprim17ROCPRIM_400000_NS6detail17trampoline_kernelINS0_14default_configENS1_32segmented_reduce_config_selectorIN3c104HalfEEEZNS1_21segmented_reduce_implIS3_PKS6_PS6_PKlS6_N6hipcub16HIPCUB_304000_NS6detail27convert_result_type_wrapperISA_SB_N2at6native12_GLOBAL__N_110CustomProdEEEEE10hipError_tPvRmT0_T1_jT2_SS_T4_T3_P12ihipStream_tbEUlT_E_NS1_11comp_targetILNS1_3genE4ELNS1_11target_archE910ELNS1_3gpuE8ELNS1_3repE0EEENS1_30default_config_static_selectorELNS0_4arch9wavefront6targetE0EEEvSR_: ; @_ZN7rocprim17ROCPRIM_400000_NS6detail17trampoline_kernelINS0_14default_configENS1_32segmented_reduce_config_selectorIN3c104HalfEEEZNS1_21segmented_reduce_implIS3_PKS6_PS6_PKlS6_N6hipcub16HIPCUB_304000_NS6detail27convert_result_type_wrapperISA_SB_N2at6native12_GLOBAL__N_110CustomProdEEEEE10hipError_tPvRmT0_T1_jT2_SS_T4_T3_P12ihipStream_tbEUlT_E_NS1_11comp_targetILNS1_3genE4ELNS1_11target_archE910ELNS1_3gpuE8ELNS1_3repE0EEENS1_30default_config_static_selectorELNS0_4arch9wavefront6targetE0EEEvSR_
; %bb.0:
	.section	.rodata,"a",@progbits
	.p2align	6, 0x0
	.amdhsa_kernel _ZN7rocprim17ROCPRIM_400000_NS6detail17trampoline_kernelINS0_14default_configENS1_32segmented_reduce_config_selectorIN3c104HalfEEEZNS1_21segmented_reduce_implIS3_PKS6_PS6_PKlS6_N6hipcub16HIPCUB_304000_NS6detail27convert_result_type_wrapperISA_SB_N2at6native12_GLOBAL__N_110CustomProdEEEEE10hipError_tPvRmT0_T1_jT2_SS_T4_T3_P12ihipStream_tbEUlT_E_NS1_11comp_targetILNS1_3genE4ELNS1_11target_archE910ELNS1_3gpuE8ELNS1_3repE0EEENS1_30default_config_static_selectorELNS0_4arch9wavefront6targetE0EEEvSR_
		.amdhsa_group_segment_fixed_size 0
		.amdhsa_private_segment_fixed_size 0
		.amdhsa_kernarg_size 48
		.amdhsa_user_sgpr_count 6
		.amdhsa_user_sgpr_private_segment_buffer 1
		.amdhsa_user_sgpr_dispatch_ptr 0
		.amdhsa_user_sgpr_queue_ptr 0
		.amdhsa_user_sgpr_kernarg_segment_ptr 1
		.amdhsa_user_sgpr_dispatch_id 0
		.amdhsa_user_sgpr_flat_scratch_init 0
		.amdhsa_user_sgpr_private_segment_size 0
		.amdhsa_wavefront_size32 1
		.amdhsa_uses_dynamic_stack 0
		.amdhsa_system_sgpr_private_segment_wavefront_offset 0
		.amdhsa_system_sgpr_workgroup_id_x 1
		.amdhsa_system_sgpr_workgroup_id_y 0
		.amdhsa_system_sgpr_workgroup_id_z 0
		.amdhsa_system_sgpr_workgroup_info 0
		.amdhsa_system_vgpr_workitem_id 0
		.amdhsa_next_free_vgpr 1
		.amdhsa_next_free_sgpr 1
		.amdhsa_reserve_vcc 0
		.amdhsa_reserve_flat_scratch 0
		.amdhsa_float_round_mode_32 0
		.amdhsa_float_round_mode_16_64 0
		.amdhsa_float_denorm_mode_32 3
		.amdhsa_float_denorm_mode_16_64 3
		.amdhsa_dx10_clamp 1
		.amdhsa_ieee_mode 1
		.amdhsa_fp16_overflow 0
		.amdhsa_workgroup_processor_mode 1
		.amdhsa_memory_ordered 1
		.amdhsa_forward_progress 1
		.amdhsa_shared_vgpr_count 0
		.amdhsa_exception_fp_ieee_invalid_op 0
		.amdhsa_exception_fp_denorm_src 0
		.amdhsa_exception_fp_ieee_div_zero 0
		.amdhsa_exception_fp_ieee_overflow 0
		.amdhsa_exception_fp_ieee_underflow 0
		.amdhsa_exception_fp_ieee_inexact 0
		.amdhsa_exception_int_div_zero 0
	.end_amdhsa_kernel
	.section	.text._ZN7rocprim17ROCPRIM_400000_NS6detail17trampoline_kernelINS0_14default_configENS1_32segmented_reduce_config_selectorIN3c104HalfEEEZNS1_21segmented_reduce_implIS3_PKS6_PS6_PKlS6_N6hipcub16HIPCUB_304000_NS6detail27convert_result_type_wrapperISA_SB_N2at6native12_GLOBAL__N_110CustomProdEEEEE10hipError_tPvRmT0_T1_jT2_SS_T4_T3_P12ihipStream_tbEUlT_E_NS1_11comp_targetILNS1_3genE4ELNS1_11target_archE910ELNS1_3gpuE8ELNS1_3repE0EEENS1_30default_config_static_selectorELNS0_4arch9wavefront6targetE0EEEvSR_,"axG",@progbits,_ZN7rocprim17ROCPRIM_400000_NS6detail17trampoline_kernelINS0_14default_configENS1_32segmented_reduce_config_selectorIN3c104HalfEEEZNS1_21segmented_reduce_implIS3_PKS6_PS6_PKlS6_N6hipcub16HIPCUB_304000_NS6detail27convert_result_type_wrapperISA_SB_N2at6native12_GLOBAL__N_110CustomProdEEEEE10hipError_tPvRmT0_T1_jT2_SS_T4_T3_P12ihipStream_tbEUlT_E_NS1_11comp_targetILNS1_3genE4ELNS1_11target_archE910ELNS1_3gpuE8ELNS1_3repE0EEENS1_30default_config_static_selectorELNS0_4arch9wavefront6targetE0EEEvSR_,comdat
.Lfunc_end241:
	.size	_ZN7rocprim17ROCPRIM_400000_NS6detail17trampoline_kernelINS0_14default_configENS1_32segmented_reduce_config_selectorIN3c104HalfEEEZNS1_21segmented_reduce_implIS3_PKS6_PS6_PKlS6_N6hipcub16HIPCUB_304000_NS6detail27convert_result_type_wrapperISA_SB_N2at6native12_GLOBAL__N_110CustomProdEEEEE10hipError_tPvRmT0_T1_jT2_SS_T4_T3_P12ihipStream_tbEUlT_E_NS1_11comp_targetILNS1_3genE4ELNS1_11target_archE910ELNS1_3gpuE8ELNS1_3repE0EEENS1_30default_config_static_selectorELNS0_4arch9wavefront6targetE0EEEvSR_, .Lfunc_end241-_ZN7rocprim17ROCPRIM_400000_NS6detail17trampoline_kernelINS0_14default_configENS1_32segmented_reduce_config_selectorIN3c104HalfEEEZNS1_21segmented_reduce_implIS3_PKS6_PS6_PKlS6_N6hipcub16HIPCUB_304000_NS6detail27convert_result_type_wrapperISA_SB_N2at6native12_GLOBAL__N_110CustomProdEEEEE10hipError_tPvRmT0_T1_jT2_SS_T4_T3_P12ihipStream_tbEUlT_E_NS1_11comp_targetILNS1_3genE4ELNS1_11target_archE910ELNS1_3gpuE8ELNS1_3repE0EEENS1_30default_config_static_selectorELNS0_4arch9wavefront6targetE0EEEvSR_
                                        ; -- End function
	.set _ZN7rocprim17ROCPRIM_400000_NS6detail17trampoline_kernelINS0_14default_configENS1_32segmented_reduce_config_selectorIN3c104HalfEEEZNS1_21segmented_reduce_implIS3_PKS6_PS6_PKlS6_N6hipcub16HIPCUB_304000_NS6detail27convert_result_type_wrapperISA_SB_N2at6native12_GLOBAL__N_110CustomProdEEEEE10hipError_tPvRmT0_T1_jT2_SS_T4_T3_P12ihipStream_tbEUlT_E_NS1_11comp_targetILNS1_3genE4ELNS1_11target_archE910ELNS1_3gpuE8ELNS1_3repE0EEENS1_30default_config_static_selectorELNS0_4arch9wavefront6targetE0EEEvSR_.num_vgpr, 0
	.set _ZN7rocprim17ROCPRIM_400000_NS6detail17trampoline_kernelINS0_14default_configENS1_32segmented_reduce_config_selectorIN3c104HalfEEEZNS1_21segmented_reduce_implIS3_PKS6_PS6_PKlS6_N6hipcub16HIPCUB_304000_NS6detail27convert_result_type_wrapperISA_SB_N2at6native12_GLOBAL__N_110CustomProdEEEEE10hipError_tPvRmT0_T1_jT2_SS_T4_T3_P12ihipStream_tbEUlT_E_NS1_11comp_targetILNS1_3genE4ELNS1_11target_archE910ELNS1_3gpuE8ELNS1_3repE0EEENS1_30default_config_static_selectorELNS0_4arch9wavefront6targetE0EEEvSR_.num_agpr, 0
	.set _ZN7rocprim17ROCPRIM_400000_NS6detail17trampoline_kernelINS0_14default_configENS1_32segmented_reduce_config_selectorIN3c104HalfEEEZNS1_21segmented_reduce_implIS3_PKS6_PS6_PKlS6_N6hipcub16HIPCUB_304000_NS6detail27convert_result_type_wrapperISA_SB_N2at6native12_GLOBAL__N_110CustomProdEEEEE10hipError_tPvRmT0_T1_jT2_SS_T4_T3_P12ihipStream_tbEUlT_E_NS1_11comp_targetILNS1_3genE4ELNS1_11target_archE910ELNS1_3gpuE8ELNS1_3repE0EEENS1_30default_config_static_selectorELNS0_4arch9wavefront6targetE0EEEvSR_.numbered_sgpr, 0
	.set _ZN7rocprim17ROCPRIM_400000_NS6detail17trampoline_kernelINS0_14default_configENS1_32segmented_reduce_config_selectorIN3c104HalfEEEZNS1_21segmented_reduce_implIS3_PKS6_PS6_PKlS6_N6hipcub16HIPCUB_304000_NS6detail27convert_result_type_wrapperISA_SB_N2at6native12_GLOBAL__N_110CustomProdEEEEE10hipError_tPvRmT0_T1_jT2_SS_T4_T3_P12ihipStream_tbEUlT_E_NS1_11comp_targetILNS1_3genE4ELNS1_11target_archE910ELNS1_3gpuE8ELNS1_3repE0EEENS1_30default_config_static_selectorELNS0_4arch9wavefront6targetE0EEEvSR_.num_named_barrier, 0
	.set _ZN7rocprim17ROCPRIM_400000_NS6detail17trampoline_kernelINS0_14default_configENS1_32segmented_reduce_config_selectorIN3c104HalfEEEZNS1_21segmented_reduce_implIS3_PKS6_PS6_PKlS6_N6hipcub16HIPCUB_304000_NS6detail27convert_result_type_wrapperISA_SB_N2at6native12_GLOBAL__N_110CustomProdEEEEE10hipError_tPvRmT0_T1_jT2_SS_T4_T3_P12ihipStream_tbEUlT_E_NS1_11comp_targetILNS1_3genE4ELNS1_11target_archE910ELNS1_3gpuE8ELNS1_3repE0EEENS1_30default_config_static_selectorELNS0_4arch9wavefront6targetE0EEEvSR_.private_seg_size, 0
	.set _ZN7rocprim17ROCPRIM_400000_NS6detail17trampoline_kernelINS0_14default_configENS1_32segmented_reduce_config_selectorIN3c104HalfEEEZNS1_21segmented_reduce_implIS3_PKS6_PS6_PKlS6_N6hipcub16HIPCUB_304000_NS6detail27convert_result_type_wrapperISA_SB_N2at6native12_GLOBAL__N_110CustomProdEEEEE10hipError_tPvRmT0_T1_jT2_SS_T4_T3_P12ihipStream_tbEUlT_E_NS1_11comp_targetILNS1_3genE4ELNS1_11target_archE910ELNS1_3gpuE8ELNS1_3repE0EEENS1_30default_config_static_selectorELNS0_4arch9wavefront6targetE0EEEvSR_.uses_vcc, 0
	.set _ZN7rocprim17ROCPRIM_400000_NS6detail17trampoline_kernelINS0_14default_configENS1_32segmented_reduce_config_selectorIN3c104HalfEEEZNS1_21segmented_reduce_implIS3_PKS6_PS6_PKlS6_N6hipcub16HIPCUB_304000_NS6detail27convert_result_type_wrapperISA_SB_N2at6native12_GLOBAL__N_110CustomProdEEEEE10hipError_tPvRmT0_T1_jT2_SS_T4_T3_P12ihipStream_tbEUlT_E_NS1_11comp_targetILNS1_3genE4ELNS1_11target_archE910ELNS1_3gpuE8ELNS1_3repE0EEENS1_30default_config_static_selectorELNS0_4arch9wavefront6targetE0EEEvSR_.uses_flat_scratch, 0
	.set _ZN7rocprim17ROCPRIM_400000_NS6detail17trampoline_kernelINS0_14default_configENS1_32segmented_reduce_config_selectorIN3c104HalfEEEZNS1_21segmented_reduce_implIS3_PKS6_PS6_PKlS6_N6hipcub16HIPCUB_304000_NS6detail27convert_result_type_wrapperISA_SB_N2at6native12_GLOBAL__N_110CustomProdEEEEE10hipError_tPvRmT0_T1_jT2_SS_T4_T3_P12ihipStream_tbEUlT_E_NS1_11comp_targetILNS1_3genE4ELNS1_11target_archE910ELNS1_3gpuE8ELNS1_3repE0EEENS1_30default_config_static_selectorELNS0_4arch9wavefront6targetE0EEEvSR_.has_dyn_sized_stack, 0
	.set _ZN7rocprim17ROCPRIM_400000_NS6detail17trampoline_kernelINS0_14default_configENS1_32segmented_reduce_config_selectorIN3c104HalfEEEZNS1_21segmented_reduce_implIS3_PKS6_PS6_PKlS6_N6hipcub16HIPCUB_304000_NS6detail27convert_result_type_wrapperISA_SB_N2at6native12_GLOBAL__N_110CustomProdEEEEE10hipError_tPvRmT0_T1_jT2_SS_T4_T3_P12ihipStream_tbEUlT_E_NS1_11comp_targetILNS1_3genE4ELNS1_11target_archE910ELNS1_3gpuE8ELNS1_3repE0EEENS1_30default_config_static_selectorELNS0_4arch9wavefront6targetE0EEEvSR_.has_recursion, 0
	.set _ZN7rocprim17ROCPRIM_400000_NS6detail17trampoline_kernelINS0_14default_configENS1_32segmented_reduce_config_selectorIN3c104HalfEEEZNS1_21segmented_reduce_implIS3_PKS6_PS6_PKlS6_N6hipcub16HIPCUB_304000_NS6detail27convert_result_type_wrapperISA_SB_N2at6native12_GLOBAL__N_110CustomProdEEEEE10hipError_tPvRmT0_T1_jT2_SS_T4_T3_P12ihipStream_tbEUlT_E_NS1_11comp_targetILNS1_3genE4ELNS1_11target_archE910ELNS1_3gpuE8ELNS1_3repE0EEENS1_30default_config_static_selectorELNS0_4arch9wavefront6targetE0EEEvSR_.has_indirect_call, 0
	.section	.AMDGPU.csdata,"",@progbits
; Kernel info:
; codeLenInByte = 0
; TotalNumSgprs: 0
; NumVgprs: 0
; ScratchSize: 0
; MemoryBound: 0
; FloatMode: 240
; IeeeMode: 1
; LDSByteSize: 0 bytes/workgroup (compile time only)
; SGPRBlocks: 0
; VGPRBlocks: 0
; NumSGPRsForWavesPerEU: 1
; NumVGPRsForWavesPerEU: 1
; Occupancy: 16
; WaveLimiterHint : 0
; COMPUTE_PGM_RSRC2:SCRATCH_EN: 0
; COMPUTE_PGM_RSRC2:USER_SGPR: 6
; COMPUTE_PGM_RSRC2:TRAP_HANDLER: 0
; COMPUTE_PGM_RSRC2:TGID_X_EN: 1
; COMPUTE_PGM_RSRC2:TGID_Y_EN: 0
; COMPUTE_PGM_RSRC2:TGID_Z_EN: 0
; COMPUTE_PGM_RSRC2:TIDIG_COMP_CNT: 0
	.section	.text._ZN7rocprim17ROCPRIM_400000_NS6detail17trampoline_kernelINS0_14default_configENS1_32segmented_reduce_config_selectorIN3c104HalfEEEZNS1_21segmented_reduce_implIS3_PKS6_PS6_PKlS6_N6hipcub16HIPCUB_304000_NS6detail27convert_result_type_wrapperISA_SB_N2at6native12_GLOBAL__N_110CustomProdEEEEE10hipError_tPvRmT0_T1_jT2_SS_T4_T3_P12ihipStream_tbEUlT_E_NS1_11comp_targetILNS1_3genE3ELNS1_11target_archE908ELNS1_3gpuE7ELNS1_3repE0EEENS1_30default_config_static_selectorELNS0_4arch9wavefront6targetE0EEEvSR_,"axG",@progbits,_ZN7rocprim17ROCPRIM_400000_NS6detail17trampoline_kernelINS0_14default_configENS1_32segmented_reduce_config_selectorIN3c104HalfEEEZNS1_21segmented_reduce_implIS3_PKS6_PS6_PKlS6_N6hipcub16HIPCUB_304000_NS6detail27convert_result_type_wrapperISA_SB_N2at6native12_GLOBAL__N_110CustomProdEEEEE10hipError_tPvRmT0_T1_jT2_SS_T4_T3_P12ihipStream_tbEUlT_E_NS1_11comp_targetILNS1_3genE3ELNS1_11target_archE908ELNS1_3gpuE7ELNS1_3repE0EEENS1_30default_config_static_selectorELNS0_4arch9wavefront6targetE0EEEvSR_,comdat
	.globl	_ZN7rocprim17ROCPRIM_400000_NS6detail17trampoline_kernelINS0_14default_configENS1_32segmented_reduce_config_selectorIN3c104HalfEEEZNS1_21segmented_reduce_implIS3_PKS6_PS6_PKlS6_N6hipcub16HIPCUB_304000_NS6detail27convert_result_type_wrapperISA_SB_N2at6native12_GLOBAL__N_110CustomProdEEEEE10hipError_tPvRmT0_T1_jT2_SS_T4_T3_P12ihipStream_tbEUlT_E_NS1_11comp_targetILNS1_3genE3ELNS1_11target_archE908ELNS1_3gpuE7ELNS1_3repE0EEENS1_30default_config_static_selectorELNS0_4arch9wavefront6targetE0EEEvSR_ ; -- Begin function _ZN7rocprim17ROCPRIM_400000_NS6detail17trampoline_kernelINS0_14default_configENS1_32segmented_reduce_config_selectorIN3c104HalfEEEZNS1_21segmented_reduce_implIS3_PKS6_PS6_PKlS6_N6hipcub16HIPCUB_304000_NS6detail27convert_result_type_wrapperISA_SB_N2at6native12_GLOBAL__N_110CustomProdEEEEE10hipError_tPvRmT0_T1_jT2_SS_T4_T3_P12ihipStream_tbEUlT_E_NS1_11comp_targetILNS1_3genE3ELNS1_11target_archE908ELNS1_3gpuE7ELNS1_3repE0EEENS1_30default_config_static_selectorELNS0_4arch9wavefront6targetE0EEEvSR_
	.p2align	8
	.type	_ZN7rocprim17ROCPRIM_400000_NS6detail17trampoline_kernelINS0_14default_configENS1_32segmented_reduce_config_selectorIN3c104HalfEEEZNS1_21segmented_reduce_implIS3_PKS6_PS6_PKlS6_N6hipcub16HIPCUB_304000_NS6detail27convert_result_type_wrapperISA_SB_N2at6native12_GLOBAL__N_110CustomProdEEEEE10hipError_tPvRmT0_T1_jT2_SS_T4_T3_P12ihipStream_tbEUlT_E_NS1_11comp_targetILNS1_3genE3ELNS1_11target_archE908ELNS1_3gpuE7ELNS1_3repE0EEENS1_30default_config_static_selectorELNS0_4arch9wavefront6targetE0EEEvSR_,@function
_ZN7rocprim17ROCPRIM_400000_NS6detail17trampoline_kernelINS0_14default_configENS1_32segmented_reduce_config_selectorIN3c104HalfEEEZNS1_21segmented_reduce_implIS3_PKS6_PS6_PKlS6_N6hipcub16HIPCUB_304000_NS6detail27convert_result_type_wrapperISA_SB_N2at6native12_GLOBAL__N_110CustomProdEEEEE10hipError_tPvRmT0_T1_jT2_SS_T4_T3_P12ihipStream_tbEUlT_E_NS1_11comp_targetILNS1_3genE3ELNS1_11target_archE908ELNS1_3gpuE7ELNS1_3repE0EEENS1_30default_config_static_selectorELNS0_4arch9wavefront6targetE0EEEvSR_: ; @_ZN7rocprim17ROCPRIM_400000_NS6detail17trampoline_kernelINS0_14default_configENS1_32segmented_reduce_config_selectorIN3c104HalfEEEZNS1_21segmented_reduce_implIS3_PKS6_PS6_PKlS6_N6hipcub16HIPCUB_304000_NS6detail27convert_result_type_wrapperISA_SB_N2at6native12_GLOBAL__N_110CustomProdEEEEE10hipError_tPvRmT0_T1_jT2_SS_T4_T3_P12ihipStream_tbEUlT_E_NS1_11comp_targetILNS1_3genE3ELNS1_11target_archE908ELNS1_3gpuE7ELNS1_3repE0EEENS1_30default_config_static_selectorELNS0_4arch9wavefront6targetE0EEEvSR_
; %bb.0:
	.section	.rodata,"a",@progbits
	.p2align	6, 0x0
	.amdhsa_kernel _ZN7rocprim17ROCPRIM_400000_NS6detail17trampoline_kernelINS0_14default_configENS1_32segmented_reduce_config_selectorIN3c104HalfEEEZNS1_21segmented_reduce_implIS3_PKS6_PS6_PKlS6_N6hipcub16HIPCUB_304000_NS6detail27convert_result_type_wrapperISA_SB_N2at6native12_GLOBAL__N_110CustomProdEEEEE10hipError_tPvRmT0_T1_jT2_SS_T4_T3_P12ihipStream_tbEUlT_E_NS1_11comp_targetILNS1_3genE3ELNS1_11target_archE908ELNS1_3gpuE7ELNS1_3repE0EEENS1_30default_config_static_selectorELNS0_4arch9wavefront6targetE0EEEvSR_
		.amdhsa_group_segment_fixed_size 0
		.amdhsa_private_segment_fixed_size 0
		.amdhsa_kernarg_size 48
		.amdhsa_user_sgpr_count 6
		.amdhsa_user_sgpr_private_segment_buffer 1
		.amdhsa_user_sgpr_dispatch_ptr 0
		.amdhsa_user_sgpr_queue_ptr 0
		.amdhsa_user_sgpr_kernarg_segment_ptr 1
		.amdhsa_user_sgpr_dispatch_id 0
		.amdhsa_user_sgpr_flat_scratch_init 0
		.amdhsa_user_sgpr_private_segment_size 0
		.amdhsa_wavefront_size32 1
		.amdhsa_uses_dynamic_stack 0
		.amdhsa_system_sgpr_private_segment_wavefront_offset 0
		.amdhsa_system_sgpr_workgroup_id_x 1
		.amdhsa_system_sgpr_workgroup_id_y 0
		.amdhsa_system_sgpr_workgroup_id_z 0
		.amdhsa_system_sgpr_workgroup_info 0
		.amdhsa_system_vgpr_workitem_id 0
		.amdhsa_next_free_vgpr 1
		.amdhsa_next_free_sgpr 1
		.amdhsa_reserve_vcc 0
		.amdhsa_reserve_flat_scratch 0
		.amdhsa_float_round_mode_32 0
		.amdhsa_float_round_mode_16_64 0
		.amdhsa_float_denorm_mode_32 3
		.amdhsa_float_denorm_mode_16_64 3
		.amdhsa_dx10_clamp 1
		.amdhsa_ieee_mode 1
		.amdhsa_fp16_overflow 0
		.amdhsa_workgroup_processor_mode 1
		.amdhsa_memory_ordered 1
		.amdhsa_forward_progress 1
		.amdhsa_shared_vgpr_count 0
		.amdhsa_exception_fp_ieee_invalid_op 0
		.amdhsa_exception_fp_denorm_src 0
		.amdhsa_exception_fp_ieee_div_zero 0
		.amdhsa_exception_fp_ieee_overflow 0
		.amdhsa_exception_fp_ieee_underflow 0
		.amdhsa_exception_fp_ieee_inexact 0
		.amdhsa_exception_int_div_zero 0
	.end_amdhsa_kernel
	.section	.text._ZN7rocprim17ROCPRIM_400000_NS6detail17trampoline_kernelINS0_14default_configENS1_32segmented_reduce_config_selectorIN3c104HalfEEEZNS1_21segmented_reduce_implIS3_PKS6_PS6_PKlS6_N6hipcub16HIPCUB_304000_NS6detail27convert_result_type_wrapperISA_SB_N2at6native12_GLOBAL__N_110CustomProdEEEEE10hipError_tPvRmT0_T1_jT2_SS_T4_T3_P12ihipStream_tbEUlT_E_NS1_11comp_targetILNS1_3genE3ELNS1_11target_archE908ELNS1_3gpuE7ELNS1_3repE0EEENS1_30default_config_static_selectorELNS0_4arch9wavefront6targetE0EEEvSR_,"axG",@progbits,_ZN7rocprim17ROCPRIM_400000_NS6detail17trampoline_kernelINS0_14default_configENS1_32segmented_reduce_config_selectorIN3c104HalfEEEZNS1_21segmented_reduce_implIS3_PKS6_PS6_PKlS6_N6hipcub16HIPCUB_304000_NS6detail27convert_result_type_wrapperISA_SB_N2at6native12_GLOBAL__N_110CustomProdEEEEE10hipError_tPvRmT0_T1_jT2_SS_T4_T3_P12ihipStream_tbEUlT_E_NS1_11comp_targetILNS1_3genE3ELNS1_11target_archE908ELNS1_3gpuE7ELNS1_3repE0EEENS1_30default_config_static_selectorELNS0_4arch9wavefront6targetE0EEEvSR_,comdat
.Lfunc_end242:
	.size	_ZN7rocprim17ROCPRIM_400000_NS6detail17trampoline_kernelINS0_14default_configENS1_32segmented_reduce_config_selectorIN3c104HalfEEEZNS1_21segmented_reduce_implIS3_PKS6_PS6_PKlS6_N6hipcub16HIPCUB_304000_NS6detail27convert_result_type_wrapperISA_SB_N2at6native12_GLOBAL__N_110CustomProdEEEEE10hipError_tPvRmT0_T1_jT2_SS_T4_T3_P12ihipStream_tbEUlT_E_NS1_11comp_targetILNS1_3genE3ELNS1_11target_archE908ELNS1_3gpuE7ELNS1_3repE0EEENS1_30default_config_static_selectorELNS0_4arch9wavefront6targetE0EEEvSR_, .Lfunc_end242-_ZN7rocprim17ROCPRIM_400000_NS6detail17trampoline_kernelINS0_14default_configENS1_32segmented_reduce_config_selectorIN3c104HalfEEEZNS1_21segmented_reduce_implIS3_PKS6_PS6_PKlS6_N6hipcub16HIPCUB_304000_NS6detail27convert_result_type_wrapperISA_SB_N2at6native12_GLOBAL__N_110CustomProdEEEEE10hipError_tPvRmT0_T1_jT2_SS_T4_T3_P12ihipStream_tbEUlT_E_NS1_11comp_targetILNS1_3genE3ELNS1_11target_archE908ELNS1_3gpuE7ELNS1_3repE0EEENS1_30default_config_static_selectorELNS0_4arch9wavefront6targetE0EEEvSR_
                                        ; -- End function
	.set _ZN7rocprim17ROCPRIM_400000_NS6detail17trampoline_kernelINS0_14default_configENS1_32segmented_reduce_config_selectorIN3c104HalfEEEZNS1_21segmented_reduce_implIS3_PKS6_PS6_PKlS6_N6hipcub16HIPCUB_304000_NS6detail27convert_result_type_wrapperISA_SB_N2at6native12_GLOBAL__N_110CustomProdEEEEE10hipError_tPvRmT0_T1_jT2_SS_T4_T3_P12ihipStream_tbEUlT_E_NS1_11comp_targetILNS1_3genE3ELNS1_11target_archE908ELNS1_3gpuE7ELNS1_3repE0EEENS1_30default_config_static_selectorELNS0_4arch9wavefront6targetE0EEEvSR_.num_vgpr, 0
	.set _ZN7rocprim17ROCPRIM_400000_NS6detail17trampoline_kernelINS0_14default_configENS1_32segmented_reduce_config_selectorIN3c104HalfEEEZNS1_21segmented_reduce_implIS3_PKS6_PS6_PKlS6_N6hipcub16HIPCUB_304000_NS6detail27convert_result_type_wrapperISA_SB_N2at6native12_GLOBAL__N_110CustomProdEEEEE10hipError_tPvRmT0_T1_jT2_SS_T4_T3_P12ihipStream_tbEUlT_E_NS1_11comp_targetILNS1_3genE3ELNS1_11target_archE908ELNS1_3gpuE7ELNS1_3repE0EEENS1_30default_config_static_selectorELNS0_4arch9wavefront6targetE0EEEvSR_.num_agpr, 0
	.set _ZN7rocprim17ROCPRIM_400000_NS6detail17trampoline_kernelINS0_14default_configENS1_32segmented_reduce_config_selectorIN3c104HalfEEEZNS1_21segmented_reduce_implIS3_PKS6_PS6_PKlS6_N6hipcub16HIPCUB_304000_NS6detail27convert_result_type_wrapperISA_SB_N2at6native12_GLOBAL__N_110CustomProdEEEEE10hipError_tPvRmT0_T1_jT2_SS_T4_T3_P12ihipStream_tbEUlT_E_NS1_11comp_targetILNS1_3genE3ELNS1_11target_archE908ELNS1_3gpuE7ELNS1_3repE0EEENS1_30default_config_static_selectorELNS0_4arch9wavefront6targetE0EEEvSR_.numbered_sgpr, 0
	.set _ZN7rocprim17ROCPRIM_400000_NS6detail17trampoline_kernelINS0_14default_configENS1_32segmented_reduce_config_selectorIN3c104HalfEEEZNS1_21segmented_reduce_implIS3_PKS6_PS6_PKlS6_N6hipcub16HIPCUB_304000_NS6detail27convert_result_type_wrapperISA_SB_N2at6native12_GLOBAL__N_110CustomProdEEEEE10hipError_tPvRmT0_T1_jT2_SS_T4_T3_P12ihipStream_tbEUlT_E_NS1_11comp_targetILNS1_3genE3ELNS1_11target_archE908ELNS1_3gpuE7ELNS1_3repE0EEENS1_30default_config_static_selectorELNS0_4arch9wavefront6targetE0EEEvSR_.num_named_barrier, 0
	.set _ZN7rocprim17ROCPRIM_400000_NS6detail17trampoline_kernelINS0_14default_configENS1_32segmented_reduce_config_selectorIN3c104HalfEEEZNS1_21segmented_reduce_implIS3_PKS6_PS6_PKlS6_N6hipcub16HIPCUB_304000_NS6detail27convert_result_type_wrapperISA_SB_N2at6native12_GLOBAL__N_110CustomProdEEEEE10hipError_tPvRmT0_T1_jT2_SS_T4_T3_P12ihipStream_tbEUlT_E_NS1_11comp_targetILNS1_3genE3ELNS1_11target_archE908ELNS1_3gpuE7ELNS1_3repE0EEENS1_30default_config_static_selectorELNS0_4arch9wavefront6targetE0EEEvSR_.private_seg_size, 0
	.set _ZN7rocprim17ROCPRIM_400000_NS6detail17trampoline_kernelINS0_14default_configENS1_32segmented_reduce_config_selectorIN3c104HalfEEEZNS1_21segmented_reduce_implIS3_PKS6_PS6_PKlS6_N6hipcub16HIPCUB_304000_NS6detail27convert_result_type_wrapperISA_SB_N2at6native12_GLOBAL__N_110CustomProdEEEEE10hipError_tPvRmT0_T1_jT2_SS_T4_T3_P12ihipStream_tbEUlT_E_NS1_11comp_targetILNS1_3genE3ELNS1_11target_archE908ELNS1_3gpuE7ELNS1_3repE0EEENS1_30default_config_static_selectorELNS0_4arch9wavefront6targetE0EEEvSR_.uses_vcc, 0
	.set _ZN7rocprim17ROCPRIM_400000_NS6detail17trampoline_kernelINS0_14default_configENS1_32segmented_reduce_config_selectorIN3c104HalfEEEZNS1_21segmented_reduce_implIS3_PKS6_PS6_PKlS6_N6hipcub16HIPCUB_304000_NS6detail27convert_result_type_wrapperISA_SB_N2at6native12_GLOBAL__N_110CustomProdEEEEE10hipError_tPvRmT0_T1_jT2_SS_T4_T3_P12ihipStream_tbEUlT_E_NS1_11comp_targetILNS1_3genE3ELNS1_11target_archE908ELNS1_3gpuE7ELNS1_3repE0EEENS1_30default_config_static_selectorELNS0_4arch9wavefront6targetE0EEEvSR_.uses_flat_scratch, 0
	.set _ZN7rocprim17ROCPRIM_400000_NS6detail17trampoline_kernelINS0_14default_configENS1_32segmented_reduce_config_selectorIN3c104HalfEEEZNS1_21segmented_reduce_implIS3_PKS6_PS6_PKlS6_N6hipcub16HIPCUB_304000_NS6detail27convert_result_type_wrapperISA_SB_N2at6native12_GLOBAL__N_110CustomProdEEEEE10hipError_tPvRmT0_T1_jT2_SS_T4_T3_P12ihipStream_tbEUlT_E_NS1_11comp_targetILNS1_3genE3ELNS1_11target_archE908ELNS1_3gpuE7ELNS1_3repE0EEENS1_30default_config_static_selectorELNS0_4arch9wavefront6targetE0EEEvSR_.has_dyn_sized_stack, 0
	.set _ZN7rocprim17ROCPRIM_400000_NS6detail17trampoline_kernelINS0_14default_configENS1_32segmented_reduce_config_selectorIN3c104HalfEEEZNS1_21segmented_reduce_implIS3_PKS6_PS6_PKlS6_N6hipcub16HIPCUB_304000_NS6detail27convert_result_type_wrapperISA_SB_N2at6native12_GLOBAL__N_110CustomProdEEEEE10hipError_tPvRmT0_T1_jT2_SS_T4_T3_P12ihipStream_tbEUlT_E_NS1_11comp_targetILNS1_3genE3ELNS1_11target_archE908ELNS1_3gpuE7ELNS1_3repE0EEENS1_30default_config_static_selectorELNS0_4arch9wavefront6targetE0EEEvSR_.has_recursion, 0
	.set _ZN7rocprim17ROCPRIM_400000_NS6detail17trampoline_kernelINS0_14default_configENS1_32segmented_reduce_config_selectorIN3c104HalfEEEZNS1_21segmented_reduce_implIS3_PKS6_PS6_PKlS6_N6hipcub16HIPCUB_304000_NS6detail27convert_result_type_wrapperISA_SB_N2at6native12_GLOBAL__N_110CustomProdEEEEE10hipError_tPvRmT0_T1_jT2_SS_T4_T3_P12ihipStream_tbEUlT_E_NS1_11comp_targetILNS1_3genE3ELNS1_11target_archE908ELNS1_3gpuE7ELNS1_3repE0EEENS1_30default_config_static_selectorELNS0_4arch9wavefront6targetE0EEEvSR_.has_indirect_call, 0
	.section	.AMDGPU.csdata,"",@progbits
; Kernel info:
; codeLenInByte = 0
; TotalNumSgprs: 0
; NumVgprs: 0
; ScratchSize: 0
; MemoryBound: 0
; FloatMode: 240
; IeeeMode: 1
; LDSByteSize: 0 bytes/workgroup (compile time only)
; SGPRBlocks: 0
; VGPRBlocks: 0
; NumSGPRsForWavesPerEU: 1
; NumVGPRsForWavesPerEU: 1
; Occupancy: 16
; WaveLimiterHint : 0
; COMPUTE_PGM_RSRC2:SCRATCH_EN: 0
; COMPUTE_PGM_RSRC2:USER_SGPR: 6
; COMPUTE_PGM_RSRC2:TRAP_HANDLER: 0
; COMPUTE_PGM_RSRC2:TGID_X_EN: 1
; COMPUTE_PGM_RSRC2:TGID_Y_EN: 0
; COMPUTE_PGM_RSRC2:TGID_Z_EN: 0
; COMPUTE_PGM_RSRC2:TIDIG_COMP_CNT: 0
	.section	.text._ZN7rocprim17ROCPRIM_400000_NS6detail17trampoline_kernelINS0_14default_configENS1_32segmented_reduce_config_selectorIN3c104HalfEEEZNS1_21segmented_reduce_implIS3_PKS6_PS6_PKlS6_N6hipcub16HIPCUB_304000_NS6detail27convert_result_type_wrapperISA_SB_N2at6native12_GLOBAL__N_110CustomProdEEEEE10hipError_tPvRmT0_T1_jT2_SS_T4_T3_P12ihipStream_tbEUlT_E_NS1_11comp_targetILNS1_3genE2ELNS1_11target_archE906ELNS1_3gpuE6ELNS1_3repE0EEENS1_30default_config_static_selectorELNS0_4arch9wavefront6targetE0EEEvSR_,"axG",@progbits,_ZN7rocprim17ROCPRIM_400000_NS6detail17trampoline_kernelINS0_14default_configENS1_32segmented_reduce_config_selectorIN3c104HalfEEEZNS1_21segmented_reduce_implIS3_PKS6_PS6_PKlS6_N6hipcub16HIPCUB_304000_NS6detail27convert_result_type_wrapperISA_SB_N2at6native12_GLOBAL__N_110CustomProdEEEEE10hipError_tPvRmT0_T1_jT2_SS_T4_T3_P12ihipStream_tbEUlT_E_NS1_11comp_targetILNS1_3genE2ELNS1_11target_archE906ELNS1_3gpuE6ELNS1_3repE0EEENS1_30default_config_static_selectorELNS0_4arch9wavefront6targetE0EEEvSR_,comdat
	.globl	_ZN7rocprim17ROCPRIM_400000_NS6detail17trampoline_kernelINS0_14default_configENS1_32segmented_reduce_config_selectorIN3c104HalfEEEZNS1_21segmented_reduce_implIS3_PKS6_PS6_PKlS6_N6hipcub16HIPCUB_304000_NS6detail27convert_result_type_wrapperISA_SB_N2at6native12_GLOBAL__N_110CustomProdEEEEE10hipError_tPvRmT0_T1_jT2_SS_T4_T3_P12ihipStream_tbEUlT_E_NS1_11comp_targetILNS1_3genE2ELNS1_11target_archE906ELNS1_3gpuE6ELNS1_3repE0EEENS1_30default_config_static_selectorELNS0_4arch9wavefront6targetE0EEEvSR_ ; -- Begin function _ZN7rocprim17ROCPRIM_400000_NS6detail17trampoline_kernelINS0_14default_configENS1_32segmented_reduce_config_selectorIN3c104HalfEEEZNS1_21segmented_reduce_implIS3_PKS6_PS6_PKlS6_N6hipcub16HIPCUB_304000_NS6detail27convert_result_type_wrapperISA_SB_N2at6native12_GLOBAL__N_110CustomProdEEEEE10hipError_tPvRmT0_T1_jT2_SS_T4_T3_P12ihipStream_tbEUlT_E_NS1_11comp_targetILNS1_3genE2ELNS1_11target_archE906ELNS1_3gpuE6ELNS1_3repE0EEENS1_30default_config_static_selectorELNS0_4arch9wavefront6targetE0EEEvSR_
	.p2align	8
	.type	_ZN7rocprim17ROCPRIM_400000_NS6detail17trampoline_kernelINS0_14default_configENS1_32segmented_reduce_config_selectorIN3c104HalfEEEZNS1_21segmented_reduce_implIS3_PKS6_PS6_PKlS6_N6hipcub16HIPCUB_304000_NS6detail27convert_result_type_wrapperISA_SB_N2at6native12_GLOBAL__N_110CustomProdEEEEE10hipError_tPvRmT0_T1_jT2_SS_T4_T3_P12ihipStream_tbEUlT_E_NS1_11comp_targetILNS1_3genE2ELNS1_11target_archE906ELNS1_3gpuE6ELNS1_3repE0EEENS1_30default_config_static_selectorELNS0_4arch9wavefront6targetE0EEEvSR_,@function
_ZN7rocprim17ROCPRIM_400000_NS6detail17trampoline_kernelINS0_14default_configENS1_32segmented_reduce_config_selectorIN3c104HalfEEEZNS1_21segmented_reduce_implIS3_PKS6_PS6_PKlS6_N6hipcub16HIPCUB_304000_NS6detail27convert_result_type_wrapperISA_SB_N2at6native12_GLOBAL__N_110CustomProdEEEEE10hipError_tPvRmT0_T1_jT2_SS_T4_T3_P12ihipStream_tbEUlT_E_NS1_11comp_targetILNS1_3genE2ELNS1_11target_archE906ELNS1_3gpuE6ELNS1_3repE0EEENS1_30default_config_static_selectorELNS0_4arch9wavefront6targetE0EEEvSR_: ; @_ZN7rocprim17ROCPRIM_400000_NS6detail17trampoline_kernelINS0_14default_configENS1_32segmented_reduce_config_selectorIN3c104HalfEEEZNS1_21segmented_reduce_implIS3_PKS6_PS6_PKlS6_N6hipcub16HIPCUB_304000_NS6detail27convert_result_type_wrapperISA_SB_N2at6native12_GLOBAL__N_110CustomProdEEEEE10hipError_tPvRmT0_T1_jT2_SS_T4_T3_P12ihipStream_tbEUlT_E_NS1_11comp_targetILNS1_3genE2ELNS1_11target_archE906ELNS1_3gpuE6ELNS1_3repE0EEENS1_30default_config_static_selectorELNS0_4arch9wavefront6targetE0EEEvSR_
; %bb.0:
	.section	.rodata,"a",@progbits
	.p2align	6, 0x0
	.amdhsa_kernel _ZN7rocprim17ROCPRIM_400000_NS6detail17trampoline_kernelINS0_14default_configENS1_32segmented_reduce_config_selectorIN3c104HalfEEEZNS1_21segmented_reduce_implIS3_PKS6_PS6_PKlS6_N6hipcub16HIPCUB_304000_NS6detail27convert_result_type_wrapperISA_SB_N2at6native12_GLOBAL__N_110CustomProdEEEEE10hipError_tPvRmT0_T1_jT2_SS_T4_T3_P12ihipStream_tbEUlT_E_NS1_11comp_targetILNS1_3genE2ELNS1_11target_archE906ELNS1_3gpuE6ELNS1_3repE0EEENS1_30default_config_static_selectorELNS0_4arch9wavefront6targetE0EEEvSR_
		.amdhsa_group_segment_fixed_size 0
		.amdhsa_private_segment_fixed_size 0
		.amdhsa_kernarg_size 48
		.amdhsa_user_sgpr_count 6
		.amdhsa_user_sgpr_private_segment_buffer 1
		.amdhsa_user_sgpr_dispatch_ptr 0
		.amdhsa_user_sgpr_queue_ptr 0
		.amdhsa_user_sgpr_kernarg_segment_ptr 1
		.amdhsa_user_sgpr_dispatch_id 0
		.amdhsa_user_sgpr_flat_scratch_init 0
		.amdhsa_user_sgpr_private_segment_size 0
		.amdhsa_wavefront_size32 1
		.amdhsa_uses_dynamic_stack 0
		.amdhsa_system_sgpr_private_segment_wavefront_offset 0
		.amdhsa_system_sgpr_workgroup_id_x 1
		.amdhsa_system_sgpr_workgroup_id_y 0
		.amdhsa_system_sgpr_workgroup_id_z 0
		.amdhsa_system_sgpr_workgroup_info 0
		.amdhsa_system_vgpr_workitem_id 0
		.amdhsa_next_free_vgpr 1
		.amdhsa_next_free_sgpr 1
		.amdhsa_reserve_vcc 0
		.amdhsa_reserve_flat_scratch 0
		.amdhsa_float_round_mode_32 0
		.amdhsa_float_round_mode_16_64 0
		.amdhsa_float_denorm_mode_32 3
		.amdhsa_float_denorm_mode_16_64 3
		.amdhsa_dx10_clamp 1
		.amdhsa_ieee_mode 1
		.amdhsa_fp16_overflow 0
		.amdhsa_workgroup_processor_mode 1
		.amdhsa_memory_ordered 1
		.amdhsa_forward_progress 1
		.amdhsa_shared_vgpr_count 0
		.amdhsa_exception_fp_ieee_invalid_op 0
		.amdhsa_exception_fp_denorm_src 0
		.amdhsa_exception_fp_ieee_div_zero 0
		.amdhsa_exception_fp_ieee_overflow 0
		.amdhsa_exception_fp_ieee_underflow 0
		.amdhsa_exception_fp_ieee_inexact 0
		.amdhsa_exception_int_div_zero 0
	.end_amdhsa_kernel
	.section	.text._ZN7rocprim17ROCPRIM_400000_NS6detail17trampoline_kernelINS0_14default_configENS1_32segmented_reduce_config_selectorIN3c104HalfEEEZNS1_21segmented_reduce_implIS3_PKS6_PS6_PKlS6_N6hipcub16HIPCUB_304000_NS6detail27convert_result_type_wrapperISA_SB_N2at6native12_GLOBAL__N_110CustomProdEEEEE10hipError_tPvRmT0_T1_jT2_SS_T4_T3_P12ihipStream_tbEUlT_E_NS1_11comp_targetILNS1_3genE2ELNS1_11target_archE906ELNS1_3gpuE6ELNS1_3repE0EEENS1_30default_config_static_selectorELNS0_4arch9wavefront6targetE0EEEvSR_,"axG",@progbits,_ZN7rocprim17ROCPRIM_400000_NS6detail17trampoline_kernelINS0_14default_configENS1_32segmented_reduce_config_selectorIN3c104HalfEEEZNS1_21segmented_reduce_implIS3_PKS6_PS6_PKlS6_N6hipcub16HIPCUB_304000_NS6detail27convert_result_type_wrapperISA_SB_N2at6native12_GLOBAL__N_110CustomProdEEEEE10hipError_tPvRmT0_T1_jT2_SS_T4_T3_P12ihipStream_tbEUlT_E_NS1_11comp_targetILNS1_3genE2ELNS1_11target_archE906ELNS1_3gpuE6ELNS1_3repE0EEENS1_30default_config_static_selectorELNS0_4arch9wavefront6targetE0EEEvSR_,comdat
.Lfunc_end243:
	.size	_ZN7rocprim17ROCPRIM_400000_NS6detail17trampoline_kernelINS0_14default_configENS1_32segmented_reduce_config_selectorIN3c104HalfEEEZNS1_21segmented_reduce_implIS3_PKS6_PS6_PKlS6_N6hipcub16HIPCUB_304000_NS6detail27convert_result_type_wrapperISA_SB_N2at6native12_GLOBAL__N_110CustomProdEEEEE10hipError_tPvRmT0_T1_jT2_SS_T4_T3_P12ihipStream_tbEUlT_E_NS1_11comp_targetILNS1_3genE2ELNS1_11target_archE906ELNS1_3gpuE6ELNS1_3repE0EEENS1_30default_config_static_selectorELNS0_4arch9wavefront6targetE0EEEvSR_, .Lfunc_end243-_ZN7rocprim17ROCPRIM_400000_NS6detail17trampoline_kernelINS0_14default_configENS1_32segmented_reduce_config_selectorIN3c104HalfEEEZNS1_21segmented_reduce_implIS3_PKS6_PS6_PKlS6_N6hipcub16HIPCUB_304000_NS6detail27convert_result_type_wrapperISA_SB_N2at6native12_GLOBAL__N_110CustomProdEEEEE10hipError_tPvRmT0_T1_jT2_SS_T4_T3_P12ihipStream_tbEUlT_E_NS1_11comp_targetILNS1_3genE2ELNS1_11target_archE906ELNS1_3gpuE6ELNS1_3repE0EEENS1_30default_config_static_selectorELNS0_4arch9wavefront6targetE0EEEvSR_
                                        ; -- End function
	.set _ZN7rocprim17ROCPRIM_400000_NS6detail17trampoline_kernelINS0_14default_configENS1_32segmented_reduce_config_selectorIN3c104HalfEEEZNS1_21segmented_reduce_implIS3_PKS6_PS6_PKlS6_N6hipcub16HIPCUB_304000_NS6detail27convert_result_type_wrapperISA_SB_N2at6native12_GLOBAL__N_110CustomProdEEEEE10hipError_tPvRmT0_T1_jT2_SS_T4_T3_P12ihipStream_tbEUlT_E_NS1_11comp_targetILNS1_3genE2ELNS1_11target_archE906ELNS1_3gpuE6ELNS1_3repE0EEENS1_30default_config_static_selectorELNS0_4arch9wavefront6targetE0EEEvSR_.num_vgpr, 0
	.set _ZN7rocprim17ROCPRIM_400000_NS6detail17trampoline_kernelINS0_14default_configENS1_32segmented_reduce_config_selectorIN3c104HalfEEEZNS1_21segmented_reduce_implIS3_PKS6_PS6_PKlS6_N6hipcub16HIPCUB_304000_NS6detail27convert_result_type_wrapperISA_SB_N2at6native12_GLOBAL__N_110CustomProdEEEEE10hipError_tPvRmT0_T1_jT2_SS_T4_T3_P12ihipStream_tbEUlT_E_NS1_11comp_targetILNS1_3genE2ELNS1_11target_archE906ELNS1_3gpuE6ELNS1_3repE0EEENS1_30default_config_static_selectorELNS0_4arch9wavefront6targetE0EEEvSR_.num_agpr, 0
	.set _ZN7rocprim17ROCPRIM_400000_NS6detail17trampoline_kernelINS0_14default_configENS1_32segmented_reduce_config_selectorIN3c104HalfEEEZNS1_21segmented_reduce_implIS3_PKS6_PS6_PKlS6_N6hipcub16HIPCUB_304000_NS6detail27convert_result_type_wrapperISA_SB_N2at6native12_GLOBAL__N_110CustomProdEEEEE10hipError_tPvRmT0_T1_jT2_SS_T4_T3_P12ihipStream_tbEUlT_E_NS1_11comp_targetILNS1_3genE2ELNS1_11target_archE906ELNS1_3gpuE6ELNS1_3repE0EEENS1_30default_config_static_selectorELNS0_4arch9wavefront6targetE0EEEvSR_.numbered_sgpr, 0
	.set _ZN7rocprim17ROCPRIM_400000_NS6detail17trampoline_kernelINS0_14default_configENS1_32segmented_reduce_config_selectorIN3c104HalfEEEZNS1_21segmented_reduce_implIS3_PKS6_PS6_PKlS6_N6hipcub16HIPCUB_304000_NS6detail27convert_result_type_wrapperISA_SB_N2at6native12_GLOBAL__N_110CustomProdEEEEE10hipError_tPvRmT0_T1_jT2_SS_T4_T3_P12ihipStream_tbEUlT_E_NS1_11comp_targetILNS1_3genE2ELNS1_11target_archE906ELNS1_3gpuE6ELNS1_3repE0EEENS1_30default_config_static_selectorELNS0_4arch9wavefront6targetE0EEEvSR_.num_named_barrier, 0
	.set _ZN7rocprim17ROCPRIM_400000_NS6detail17trampoline_kernelINS0_14default_configENS1_32segmented_reduce_config_selectorIN3c104HalfEEEZNS1_21segmented_reduce_implIS3_PKS6_PS6_PKlS6_N6hipcub16HIPCUB_304000_NS6detail27convert_result_type_wrapperISA_SB_N2at6native12_GLOBAL__N_110CustomProdEEEEE10hipError_tPvRmT0_T1_jT2_SS_T4_T3_P12ihipStream_tbEUlT_E_NS1_11comp_targetILNS1_3genE2ELNS1_11target_archE906ELNS1_3gpuE6ELNS1_3repE0EEENS1_30default_config_static_selectorELNS0_4arch9wavefront6targetE0EEEvSR_.private_seg_size, 0
	.set _ZN7rocprim17ROCPRIM_400000_NS6detail17trampoline_kernelINS0_14default_configENS1_32segmented_reduce_config_selectorIN3c104HalfEEEZNS1_21segmented_reduce_implIS3_PKS6_PS6_PKlS6_N6hipcub16HIPCUB_304000_NS6detail27convert_result_type_wrapperISA_SB_N2at6native12_GLOBAL__N_110CustomProdEEEEE10hipError_tPvRmT0_T1_jT2_SS_T4_T3_P12ihipStream_tbEUlT_E_NS1_11comp_targetILNS1_3genE2ELNS1_11target_archE906ELNS1_3gpuE6ELNS1_3repE0EEENS1_30default_config_static_selectorELNS0_4arch9wavefront6targetE0EEEvSR_.uses_vcc, 0
	.set _ZN7rocprim17ROCPRIM_400000_NS6detail17trampoline_kernelINS0_14default_configENS1_32segmented_reduce_config_selectorIN3c104HalfEEEZNS1_21segmented_reduce_implIS3_PKS6_PS6_PKlS6_N6hipcub16HIPCUB_304000_NS6detail27convert_result_type_wrapperISA_SB_N2at6native12_GLOBAL__N_110CustomProdEEEEE10hipError_tPvRmT0_T1_jT2_SS_T4_T3_P12ihipStream_tbEUlT_E_NS1_11comp_targetILNS1_3genE2ELNS1_11target_archE906ELNS1_3gpuE6ELNS1_3repE0EEENS1_30default_config_static_selectorELNS0_4arch9wavefront6targetE0EEEvSR_.uses_flat_scratch, 0
	.set _ZN7rocprim17ROCPRIM_400000_NS6detail17trampoline_kernelINS0_14default_configENS1_32segmented_reduce_config_selectorIN3c104HalfEEEZNS1_21segmented_reduce_implIS3_PKS6_PS6_PKlS6_N6hipcub16HIPCUB_304000_NS6detail27convert_result_type_wrapperISA_SB_N2at6native12_GLOBAL__N_110CustomProdEEEEE10hipError_tPvRmT0_T1_jT2_SS_T4_T3_P12ihipStream_tbEUlT_E_NS1_11comp_targetILNS1_3genE2ELNS1_11target_archE906ELNS1_3gpuE6ELNS1_3repE0EEENS1_30default_config_static_selectorELNS0_4arch9wavefront6targetE0EEEvSR_.has_dyn_sized_stack, 0
	.set _ZN7rocprim17ROCPRIM_400000_NS6detail17trampoline_kernelINS0_14default_configENS1_32segmented_reduce_config_selectorIN3c104HalfEEEZNS1_21segmented_reduce_implIS3_PKS6_PS6_PKlS6_N6hipcub16HIPCUB_304000_NS6detail27convert_result_type_wrapperISA_SB_N2at6native12_GLOBAL__N_110CustomProdEEEEE10hipError_tPvRmT0_T1_jT2_SS_T4_T3_P12ihipStream_tbEUlT_E_NS1_11comp_targetILNS1_3genE2ELNS1_11target_archE906ELNS1_3gpuE6ELNS1_3repE0EEENS1_30default_config_static_selectorELNS0_4arch9wavefront6targetE0EEEvSR_.has_recursion, 0
	.set _ZN7rocprim17ROCPRIM_400000_NS6detail17trampoline_kernelINS0_14default_configENS1_32segmented_reduce_config_selectorIN3c104HalfEEEZNS1_21segmented_reduce_implIS3_PKS6_PS6_PKlS6_N6hipcub16HIPCUB_304000_NS6detail27convert_result_type_wrapperISA_SB_N2at6native12_GLOBAL__N_110CustomProdEEEEE10hipError_tPvRmT0_T1_jT2_SS_T4_T3_P12ihipStream_tbEUlT_E_NS1_11comp_targetILNS1_3genE2ELNS1_11target_archE906ELNS1_3gpuE6ELNS1_3repE0EEENS1_30default_config_static_selectorELNS0_4arch9wavefront6targetE0EEEvSR_.has_indirect_call, 0
	.section	.AMDGPU.csdata,"",@progbits
; Kernel info:
; codeLenInByte = 0
; TotalNumSgprs: 0
; NumVgprs: 0
; ScratchSize: 0
; MemoryBound: 0
; FloatMode: 240
; IeeeMode: 1
; LDSByteSize: 0 bytes/workgroup (compile time only)
; SGPRBlocks: 0
; VGPRBlocks: 0
; NumSGPRsForWavesPerEU: 1
; NumVGPRsForWavesPerEU: 1
; Occupancy: 16
; WaveLimiterHint : 0
; COMPUTE_PGM_RSRC2:SCRATCH_EN: 0
; COMPUTE_PGM_RSRC2:USER_SGPR: 6
; COMPUTE_PGM_RSRC2:TRAP_HANDLER: 0
; COMPUTE_PGM_RSRC2:TGID_X_EN: 1
; COMPUTE_PGM_RSRC2:TGID_Y_EN: 0
; COMPUTE_PGM_RSRC2:TGID_Z_EN: 0
; COMPUTE_PGM_RSRC2:TIDIG_COMP_CNT: 0
	.section	.text._ZN7rocprim17ROCPRIM_400000_NS6detail17trampoline_kernelINS0_14default_configENS1_32segmented_reduce_config_selectorIN3c104HalfEEEZNS1_21segmented_reduce_implIS3_PKS6_PS6_PKlS6_N6hipcub16HIPCUB_304000_NS6detail27convert_result_type_wrapperISA_SB_N2at6native12_GLOBAL__N_110CustomProdEEEEE10hipError_tPvRmT0_T1_jT2_SS_T4_T3_P12ihipStream_tbEUlT_E_NS1_11comp_targetILNS1_3genE9ELNS1_11target_archE1100ELNS1_3gpuE3ELNS1_3repE0EEENS1_30default_config_static_selectorELNS0_4arch9wavefront6targetE0EEEvSR_,"axG",@progbits,_ZN7rocprim17ROCPRIM_400000_NS6detail17trampoline_kernelINS0_14default_configENS1_32segmented_reduce_config_selectorIN3c104HalfEEEZNS1_21segmented_reduce_implIS3_PKS6_PS6_PKlS6_N6hipcub16HIPCUB_304000_NS6detail27convert_result_type_wrapperISA_SB_N2at6native12_GLOBAL__N_110CustomProdEEEEE10hipError_tPvRmT0_T1_jT2_SS_T4_T3_P12ihipStream_tbEUlT_E_NS1_11comp_targetILNS1_3genE9ELNS1_11target_archE1100ELNS1_3gpuE3ELNS1_3repE0EEENS1_30default_config_static_selectorELNS0_4arch9wavefront6targetE0EEEvSR_,comdat
	.globl	_ZN7rocprim17ROCPRIM_400000_NS6detail17trampoline_kernelINS0_14default_configENS1_32segmented_reduce_config_selectorIN3c104HalfEEEZNS1_21segmented_reduce_implIS3_PKS6_PS6_PKlS6_N6hipcub16HIPCUB_304000_NS6detail27convert_result_type_wrapperISA_SB_N2at6native12_GLOBAL__N_110CustomProdEEEEE10hipError_tPvRmT0_T1_jT2_SS_T4_T3_P12ihipStream_tbEUlT_E_NS1_11comp_targetILNS1_3genE9ELNS1_11target_archE1100ELNS1_3gpuE3ELNS1_3repE0EEENS1_30default_config_static_selectorELNS0_4arch9wavefront6targetE0EEEvSR_ ; -- Begin function _ZN7rocprim17ROCPRIM_400000_NS6detail17trampoline_kernelINS0_14default_configENS1_32segmented_reduce_config_selectorIN3c104HalfEEEZNS1_21segmented_reduce_implIS3_PKS6_PS6_PKlS6_N6hipcub16HIPCUB_304000_NS6detail27convert_result_type_wrapperISA_SB_N2at6native12_GLOBAL__N_110CustomProdEEEEE10hipError_tPvRmT0_T1_jT2_SS_T4_T3_P12ihipStream_tbEUlT_E_NS1_11comp_targetILNS1_3genE9ELNS1_11target_archE1100ELNS1_3gpuE3ELNS1_3repE0EEENS1_30default_config_static_selectorELNS0_4arch9wavefront6targetE0EEEvSR_
	.p2align	8
	.type	_ZN7rocprim17ROCPRIM_400000_NS6detail17trampoline_kernelINS0_14default_configENS1_32segmented_reduce_config_selectorIN3c104HalfEEEZNS1_21segmented_reduce_implIS3_PKS6_PS6_PKlS6_N6hipcub16HIPCUB_304000_NS6detail27convert_result_type_wrapperISA_SB_N2at6native12_GLOBAL__N_110CustomProdEEEEE10hipError_tPvRmT0_T1_jT2_SS_T4_T3_P12ihipStream_tbEUlT_E_NS1_11comp_targetILNS1_3genE9ELNS1_11target_archE1100ELNS1_3gpuE3ELNS1_3repE0EEENS1_30default_config_static_selectorELNS0_4arch9wavefront6targetE0EEEvSR_,@function
_ZN7rocprim17ROCPRIM_400000_NS6detail17trampoline_kernelINS0_14default_configENS1_32segmented_reduce_config_selectorIN3c104HalfEEEZNS1_21segmented_reduce_implIS3_PKS6_PS6_PKlS6_N6hipcub16HIPCUB_304000_NS6detail27convert_result_type_wrapperISA_SB_N2at6native12_GLOBAL__N_110CustomProdEEEEE10hipError_tPvRmT0_T1_jT2_SS_T4_T3_P12ihipStream_tbEUlT_E_NS1_11comp_targetILNS1_3genE9ELNS1_11target_archE1100ELNS1_3gpuE3ELNS1_3repE0EEENS1_30default_config_static_selectorELNS0_4arch9wavefront6targetE0EEEvSR_: ; @_ZN7rocprim17ROCPRIM_400000_NS6detail17trampoline_kernelINS0_14default_configENS1_32segmented_reduce_config_selectorIN3c104HalfEEEZNS1_21segmented_reduce_implIS3_PKS6_PS6_PKlS6_N6hipcub16HIPCUB_304000_NS6detail27convert_result_type_wrapperISA_SB_N2at6native12_GLOBAL__N_110CustomProdEEEEE10hipError_tPvRmT0_T1_jT2_SS_T4_T3_P12ihipStream_tbEUlT_E_NS1_11comp_targetILNS1_3genE9ELNS1_11target_archE1100ELNS1_3gpuE3ELNS1_3repE0EEENS1_30default_config_static_selectorELNS0_4arch9wavefront6targetE0EEEvSR_
; %bb.0:
	.section	.rodata,"a",@progbits
	.p2align	6, 0x0
	.amdhsa_kernel _ZN7rocprim17ROCPRIM_400000_NS6detail17trampoline_kernelINS0_14default_configENS1_32segmented_reduce_config_selectorIN3c104HalfEEEZNS1_21segmented_reduce_implIS3_PKS6_PS6_PKlS6_N6hipcub16HIPCUB_304000_NS6detail27convert_result_type_wrapperISA_SB_N2at6native12_GLOBAL__N_110CustomProdEEEEE10hipError_tPvRmT0_T1_jT2_SS_T4_T3_P12ihipStream_tbEUlT_E_NS1_11comp_targetILNS1_3genE9ELNS1_11target_archE1100ELNS1_3gpuE3ELNS1_3repE0EEENS1_30default_config_static_selectorELNS0_4arch9wavefront6targetE0EEEvSR_
		.amdhsa_group_segment_fixed_size 0
		.amdhsa_private_segment_fixed_size 0
		.amdhsa_kernarg_size 48
		.amdhsa_user_sgpr_count 6
		.amdhsa_user_sgpr_private_segment_buffer 1
		.amdhsa_user_sgpr_dispatch_ptr 0
		.amdhsa_user_sgpr_queue_ptr 0
		.amdhsa_user_sgpr_kernarg_segment_ptr 1
		.amdhsa_user_sgpr_dispatch_id 0
		.amdhsa_user_sgpr_flat_scratch_init 0
		.amdhsa_user_sgpr_private_segment_size 0
		.amdhsa_wavefront_size32 1
		.amdhsa_uses_dynamic_stack 0
		.amdhsa_system_sgpr_private_segment_wavefront_offset 0
		.amdhsa_system_sgpr_workgroup_id_x 1
		.amdhsa_system_sgpr_workgroup_id_y 0
		.amdhsa_system_sgpr_workgroup_id_z 0
		.amdhsa_system_sgpr_workgroup_info 0
		.amdhsa_system_vgpr_workitem_id 0
		.amdhsa_next_free_vgpr 1
		.amdhsa_next_free_sgpr 1
		.amdhsa_reserve_vcc 0
		.amdhsa_reserve_flat_scratch 0
		.amdhsa_float_round_mode_32 0
		.amdhsa_float_round_mode_16_64 0
		.amdhsa_float_denorm_mode_32 3
		.amdhsa_float_denorm_mode_16_64 3
		.amdhsa_dx10_clamp 1
		.amdhsa_ieee_mode 1
		.amdhsa_fp16_overflow 0
		.amdhsa_workgroup_processor_mode 1
		.amdhsa_memory_ordered 1
		.amdhsa_forward_progress 1
		.amdhsa_shared_vgpr_count 0
		.amdhsa_exception_fp_ieee_invalid_op 0
		.amdhsa_exception_fp_denorm_src 0
		.amdhsa_exception_fp_ieee_div_zero 0
		.amdhsa_exception_fp_ieee_overflow 0
		.amdhsa_exception_fp_ieee_underflow 0
		.amdhsa_exception_fp_ieee_inexact 0
		.amdhsa_exception_int_div_zero 0
	.end_amdhsa_kernel
	.section	.text._ZN7rocprim17ROCPRIM_400000_NS6detail17trampoline_kernelINS0_14default_configENS1_32segmented_reduce_config_selectorIN3c104HalfEEEZNS1_21segmented_reduce_implIS3_PKS6_PS6_PKlS6_N6hipcub16HIPCUB_304000_NS6detail27convert_result_type_wrapperISA_SB_N2at6native12_GLOBAL__N_110CustomProdEEEEE10hipError_tPvRmT0_T1_jT2_SS_T4_T3_P12ihipStream_tbEUlT_E_NS1_11comp_targetILNS1_3genE9ELNS1_11target_archE1100ELNS1_3gpuE3ELNS1_3repE0EEENS1_30default_config_static_selectorELNS0_4arch9wavefront6targetE0EEEvSR_,"axG",@progbits,_ZN7rocprim17ROCPRIM_400000_NS6detail17trampoline_kernelINS0_14default_configENS1_32segmented_reduce_config_selectorIN3c104HalfEEEZNS1_21segmented_reduce_implIS3_PKS6_PS6_PKlS6_N6hipcub16HIPCUB_304000_NS6detail27convert_result_type_wrapperISA_SB_N2at6native12_GLOBAL__N_110CustomProdEEEEE10hipError_tPvRmT0_T1_jT2_SS_T4_T3_P12ihipStream_tbEUlT_E_NS1_11comp_targetILNS1_3genE9ELNS1_11target_archE1100ELNS1_3gpuE3ELNS1_3repE0EEENS1_30default_config_static_selectorELNS0_4arch9wavefront6targetE0EEEvSR_,comdat
.Lfunc_end244:
	.size	_ZN7rocprim17ROCPRIM_400000_NS6detail17trampoline_kernelINS0_14default_configENS1_32segmented_reduce_config_selectorIN3c104HalfEEEZNS1_21segmented_reduce_implIS3_PKS6_PS6_PKlS6_N6hipcub16HIPCUB_304000_NS6detail27convert_result_type_wrapperISA_SB_N2at6native12_GLOBAL__N_110CustomProdEEEEE10hipError_tPvRmT0_T1_jT2_SS_T4_T3_P12ihipStream_tbEUlT_E_NS1_11comp_targetILNS1_3genE9ELNS1_11target_archE1100ELNS1_3gpuE3ELNS1_3repE0EEENS1_30default_config_static_selectorELNS0_4arch9wavefront6targetE0EEEvSR_, .Lfunc_end244-_ZN7rocprim17ROCPRIM_400000_NS6detail17trampoline_kernelINS0_14default_configENS1_32segmented_reduce_config_selectorIN3c104HalfEEEZNS1_21segmented_reduce_implIS3_PKS6_PS6_PKlS6_N6hipcub16HIPCUB_304000_NS6detail27convert_result_type_wrapperISA_SB_N2at6native12_GLOBAL__N_110CustomProdEEEEE10hipError_tPvRmT0_T1_jT2_SS_T4_T3_P12ihipStream_tbEUlT_E_NS1_11comp_targetILNS1_3genE9ELNS1_11target_archE1100ELNS1_3gpuE3ELNS1_3repE0EEENS1_30default_config_static_selectorELNS0_4arch9wavefront6targetE0EEEvSR_
                                        ; -- End function
	.set _ZN7rocprim17ROCPRIM_400000_NS6detail17trampoline_kernelINS0_14default_configENS1_32segmented_reduce_config_selectorIN3c104HalfEEEZNS1_21segmented_reduce_implIS3_PKS6_PS6_PKlS6_N6hipcub16HIPCUB_304000_NS6detail27convert_result_type_wrapperISA_SB_N2at6native12_GLOBAL__N_110CustomProdEEEEE10hipError_tPvRmT0_T1_jT2_SS_T4_T3_P12ihipStream_tbEUlT_E_NS1_11comp_targetILNS1_3genE9ELNS1_11target_archE1100ELNS1_3gpuE3ELNS1_3repE0EEENS1_30default_config_static_selectorELNS0_4arch9wavefront6targetE0EEEvSR_.num_vgpr, 0
	.set _ZN7rocprim17ROCPRIM_400000_NS6detail17trampoline_kernelINS0_14default_configENS1_32segmented_reduce_config_selectorIN3c104HalfEEEZNS1_21segmented_reduce_implIS3_PKS6_PS6_PKlS6_N6hipcub16HIPCUB_304000_NS6detail27convert_result_type_wrapperISA_SB_N2at6native12_GLOBAL__N_110CustomProdEEEEE10hipError_tPvRmT0_T1_jT2_SS_T4_T3_P12ihipStream_tbEUlT_E_NS1_11comp_targetILNS1_3genE9ELNS1_11target_archE1100ELNS1_3gpuE3ELNS1_3repE0EEENS1_30default_config_static_selectorELNS0_4arch9wavefront6targetE0EEEvSR_.num_agpr, 0
	.set _ZN7rocprim17ROCPRIM_400000_NS6detail17trampoline_kernelINS0_14default_configENS1_32segmented_reduce_config_selectorIN3c104HalfEEEZNS1_21segmented_reduce_implIS3_PKS6_PS6_PKlS6_N6hipcub16HIPCUB_304000_NS6detail27convert_result_type_wrapperISA_SB_N2at6native12_GLOBAL__N_110CustomProdEEEEE10hipError_tPvRmT0_T1_jT2_SS_T4_T3_P12ihipStream_tbEUlT_E_NS1_11comp_targetILNS1_3genE9ELNS1_11target_archE1100ELNS1_3gpuE3ELNS1_3repE0EEENS1_30default_config_static_selectorELNS0_4arch9wavefront6targetE0EEEvSR_.numbered_sgpr, 0
	.set _ZN7rocprim17ROCPRIM_400000_NS6detail17trampoline_kernelINS0_14default_configENS1_32segmented_reduce_config_selectorIN3c104HalfEEEZNS1_21segmented_reduce_implIS3_PKS6_PS6_PKlS6_N6hipcub16HIPCUB_304000_NS6detail27convert_result_type_wrapperISA_SB_N2at6native12_GLOBAL__N_110CustomProdEEEEE10hipError_tPvRmT0_T1_jT2_SS_T4_T3_P12ihipStream_tbEUlT_E_NS1_11comp_targetILNS1_3genE9ELNS1_11target_archE1100ELNS1_3gpuE3ELNS1_3repE0EEENS1_30default_config_static_selectorELNS0_4arch9wavefront6targetE0EEEvSR_.num_named_barrier, 0
	.set _ZN7rocprim17ROCPRIM_400000_NS6detail17trampoline_kernelINS0_14default_configENS1_32segmented_reduce_config_selectorIN3c104HalfEEEZNS1_21segmented_reduce_implIS3_PKS6_PS6_PKlS6_N6hipcub16HIPCUB_304000_NS6detail27convert_result_type_wrapperISA_SB_N2at6native12_GLOBAL__N_110CustomProdEEEEE10hipError_tPvRmT0_T1_jT2_SS_T4_T3_P12ihipStream_tbEUlT_E_NS1_11comp_targetILNS1_3genE9ELNS1_11target_archE1100ELNS1_3gpuE3ELNS1_3repE0EEENS1_30default_config_static_selectorELNS0_4arch9wavefront6targetE0EEEvSR_.private_seg_size, 0
	.set _ZN7rocprim17ROCPRIM_400000_NS6detail17trampoline_kernelINS0_14default_configENS1_32segmented_reduce_config_selectorIN3c104HalfEEEZNS1_21segmented_reduce_implIS3_PKS6_PS6_PKlS6_N6hipcub16HIPCUB_304000_NS6detail27convert_result_type_wrapperISA_SB_N2at6native12_GLOBAL__N_110CustomProdEEEEE10hipError_tPvRmT0_T1_jT2_SS_T4_T3_P12ihipStream_tbEUlT_E_NS1_11comp_targetILNS1_3genE9ELNS1_11target_archE1100ELNS1_3gpuE3ELNS1_3repE0EEENS1_30default_config_static_selectorELNS0_4arch9wavefront6targetE0EEEvSR_.uses_vcc, 0
	.set _ZN7rocprim17ROCPRIM_400000_NS6detail17trampoline_kernelINS0_14default_configENS1_32segmented_reduce_config_selectorIN3c104HalfEEEZNS1_21segmented_reduce_implIS3_PKS6_PS6_PKlS6_N6hipcub16HIPCUB_304000_NS6detail27convert_result_type_wrapperISA_SB_N2at6native12_GLOBAL__N_110CustomProdEEEEE10hipError_tPvRmT0_T1_jT2_SS_T4_T3_P12ihipStream_tbEUlT_E_NS1_11comp_targetILNS1_3genE9ELNS1_11target_archE1100ELNS1_3gpuE3ELNS1_3repE0EEENS1_30default_config_static_selectorELNS0_4arch9wavefront6targetE0EEEvSR_.uses_flat_scratch, 0
	.set _ZN7rocprim17ROCPRIM_400000_NS6detail17trampoline_kernelINS0_14default_configENS1_32segmented_reduce_config_selectorIN3c104HalfEEEZNS1_21segmented_reduce_implIS3_PKS6_PS6_PKlS6_N6hipcub16HIPCUB_304000_NS6detail27convert_result_type_wrapperISA_SB_N2at6native12_GLOBAL__N_110CustomProdEEEEE10hipError_tPvRmT0_T1_jT2_SS_T4_T3_P12ihipStream_tbEUlT_E_NS1_11comp_targetILNS1_3genE9ELNS1_11target_archE1100ELNS1_3gpuE3ELNS1_3repE0EEENS1_30default_config_static_selectorELNS0_4arch9wavefront6targetE0EEEvSR_.has_dyn_sized_stack, 0
	.set _ZN7rocprim17ROCPRIM_400000_NS6detail17trampoline_kernelINS0_14default_configENS1_32segmented_reduce_config_selectorIN3c104HalfEEEZNS1_21segmented_reduce_implIS3_PKS6_PS6_PKlS6_N6hipcub16HIPCUB_304000_NS6detail27convert_result_type_wrapperISA_SB_N2at6native12_GLOBAL__N_110CustomProdEEEEE10hipError_tPvRmT0_T1_jT2_SS_T4_T3_P12ihipStream_tbEUlT_E_NS1_11comp_targetILNS1_3genE9ELNS1_11target_archE1100ELNS1_3gpuE3ELNS1_3repE0EEENS1_30default_config_static_selectorELNS0_4arch9wavefront6targetE0EEEvSR_.has_recursion, 0
	.set _ZN7rocprim17ROCPRIM_400000_NS6detail17trampoline_kernelINS0_14default_configENS1_32segmented_reduce_config_selectorIN3c104HalfEEEZNS1_21segmented_reduce_implIS3_PKS6_PS6_PKlS6_N6hipcub16HIPCUB_304000_NS6detail27convert_result_type_wrapperISA_SB_N2at6native12_GLOBAL__N_110CustomProdEEEEE10hipError_tPvRmT0_T1_jT2_SS_T4_T3_P12ihipStream_tbEUlT_E_NS1_11comp_targetILNS1_3genE9ELNS1_11target_archE1100ELNS1_3gpuE3ELNS1_3repE0EEENS1_30default_config_static_selectorELNS0_4arch9wavefront6targetE0EEEvSR_.has_indirect_call, 0
	.section	.AMDGPU.csdata,"",@progbits
; Kernel info:
; codeLenInByte = 0
; TotalNumSgprs: 0
; NumVgprs: 0
; ScratchSize: 0
; MemoryBound: 0
; FloatMode: 240
; IeeeMode: 1
; LDSByteSize: 0 bytes/workgroup (compile time only)
; SGPRBlocks: 0
; VGPRBlocks: 0
; NumSGPRsForWavesPerEU: 1
; NumVGPRsForWavesPerEU: 1
; Occupancy: 16
; WaveLimiterHint : 0
; COMPUTE_PGM_RSRC2:SCRATCH_EN: 0
; COMPUTE_PGM_RSRC2:USER_SGPR: 6
; COMPUTE_PGM_RSRC2:TRAP_HANDLER: 0
; COMPUTE_PGM_RSRC2:TGID_X_EN: 1
; COMPUTE_PGM_RSRC2:TGID_Y_EN: 0
; COMPUTE_PGM_RSRC2:TGID_Z_EN: 0
; COMPUTE_PGM_RSRC2:TIDIG_COMP_CNT: 0
	.section	.text._ZN7rocprim17ROCPRIM_400000_NS6detail17trampoline_kernelINS0_14default_configENS1_32segmented_reduce_config_selectorIN3c104HalfEEEZNS1_21segmented_reduce_implIS3_PKS6_PS6_PKlS6_N6hipcub16HIPCUB_304000_NS6detail27convert_result_type_wrapperISA_SB_N2at6native12_GLOBAL__N_110CustomProdEEEEE10hipError_tPvRmT0_T1_jT2_SS_T4_T3_P12ihipStream_tbEUlT_E_NS1_11comp_targetILNS1_3genE8ELNS1_11target_archE1030ELNS1_3gpuE2ELNS1_3repE0EEENS1_30default_config_static_selectorELNS0_4arch9wavefront6targetE0EEEvSR_,"axG",@progbits,_ZN7rocprim17ROCPRIM_400000_NS6detail17trampoline_kernelINS0_14default_configENS1_32segmented_reduce_config_selectorIN3c104HalfEEEZNS1_21segmented_reduce_implIS3_PKS6_PS6_PKlS6_N6hipcub16HIPCUB_304000_NS6detail27convert_result_type_wrapperISA_SB_N2at6native12_GLOBAL__N_110CustomProdEEEEE10hipError_tPvRmT0_T1_jT2_SS_T4_T3_P12ihipStream_tbEUlT_E_NS1_11comp_targetILNS1_3genE8ELNS1_11target_archE1030ELNS1_3gpuE2ELNS1_3repE0EEENS1_30default_config_static_selectorELNS0_4arch9wavefront6targetE0EEEvSR_,comdat
	.globl	_ZN7rocprim17ROCPRIM_400000_NS6detail17trampoline_kernelINS0_14default_configENS1_32segmented_reduce_config_selectorIN3c104HalfEEEZNS1_21segmented_reduce_implIS3_PKS6_PS6_PKlS6_N6hipcub16HIPCUB_304000_NS6detail27convert_result_type_wrapperISA_SB_N2at6native12_GLOBAL__N_110CustomProdEEEEE10hipError_tPvRmT0_T1_jT2_SS_T4_T3_P12ihipStream_tbEUlT_E_NS1_11comp_targetILNS1_3genE8ELNS1_11target_archE1030ELNS1_3gpuE2ELNS1_3repE0EEENS1_30default_config_static_selectorELNS0_4arch9wavefront6targetE0EEEvSR_ ; -- Begin function _ZN7rocprim17ROCPRIM_400000_NS6detail17trampoline_kernelINS0_14default_configENS1_32segmented_reduce_config_selectorIN3c104HalfEEEZNS1_21segmented_reduce_implIS3_PKS6_PS6_PKlS6_N6hipcub16HIPCUB_304000_NS6detail27convert_result_type_wrapperISA_SB_N2at6native12_GLOBAL__N_110CustomProdEEEEE10hipError_tPvRmT0_T1_jT2_SS_T4_T3_P12ihipStream_tbEUlT_E_NS1_11comp_targetILNS1_3genE8ELNS1_11target_archE1030ELNS1_3gpuE2ELNS1_3repE0EEENS1_30default_config_static_selectorELNS0_4arch9wavefront6targetE0EEEvSR_
	.p2align	8
	.type	_ZN7rocprim17ROCPRIM_400000_NS6detail17trampoline_kernelINS0_14default_configENS1_32segmented_reduce_config_selectorIN3c104HalfEEEZNS1_21segmented_reduce_implIS3_PKS6_PS6_PKlS6_N6hipcub16HIPCUB_304000_NS6detail27convert_result_type_wrapperISA_SB_N2at6native12_GLOBAL__N_110CustomProdEEEEE10hipError_tPvRmT0_T1_jT2_SS_T4_T3_P12ihipStream_tbEUlT_E_NS1_11comp_targetILNS1_3genE8ELNS1_11target_archE1030ELNS1_3gpuE2ELNS1_3repE0EEENS1_30default_config_static_selectorELNS0_4arch9wavefront6targetE0EEEvSR_,@function
_ZN7rocprim17ROCPRIM_400000_NS6detail17trampoline_kernelINS0_14default_configENS1_32segmented_reduce_config_selectorIN3c104HalfEEEZNS1_21segmented_reduce_implIS3_PKS6_PS6_PKlS6_N6hipcub16HIPCUB_304000_NS6detail27convert_result_type_wrapperISA_SB_N2at6native12_GLOBAL__N_110CustomProdEEEEE10hipError_tPvRmT0_T1_jT2_SS_T4_T3_P12ihipStream_tbEUlT_E_NS1_11comp_targetILNS1_3genE8ELNS1_11target_archE1030ELNS1_3gpuE2ELNS1_3repE0EEENS1_30default_config_static_selectorELNS0_4arch9wavefront6targetE0EEEvSR_: ; @_ZN7rocprim17ROCPRIM_400000_NS6detail17trampoline_kernelINS0_14default_configENS1_32segmented_reduce_config_selectorIN3c104HalfEEEZNS1_21segmented_reduce_implIS3_PKS6_PS6_PKlS6_N6hipcub16HIPCUB_304000_NS6detail27convert_result_type_wrapperISA_SB_N2at6native12_GLOBAL__N_110CustomProdEEEEE10hipError_tPvRmT0_T1_jT2_SS_T4_T3_P12ihipStream_tbEUlT_E_NS1_11comp_targetILNS1_3genE8ELNS1_11target_archE1030ELNS1_3gpuE2ELNS1_3repE0EEENS1_30default_config_static_selectorELNS0_4arch9wavefront6targetE0EEEvSR_
; %bb.0:
	s_clause 0x2
	s_load_dwordx8 s[12:19], s[4:5], 0x0
	s_load_dword s7, s[4:5], 0x28
	s_load_dwordx2 s[0:1], s[4:5], 0x20
	s_waitcnt lgkmcnt(0)
	s_lshl_b64 s[2:3], s[16:17], 1
	s_lshr_b32 s9, s7, 16
	s_add_u32 s20, s14, s2
	s_addc_u32 s21, s15, s3
	s_lshl_b64 s[2:3], s[16:17], 3
	s_mov_b32 s7, 0
	s_add_u32 s4, s18, s2
	s_addc_u32 s5, s19, s3
	s_add_u32 s8, s0, s2
	s_addc_u32 s10, s1, s3
	s_lshl_b64 s[0:1], s[6:7], 3
	s_add_u32 s2, s4, s0
	s_addc_u32 s3, s5, s1
	s_add_u32 s0, s8, s0
	s_addc_u32 s1, s10, s1
	s_load_dwordx2 s[14:15], s[2:3], 0x0
	s_load_dwordx2 s[10:11], s[0:1], 0x0
	s_mov_b32 s1, -1
	s_waitcnt lgkmcnt(0)
	v_cmp_gt_i64_e64 s0, s[10:11], s[14:15]
	s_and_b32 vcc_lo, exec_lo, s0
	v_cmp_eq_u32_e64 s0, 0, v0
	s_cbranch_vccnz .LBB245_4
; %bb.1:
	s_and_saveexec_b32 s1, s0
	s_cbranch_execz .LBB245_3
; %bb.2:
	s_lshl_b64 s[2:3], s[6:7], 1
	v_mov_b32_e32 v1, 0
	v_mov_b32_e32 v2, s9
	s_add_u32 s2, s20, s2
	s_addc_u32 s3, s21, s3
	global_store_short v1, v2, s[2:3]
.LBB245_3:
	s_or_b32 exec_lo, exec_lo, s1
	s_mov_b32 s1, 0
.LBB245_4:
	s_andn2_b32 vcc_lo, exec_lo, s1
	s_cbranch_vccnz .LBB245_53
; %bb.5:
	s_add_u32 s0, s14, 0x800
	s_addc_u32 s1, s15, 0
	v_cmp_le_i64_e64 s2, s[0:1], s[10:11]
	s_and_b32 vcc_lo, exec_lo, s2
	s_cbranch_vccz .LBB245_30
; %bb.6:
	s_lshl_b64 s[2:3], s[14:15], 1
	v_lshlrev_b32_e32 v12, 1, v0
	s_add_u32 s4, s12, s2
	s_addc_u32 s5, s13, s3
	s_clause 0x1
	global_load_ushort v3, v12, s[4:5]
	global_load_ushort v4, v12, s[4:5] offset:512
	v_add_co_u32 v1, s8, s4, v12
	v_add_co_ci_u32_e64 v2, null, s5, 0, s8
	global_load_ushort v5, v12, s[4:5] offset:1024
	v_add_co_u32 v1, vcc_lo, 0x800, v1
	v_add_co_ci_u32_e64 v2, null, 0, v2, vcc_lo
	s_clause 0x4
	global_load_ushort v6, v12, s[4:5] offset:1536
	global_load_ushort v7, v[1:2], off
	global_load_ushort v8, v[1:2], off offset:512
	global_load_ushort v9, v[1:2], off offset:1024
	global_load_ushort v10, v[1:2], off offset:1536
	s_add_u32 s4, s14, 0x1000
	s_addc_u32 s5, s15, 0
	v_cmp_ge_i64_e64 s4, s[4:5], s[10:11]
	s_and_b32 vcc_lo, exec_lo, s4
	s_waitcnt vmcnt(6)
	v_mul_f16_e32 v1, v3, v4
	s_waitcnt vmcnt(5)
	v_mul_f16_e32 v1, v1, v5
	s_waitcnt vmcnt(4)
	v_mul_f16_e32 v1, v1, v6
	s_waitcnt vmcnt(3)
	v_mul_f16_e32 v1, v1, v7
	s_waitcnt vmcnt(2)
	v_mul_f16_e32 v1, v1, v8
	s_waitcnt vmcnt(1)
	v_mul_f16_e32 v1, v1, v9
	s_waitcnt vmcnt(0)
	v_mul_f16_e32 v11, v1, v10
	s_cbranch_vccnz .LBB245_9
; %bb.7:
	s_add_u32 s2, s12, s2
	s_addc_u32 s3, s13, s3
	v_add_co_u32 v1, s2, s2, v12
	v_add_co_ci_u32_e64 v2, null, s3, 0, s2
	v_add_co_u32 v1, vcc_lo, 0x1000, v1
	v_add_co_ci_u32_e64 v2, null, 0, v2, vcc_lo
	s_inst_prefetch 0x1
	.p2align	6
.LBB245_8:                              ; =>This Inner Loop Header: Depth=1
	s_clause 0x2
	global_load_ushort v3, v[1:2], off
	global_load_ushort v4, v[1:2], off offset:512
	global_load_ushort v5, v[1:2], off offset:1024
	v_add_co_u32 v13, vcc_lo, 0x800, v1
	v_add_co_ci_u32_e64 v14, null, 0, v2, vcc_lo
	s_mov_b64 s[2:3], s[0:1]
	s_clause 0x4
	global_load_ushort v6, v[1:2], off offset:1536
	global_load_ushort v7, v[13:14], off
	global_load_ushort v8, v[13:14], off offset:512
	global_load_ushort v9, v[13:14], off offset:1024
	;; [unrolled: 1-line block ×3, first 2 shown]
	s_add_u32 s0, s2, 0x800
	s_addc_u32 s1, s3, 0
	s_add_u32 s2, s2, 0x1000
	s_addc_u32 s3, s3, 0
	v_add_co_u32 v1, vcc_lo, 0x1000, v1
	v_cmp_lt_i64_e64 s2, s[2:3], s[10:11]
	v_add_co_ci_u32_e64 v2, null, 0, v2, vcc_lo
	s_and_b32 vcc_lo, exec_lo, s2
	s_waitcnt vmcnt(7)
	v_mul_f16_e32 v11, v11, v3
	s_waitcnt vmcnt(6)
	v_mul_f16_e32 v11, v11, v4
	;; [unrolled: 2-line block ×8, first 2 shown]
	s_cbranch_vccnz .LBB245_8
.LBB245_9:
	s_inst_prefetch 0x2
	s_sub_i32 s8, s10, s0
	s_lshl_b64 s[0:1], s[0:1], 1
	v_cmp_gt_u32_e32 vcc_lo, s8, v0
	s_add_u32 s16, s12, s0
	s_addc_u32 s17, s13, s1
	s_and_saveexec_b32 s0, vcc_lo
	s_cbranch_execz .LBB245_11
; %bb.10:
	global_load_ushort v3, v12, s[16:17]
.LBB245_11:
	s_or_b32 exec_lo, exec_lo, s0
	v_or_b32_e32 v1, 0x100, v0
	v_cmp_gt_u32_e64 s0, s8, v1
	s_and_saveexec_b32 s1, s0
	s_cbranch_execz .LBB245_13
; %bb.12:
	global_load_ushort v4, v12, s[16:17] offset:512
.LBB245_13:
	s_or_b32 exec_lo, exec_lo, s1
	v_or_b32_e32 v1, 0x200, v0
	v_cmp_gt_u32_e64 s1, s8, v1
	s_and_saveexec_b32 s2, s1
	s_cbranch_execz .LBB245_15
; %bb.14:
	global_load_ushort v5, v12, s[16:17] offset:1024
.LBB245_15:
	;; [unrolled: 8-line block ×3, first 2 shown]
	s_or_b32 exec_lo, exec_lo, s3
	v_or_b32_e32 v1, 0x400, v0
	v_cmp_gt_u32_e64 s3, s8, v1
	s_and_saveexec_b32 s4, s3
	s_cbranch_execz .LBB245_19
; %bb.18:
	v_lshlrev_b32_e32 v1, 1, v1
	global_load_ushort v7, v1, s[16:17]
.LBB245_19:
	s_or_b32 exec_lo, exec_lo, s4
	v_or_b32_e32 v1, 0x500, v0
	v_cmp_gt_u32_e64 s4, s8, v1
	s_and_saveexec_b32 s5, s4
	s_cbranch_execz .LBB245_21
; %bb.20:
	v_lshlrev_b32_e32 v1, 1, v1
	global_load_ushort v8, v1, s[16:17]
.LBB245_21:
	s_or_b32 exec_lo, exec_lo, s5
	v_or_b32_e32 v1, 0x600, v0
	v_cmp_gt_u32_e64 s5, s8, v1
	s_and_saveexec_b32 s18, s5
	s_cbranch_execz .LBB245_23
; %bb.22:
	v_lshlrev_b32_e32 v1, 1, v1
	global_load_ushort v9, v1, s[16:17]
.LBB245_23:
	s_or_b32 exec_lo, exec_lo, s18
	v_or_b32_e32 v1, 0x700, v0
	v_cmp_gt_u32_e64 s8, s8, v1
	s_and_saveexec_b32 s18, s8
	s_cbranch_execz .LBB245_25
; %bb.24:
	v_lshlrev_b32_e32 v1, 1, v1
	global_load_ushort v10, v1, s[16:17]
.LBB245_25:
	s_or_b32 exec_lo, exec_lo, s18
	s_waitcnt vmcnt(0)
	v_mul_f16_e32 v1, v11, v3
	v_cndmask_b32_e32 v1, v11, v1, vcc_lo
	v_mul_f16_e32 v2, v1, v4
	v_cndmask_b32_e64 v1, v1, v2, s0
	s_mov_b32 s0, exec_lo
	v_mul_f16_e32 v2, v1, v5
	v_cndmask_b32_e64 v1, v1, v2, s1
	v_mul_f16_e32 v2, v1, v6
	v_cndmask_b32_e64 v1, v1, v2, s2
	;; [unrolled: 2-line block ×6, first 2 shown]
	v_and_b32_e32 v2, 0xffff, v1
	v_mov_b32_dpp v2, v2 quad_perm:[1,0,3,2] row_mask:0xf bank_mask:0xf
	v_mul_f16_e32 v1, v1, v2
	v_and_b32_e32 v2, 0xffff, v1
	v_mov_b32_dpp v2, v2 quad_perm:[2,3,0,1] row_mask:0xf bank_mask:0xf
	v_mul_f16_e32 v1, v1, v2
	v_and_b32_e32 v2, 0xffff, v1
	v_mov_b32_dpp v2, v2 row_ror:4 row_mask:0xf bank_mask:0xf
	v_mul_f16_e32 v1, v1, v2
	v_and_b32_e32 v2, 0xffff, v1
	v_mov_b32_dpp v2, v2 row_ror:8 row_mask:0xf bank_mask:0xf
	v_mul_f16_e32 v1, v1, v2
	v_and_b32_e32 v2, 0xffff, v1
	ds_swizzle_b32 v2, v2 offset:swizzle(BROADCAST,32,15)
	s_waitcnt lgkmcnt(0)
	v_mul_f16_e32 v1, v1, v2
	v_mov_b32_e32 v2, 0
	v_and_b32_e32 v1, 0xffff, v1
	ds_bpermute_b32 v3, v2, v1 offset:124
	v_mbcnt_lo_u32_b32 v1, -1, 0
	v_cmpx_eq_u32_e32 0, v1
	s_cbranch_execz .LBB245_27
; %bb.26:
	v_lshrrev_b32_e32 v2, 4, v0
	v_and_b32_e32 v2, 14, v2
	s_waitcnt lgkmcnt(0)
	ds_write_b16 v2, v3
.LBB245_27:
	s_or_b32 exec_lo, exec_lo, s0
	s_mov_b32 s0, exec_lo
	s_waitcnt lgkmcnt(0)
	s_waitcnt_vscnt null, 0x0
	s_barrier
	buffer_gl0_inv
	v_cmpx_gt_u32_e32 32, v0
	s_cbranch_execz .LBB245_29
; %bb.28:
	v_and_b32_e32 v2, 7, v1
	v_lshlrev_b32_e32 v3, 1, v2
	v_cmp_ne_u32_e32 vcc_lo, 7, v2
	ds_read_u16 v3, v3
	v_add_co_ci_u32_e64 v4, null, 0, v1, vcc_lo
	v_cmp_gt_u32_e32 vcc_lo, 6, v2
	v_lshlrev_b32_e32 v4, 2, v4
	v_cndmask_b32_e64 v2, 0, 2, vcc_lo
	v_add_lshl_u32 v2, v2, v1, 2
	v_lshlrev_b32_e32 v1, 2, v1
	v_or_b32_e32 v1, 16, v1
	s_waitcnt lgkmcnt(0)
	v_and_b32_e32 v5, 0xffff, v3
	ds_bpermute_b32 v4, v4, v5
	s_waitcnt lgkmcnt(0)
	v_mul_f16_e32 v3, v3, v4
	v_and_b32_e32 v4, 0xffff, v3
	ds_bpermute_b32 v2, v2, v4
	s_waitcnt lgkmcnt(0)
	v_mul_f16_e32 v2, v3, v2
	;; [unrolled: 4-line block ×3, first 2 shown]
.LBB245_29:
	s_or_b32 exec_lo, exec_lo, s0
	s_branch .LBB245_51
.LBB245_30:
                                        ; implicit-def: $vgpr3
	s_cbranch_execz .LBB245_51
; %bb.31:
	s_sub_i32 s3, s10, s14
	s_mov_b32 s1, exec_lo
                                        ; implicit-def: $vgpr5
	v_cmpx_gt_u32_e64 s3, v0
	s_cbranch_execz .LBB245_37
; %bb.32:
	v_add_co_u32 v1, s0, s14, v0
	v_add_co_ci_u32_e64 v2, null, s15, 0, s0
	s_mov_b32 s2, exec_lo
	v_lshlrev_b64 v[3:4], 1, v[1:2]
	v_add_co_u32 v3, vcc_lo, s12, v3
	v_add_co_ci_u32_e64 v4, null, s13, v4, vcc_lo
	v_add_co_u32 v1, vcc_lo, 0x100, v1
	v_add_co_ci_u32_e64 v2, null, 0, v2, vcc_lo
	global_load_ushort v5, v[3:4], off
	v_cmpx_gt_i64_e64 s[10:11], v[1:2]
	s_cbranch_execz .LBB245_36
; %bb.33:
	v_add_co_u32 v3, vcc_lo, 0x200, v3
	v_add_co_ci_u32_e64 v4, null, 0, v4, vcc_lo
	s_mov_b32 s4, 0
	.p2align	6
.LBB245_34:                             ; =>This Inner Loop Header: Depth=1
	global_load_ushort v6, v[3:4], off
	v_add_co_u32 v1, vcc_lo, 0x100, v1
	v_add_co_ci_u32_e64 v2, null, 0, v2, vcc_lo
	v_add_co_u32 v3, s0, 0x200, v3
	v_add_co_ci_u32_e64 v4, null, 0, v4, s0
	v_cmp_le_i64_e32 vcc_lo, s[10:11], v[1:2]
	s_or_b32 s4, vcc_lo, s4
	s_waitcnt vmcnt(0)
	v_mul_f16_e32 v5, v5, v6
	s_andn2_b32 exec_lo, exec_lo, s4
	s_cbranch_execnz .LBB245_34
; %bb.35:
	s_or_b32 exec_lo, exec_lo, s4
.LBB245_36:
	s_or_b32 exec_lo, exec_lo, s2
.LBB245_37:
	s_or_b32 exec_lo, exec_lo, s1
	v_mbcnt_lo_u32_b32 v1, -1, 0
	s_waitcnt vmcnt(0)
	v_and_b32_e32 v2, 0xffff, v5
	s_cmpk_lt_u32 s3, 0x100
	s_cbranch_scc0 .LBB245_45
; %bb.38:
	v_cmp_ne_u32_e32 vcc_lo, 31, v1
	v_and_b32_e32 v4, 0xe0, v0
	v_add_nc_u32_e32 v10, 2, v1
	v_add_co_ci_u32_e64 v3, null, 0, v1, vcc_lo
	v_cmp_gt_u32_e32 vcc_lo, 30, v1
	v_sub_nc_u32_e64 v7, s3, v4 clamp
	v_lshlrev_b32_e32 v3, 2, v3
	v_cndmask_b32_e64 v8, 0, 2, vcc_lo
	v_cmp_gt_u32_e32 vcc_lo, 28, v1
	v_cmp_lt_u32_e64 s0, v10, v7
	ds_bpermute_b32 v3, v3, v2
	v_add_lshl_u32 v8, v8, v1, 2
	s_waitcnt lgkmcnt(0)
	v_mul_f16_e32 v6, v5, v3
	v_add_nc_u32_e32 v3, 1, v1
	v_and_b32_e32 v4, 0xffff, v6
	v_cmp_lt_u32_e64 s2, v3, v7
	v_cndmask_b32_e64 v3, v2, v4, s2
	v_cndmask_b32_e64 v9, v5, v6, s2
	ds_bpermute_b32 v4, v8, v3
	s_waitcnt lgkmcnt(0)
	v_mul_f16_e32 v8, v9, v4
	v_cndmask_b32_e64 v4, 0, 4, vcc_lo
	v_cmp_gt_u32_e32 vcc_lo, 24, v1
	v_and_b32_e32 v11, 0xffff, v8
	v_add_lshl_u32 v4, v4, v1, 2
	v_cndmask_b32_e64 v10, v9, v8, s0
	v_cndmask_b32_e64 v3, v3, v11, s0
	v_add_nc_u32_e32 v11, 4, v1
	ds_bpermute_b32 v4, v4, v3
	v_cmp_lt_u32_e64 s1, v11, v7
	s_waitcnt lgkmcnt(0)
	v_mul_f16_e32 v9, v10, v4
	v_cndmask_b32_e64 v4, 0, 8, vcc_lo
	v_and_b32_e32 v12, 0xffff, v9
	v_add_lshl_u32 v4, v4, v1, 2
	v_cndmask_b32_e64 v11, v10, v9, s1
	v_cndmask_b32_e64 v3, v3, v12, s1
	v_add_nc_u32_e32 v12, 8, v1
	ds_bpermute_b32 v4, v4, v3
	v_cmp_lt_u32_e32 vcc_lo, v12, v7
	s_waitcnt lgkmcnt(0)
	v_mul_f16_e32 v10, v11, v4
	v_lshlrev_b32_e32 v4, 2, v1
	v_cndmask_b32_sdwa v3, v3, v10, vcc_lo dst_sel:DWORD dst_unused:UNUSED_PAD src0_sel:DWORD src1_sel:WORD_0
	v_or_b32_e32 v12, 64, v4
	ds_bpermute_b32 v12, v12, v3
	v_mov_b32_e32 v3, v5
	s_and_saveexec_b32 s4, s2
	s_cbranch_execz .LBB245_40
; %bb.39:
	v_cndmask_b32_e64 v3, v6, v8, s0
	v_cndmask_b32_e32 v6, v11, v10, vcc_lo
	v_add_nc_u32_e32 v8, 16, v1
	v_cndmask_b32_e64 v3, v3, v9, s1
	s_waitcnt lgkmcnt(0)
	v_mul_f16_e32 v6, v6, v12
	v_cndmask_b32_e32 v3, v3, v10, vcc_lo
	v_cmp_lt_u32_e32 vcc_lo, v8, v7
	v_cndmask_b32_e32 v3, v3, v6, vcc_lo
.LBB245_40:
	s_or_b32 exec_lo, exec_lo, s4
	s_mov_b32 s0, exec_lo
	v_cmpx_eq_u32_e32 0, v1
; %bb.41:
	v_lshrrev_b32_e32 v6, 4, v0
	v_and_b32_e32 v6, 14, v6
	ds_write_b16 v6, v3
; %bb.42:
	s_or_b32 exec_lo, exec_lo, s0
	s_mov_b32 s1, exec_lo
	s_waitcnt lgkmcnt(0)
	s_waitcnt_vscnt null, 0x0
	s_barrier
	buffer_gl0_inv
	v_cmpx_gt_u32_e32 8, v0
	s_cbranch_execz .LBB245_44
; %bb.43:
	v_lshlrev_b32_e32 v3, 1, v1
	v_and_b32_e32 v6, 7, v1
	s_add_i32 s3, s3, 31
	v_or_b32_e32 v4, 16, v4
	s_lshr_b32 s2, s3, 5
	ds_read_u16 v3, v3
	v_cmp_ne_u32_e32 vcc_lo, 7, v6
	v_add_nc_u32_e32 v10, 1, v6
	v_add_co_ci_u32_e64 v7, null, 0, v1, vcc_lo
	v_cmp_gt_u32_e32 vcc_lo, 6, v6
	v_cmp_gt_u32_e64 s0, s2, v10
	v_lshlrev_b32_e32 v7, 2, v7
	v_cndmask_b32_e64 v9, 0, 2, vcc_lo
	v_add_lshl_u32 v9, v9, v1, 2
	s_waitcnt lgkmcnt(0)
	v_and_b32_e32 v8, 0xffff, v3
	ds_bpermute_b32 v7, v7, v8
	s_waitcnt lgkmcnt(0)
	v_mul_f16_e32 v7, v3, v7
	v_and_b32_e32 v11, 0xffff, v7
	v_cndmask_b32_e64 v10, v3, v7, s0
	v_cndmask_b32_e64 v8, v8, v11, s0
	v_add_nc_u32_e32 v11, 2, v6
	v_add_nc_u32_e32 v6, 4, v6
	ds_bpermute_b32 v9, v9, v8
	v_cmp_gt_u32_e32 vcc_lo, s2, v11
	s_waitcnt lgkmcnt(0)
	v_mul_f16_e32 v9, v10, v9
	v_cndmask_b32_sdwa v8, v8, v9, vcc_lo dst_sel:DWORD dst_unused:UNUSED_PAD src0_sel:DWORD src1_sel:WORD_0
	v_cndmask_b32_e32 v7, v7, v9, vcc_lo
	v_cmp_gt_u32_e32 vcc_lo, s2, v6
	ds_bpermute_b32 v4, v4, v8
	s_waitcnt lgkmcnt(0)
	v_mul_f16_e32 v4, v7, v4
	v_cndmask_b32_e32 v4, v7, v4, vcc_lo
	v_cndmask_b32_e64 v3, v3, v4, s0
.LBB245_44:
	s_or_b32 exec_lo, exec_lo, s1
	s_branch .LBB245_51
.LBB245_45:
                                        ; implicit-def: $vgpr3
	s_cbranch_execz .LBB245_51
; %bb.46:
	v_mov_b32_dpp v2, v2 quad_perm:[1,0,3,2] row_mask:0xf bank_mask:0xf
	s_mov_b32 s0, exec_lo
	v_mul_f16_e32 v2, v5, v2
	v_and_b32_e32 v3, 0xffff, v2
	v_mov_b32_dpp v3, v3 quad_perm:[2,3,0,1] row_mask:0xf bank_mask:0xf
	v_mul_f16_e32 v2, v2, v3
	v_and_b32_e32 v3, 0xffff, v2
	v_mov_b32_dpp v3, v3 row_ror:4 row_mask:0xf bank_mask:0xf
	v_mul_f16_e32 v2, v2, v3
	v_and_b32_e32 v3, 0xffff, v2
	v_mov_b32_dpp v3, v3 row_ror:8 row_mask:0xf bank_mask:0xf
	v_mul_f16_e32 v2, v2, v3
	v_and_b32_e32 v3, 0xffff, v2
	ds_swizzle_b32 v3, v3 offset:swizzle(BROADCAST,32,15)
	s_waitcnt lgkmcnt(0)
	v_mul_f16_e32 v2, v2, v3
	v_mov_b32_e32 v3, 0
	v_and_b32_e32 v2, 0xffff, v2
	ds_bpermute_b32 v3, v3, v2 offset:124
	v_cmpx_eq_u32_e32 0, v1
	s_cbranch_execz .LBB245_48
; %bb.47:
	v_lshrrev_b32_e32 v2, 4, v0
	v_and_b32_e32 v2, 14, v2
	s_waitcnt lgkmcnt(0)
	ds_write_b16 v2, v3
.LBB245_48:
	s_or_b32 exec_lo, exec_lo, s0
	s_mov_b32 s0, exec_lo
	s_waitcnt lgkmcnt(0)
	s_waitcnt_vscnt null, 0x0
	s_barrier
	buffer_gl0_inv
	v_cmpx_gt_u32_e32 32, v0
	s_cbranch_execz .LBB245_50
; %bb.49:
	v_and_b32_e32 v2, 7, v1
	v_lshlrev_b32_e32 v3, 1, v2
	v_cmp_ne_u32_e32 vcc_lo, 7, v2
	ds_read_u16 v3, v3
	v_add_co_ci_u32_e64 v4, null, 0, v1, vcc_lo
	v_cmp_gt_u32_e32 vcc_lo, 6, v2
	v_lshlrev_b32_e32 v4, 2, v4
	v_cndmask_b32_e64 v2, 0, 2, vcc_lo
	v_add_lshl_u32 v2, v2, v1, 2
	v_lshlrev_b32_e32 v1, 2, v1
	v_or_b32_e32 v1, 16, v1
	s_waitcnt lgkmcnt(0)
	v_and_b32_e32 v5, 0xffff, v3
	ds_bpermute_b32 v4, v4, v5
	s_waitcnt lgkmcnt(0)
	v_mul_f16_e32 v3, v3, v4
	v_and_b32_e32 v4, 0xffff, v3
	ds_bpermute_b32 v2, v2, v4
	s_waitcnt lgkmcnt(0)
	v_mul_f16_e32 v2, v3, v2
	;; [unrolled: 4-line block ×3, first 2 shown]
.LBB245_50:
	s_or_b32 exec_lo, exec_lo, s0
.LBB245_51:
	s_mov_b32 s0, exec_lo
	v_cmpx_eq_u32_e32 0, v0
	s_cbranch_execz .LBB245_53
; %bb.52:
	s_lshl_b64 s[0:1], s[6:7], 1
	v_mov_b32_e32 v0, 0
	v_mul_f16_e32 v1, s9, v3
	s_add_u32 s0, s20, s0
	s_addc_u32 s1, s21, s1
	global_store_short v0, v1, s[0:1]
.LBB245_53:
	s_endpgm
	.section	.rodata,"a",@progbits
	.p2align	6, 0x0
	.amdhsa_kernel _ZN7rocprim17ROCPRIM_400000_NS6detail17trampoline_kernelINS0_14default_configENS1_32segmented_reduce_config_selectorIN3c104HalfEEEZNS1_21segmented_reduce_implIS3_PKS6_PS6_PKlS6_N6hipcub16HIPCUB_304000_NS6detail27convert_result_type_wrapperISA_SB_N2at6native12_GLOBAL__N_110CustomProdEEEEE10hipError_tPvRmT0_T1_jT2_SS_T4_T3_P12ihipStream_tbEUlT_E_NS1_11comp_targetILNS1_3genE8ELNS1_11target_archE1030ELNS1_3gpuE2ELNS1_3repE0EEENS1_30default_config_static_selectorELNS0_4arch9wavefront6targetE0EEEvSR_
		.amdhsa_group_segment_fixed_size 16
		.amdhsa_private_segment_fixed_size 0
		.amdhsa_kernarg_size 48
		.amdhsa_user_sgpr_count 6
		.amdhsa_user_sgpr_private_segment_buffer 1
		.amdhsa_user_sgpr_dispatch_ptr 0
		.amdhsa_user_sgpr_queue_ptr 0
		.amdhsa_user_sgpr_kernarg_segment_ptr 1
		.amdhsa_user_sgpr_dispatch_id 0
		.amdhsa_user_sgpr_flat_scratch_init 0
		.amdhsa_user_sgpr_private_segment_size 0
		.amdhsa_wavefront_size32 1
		.amdhsa_uses_dynamic_stack 0
		.amdhsa_system_sgpr_private_segment_wavefront_offset 0
		.amdhsa_system_sgpr_workgroup_id_x 1
		.amdhsa_system_sgpr_workgroup_id_y 0
		.amdhsa_system_sgpr_workgroup_id_z 0
		.amdhsa_system_sgpr_workgroup_info 0
		.amdhsa_system_vgpr_workitem_id 0
		.amdhsa_next_free_vgpr 15
		.amdhsa_next_free_sgpr 22
		.amdhsa_reserve_vcc 1
		.amdhsa_reserve_flat_scratch 0
		.amdhsa_float_round_mode_32 0
		.amdhsa_float_round_mode_16_64 0
		.amdhsa_float_denorm_mode_32 3
		.amdhsa_float_denorm_mode_16_64 3
		.amdhsa_dx10_clamp 1
		.amdhsa_ieee_mode 1
		.amdhsa_fp16_overflow 0
		.amdhsa_workgroup_processor_mode 1
		.amdhsa_memory_ordered 1
		.amdhsa_forward_progress 1
		.amdhsa_shared_vgpr_count 0
		.amdhsa_exception_fp_ieee_invalid_op 0
		.amdhsa_exception_fp_denorm_src 0
		.amdhsa_exception_fp_ieee_div_zero 0
		.amdhsa_exception_fp_ieee_overflow 0
		.amdhsa_exception_fp_ieee_underflow 0
		.amdhsa_exception_fp_ieee_inexact 0
		.amdhsa_exception_int_div_zero 0
	.end_amdhsa_kernel
	.section	.text._ZN7rocprim17ROCPRIM_400000_NS6detail17trampoline_kernelINS0_14default_configENS1_32segmented_reduce_config_selectorIN3c104HalfEEEZNS1_21segmented_reduce_implIS3_PKS6_PS6_PKlS6_N6hipcub16HIPCUB_304000_NS6detail27convert_result_type_wrapperISA_SB_N2at6native12_GLOBAL__N_110CustomProdEEEEE10hipError_tPvRmT0_T1_jT2_SS_T4_T3_P12ihipStream_tbEUlT_E_NS1_11comp_targetILNS1_3genE8ELNS1_11target_archE1030ELNS1_3gpuE2ELNS1_3repE0EEENS1_30default_config_static_selectorELNS0_4arch9wavefront6targetE0EEEvSR_,"axG",@progbits,_ZN7rocprim17ROCPRIM_400000_NS6detail17trampoline_kernelINS0_14default_configENS1_32segmented_reduce_config_selectorIN3c104HalfEEEZNS1_21segmented_reduce_implIS3_PKS6_PS6_PKlS6_N6hipcub16HIPCUB_304000_NS6detail27convert_result_type_wrapperISA_SB_N2at6native12_GLOBAL__N_110CustomProdEEEEE10hipError_tPvRmT0_T1_jT2_SS_T4_T3_P12ihipStream_tbEUlT_E_NS1_11comp_targetILNS1_3genE8ELNS1_11target_archE1030ELNS1_3gpuE2ELNS1_3repE0EEENS1_30default_config_static_selectorELNS0_4arch9wavefront6targetE0EEEvSR_,comdat
.Lfunc_end245:
	.size	_ZN7rocprim17ROCPRIM_400000_NS6detail17trampoline_kernelINS0_14default_configENS1_32segmented_reduce_config_selectorIN3c104HalfEEEZNS1_21segmented_reduce_implIS3_PKS6_PS6_PKlS6_N6hipcub16HIPCUB_304000_NS6detail27convert_result_type_wrapperISA_SB_N2at6native12_GLOBAL__N_110CustomProdEEEEE10hipError_tPvRmT0_T1_jT2_SS_T4_T3_P12ihipStream_tbEUlT_E_NS1_11comp_targetILNS1_3genE8ELNS1_11target_archE1030ELNS1_3gpuE2ELNS1_3repE0EEENS1_30default_config_static_selectorELNS0_4arch9wavefront6targetE0EEEvSR_, .Lfunc_end245-_ZN7rocprim17ROCPRIM_400000_NS6detail17trampoline_kernelINS0_14default_configENS1_32segmented_reduce_config_selectorIN3c104HalfEEEZNS1_21segmented_reduce_implIS3_PKS6_PS6_PKlS6_N6hipcub16HIPCUB_304000_NS6detail27convert_result_type_wrapperISA_SB_N2at6native12_GLOBAL__N_110CustomProdEEEEE10hipError_tPvRmT0_T1_jT2_SS_T4_T3_P12ihipStream_tbEUlT_E_NS1_11comp_targetILNS1_3genE8ELNS1_11target_archE1030ELNS1_3gpuE2ELNS1_3repE0EEENS1_30default_config_static_selectorELNS0_4arch9wavefront6targetE0EEEvSR_
                                        ; -- End function
	.set _ZN7rocprim17ROCPRIM_400000_NS6detail17trampoline_kernelINS0_14default_configENS1_32segmented_reduce_config_selectorIN3c104HalfEEEZNS1_21segmented_reduce_implIS3_PKS6_PS6_PKlS6_N6hipcub16HIPCUB_304000_NS6detail27convert_result_type_wrapperISA_SB_N2at6native12_GLOBAL__N_110CustomProdEEEEE10hipError_tPvRmT0_T1_jT2_SS_T4_T3_P12ihipStream_tbEUlT_E_NS1_11comp_targetILNS1_3genE8ELNS1_11target_archE1030ELNS1_3gpuE2ELNS1_3repE0EEENS1_30default_config_static_selectorELNS0_4arch9wavefront6targetE0EEEvSR_.num_vgpr, 15
	.set _ZN7rocprim17ROCPRIM_400000_NS6detail17trampoline_kernelINS0_14default_configENS1_32segmented_reduce_config_selectorIN3c104HalfEEEZNS1_21segmented_reduce_implIS3_PKS6_PS6_PKlS6_N6hipcub16HIPCUB_304000_NS6detail27convert_result_type_wrapperISA_SB_N2at6native12_GLOBAL__N_110CustomProdEEEEE10hipError_tPvRmT0_T1_jT2_SS_T4_T3_P12ihipStream_tbEUlT_E_NS1_11comp_targetILNS1_3genE8ELNS1_11target_archE1030ELNS1_3gpuE2ELNS1_3repE0EEENS1_30default_config_static_selectorELNS0_4arch9wavefront6targetE0EEEvSR_.num_agpr, 0
	.set _ZN7rocprim17ROCPRIM_400000_NS6detail17trampoline_kernelINS0_14default_configENS1_32segmented_reduce_config_selectorIN3c104HalfEEEZNS1_21segmented_reduce_implIS3_PKS6_PS6_PKlS6_N6hipcub16HIPCUB_304000_NS6detail27convert_result_type_wrapperISA_SB_N2at6native12_GLOBAL__N_110CustomProdEEEEE10hipError_tPvRmT0_T1_jT2_SS_T4_T3_P12ihipStream_tbEUlT_E_NS1_11comp_targetILNS1_3genE8ELNS1_11target_archE1030ELNS1_3gpuE2ELNS1_3repE0EEENS1_30default_config_static_selectorELNS0_4arch9wavefront6targetE0EEEvSR_.numbered_sgpr, 22
	.set _ZN7rocprim17ROCPRIM_400000_NS6detail17trampoline_kernelINS0_14default_configENS1_32segmented_reduce_config_selectorIN3c104HalfEEEZNS1_21segmented_reduce_implIS3_PKS6_PS6_PKlS6_N6hipcub16HIPCUB_304000_NS6detail27convert_result_type_wrapperISA_SB_N2at6native12_GLOBAL__N_110CustomProdEEEEE10hipError_tPvRmT0_T1_jT2_SS_T4_T3_P12ihipStream_tbEUlT_E_NS1_11comp_targetILNS1_3genE8ELNS1_11target_archE1030ELNS1_3gpuE2ELNS1_3repE0EEENS1_30default_config_static_selectorELNS0_4arch9wavefront6targetE0EEEvSR_.num_named_barrier, 0
	.set _ZN7rocprim17ROCPRIM_400000_NS6detail17trampoline_kernelINS0_14default_configENS1_32segmented_reduce_config_selectorIN3c104HalfEEEZNS1_21segmented_reduce_implIS3_PKS6_PS6_PKlS6_N6hipcub16HIPCUB_304000_NS6detail27convert_result_type_wrapperISA_SB_N2at6native12_GLOBAL__N_110CustomProdEEEEE10hipError_tPvRmT0_T1_jT2_SS_T4_T3_P12ihipStream_tbEUlT_E_NS1_11comp_targetILNS1_3genE8ELNS1_11target_archE1030ELNS1_3gpuE2ELNS1_3repE0EEENS1_30default_config_static_selectorELNS0_4arch9wavefront6targetE0EEEvSR_.private_seg_size, 0
	.set _ZN7rocprim17ROCPRIM_400000_NS6detail17trampoline_kernelINS0_14default_configENS1_32segmented_reduce_config_selectorIN3c104HalfEEEZNS1_21segmented_reduce_implIS3_PKS6_PS6_PKlS6_N6hipcub16HIPCUB_304000_NS6detail27convert_result_type_wrapperISA_SB_N2at6native12_GLOBAL__N_110CustomProdEEEEE10hipError_tPvRmT0_T1_jT2_SS_T4_T3_P12ihipStream_tbEUlT_E_NS1_11comp_targetILNS1_3genE8ELNS1_11target_archE1030ELNS1_3gpuE2ELNS1_3repE0EEENS1_30default_config_static_selectorELNS0_4arch9wavefront6targetE0EEEvSR_.uses_vcc, 1
	.set _ZN7rocprim17ROCPRIM_400000_NS6detail17trampoline_kernelINS0_14default_configENS1_32segmented_reduce_config_selectorIN3c104HalfEEEZNS1_21segmented_reduce_implIS3_PKS6_PS6_PKlS6_N6hipcub16HIPCUB_304000_NS6detail27convert_result_type_wrapperISA_SB_N2at6native12_GLOBAL__N_110CustomProdEEEEE10hipError_tPvRmT0_T1_jT2_SS_T4_T3_P12ihipStream_tbEUlT_E_NS1_11comp_targetILNS1_3genE8ELNS1_11target_archE1030ELNS1_3gpuE2ELNS1_3repE0EEENS1_30default_config_static_selectorELNS0_4arch9wavefront6targetE0EEEvSR_.uses_flat_scratch, 0
	.set _ZN7rocprim17ROCPRIM_400000_NS6detail17trampoline_kernelINS0_14default_configENS1_32segmented_reduce_config_selectorIN3c104HalfEEEZNS1_21segmented_reduce_implIS3_PKS6_PS6_PKlS6_N6hipcub16HIPCUB_304000_NS6detail27convert_result_type_wrapperISA_SB_N2at6native12_GLOBAL__N_110CustomProdEEEEE10hipError_tPvRmT0_T1_jT2_SS_T4_T3_P12ihipStream_tbEUlT_E_NS1_11comp_targetILNS1_3genE8ELNS1_11target_archE1030ELNS1_3gpuE2ELNS1_3repE0EEENS1_30default_config_static_selectorELNS0_4arch9wavefront6targetE0EEEvSR_.has_dyn_sized_stack, 0
	.set _ZN7rocprim17ROCPRIM_400000_NS6detail17trampoline_kernelINS0_14default_configENS1_32segmented_reduce_config_selectorIN3c104HalfEEEZNS1_21segmented_reduce_implIS3_PKS6_PS6_PKlS6_N6hipcub16HIPCUB_304000_NS6detail27convert_result_type_wrapperISA_SB_N2at6native12_GLOBAL__N_110CustomProdEEEEE10hipError_tPvRmT0_T1_jT2_SS_T4_T3_P12ihipStream_tbEUlT_E_NS1_11comp_targetILNS1_3genE8ELNS1_11target_archE1030ELNS1_3gpuE2ELNS1_3repE0EEENS1_30default_config_static_selectorELNS0_4arch9wavefront6targetE0EEEvSR_.has_recursion, 0
	.set _ZN7rocprim17ROCPRIM_400000_NS6detail17trampoline_kernelINS0_14default_configENS1_32segmented_reduce_config_selectorIN3c104HalfEEEZNS1_21segmented_reduce_implIS3_PKS6_PS6_PKlS6_N6hipcub16HIPCUB_304000_NS6detail27convert_result_type_wrapperISA_SB_N2at6native12_GLOBAL__N_110CustomProdEEEEE10hipError_tPvRmT0_T1_jT2_SS_T4_T3_P12ihipStream_tbEUlT_E_NS1_11comp_targetILNS1_3genE8ELNS1_11target_archE1030ELNS1_3gpuE2ELNS1_3repE0EEENS1_30default_config_static_selectorELNS0_4arch9wavefront6targetE0EEEvSR_.has_indirect_call, 0
	.section	.AMDGPU.csdata,"",@progbits
; Kernel info:
; codeLenInByte = 2772
; TotalNumSgprs: 24
; NumVgprs: 15
; ScratchSize: 0
; MemoryBound: 0
; FloatMode: 240
; IeeeMode: 1
; LDSByteSize: 16 bytes/workgroup (compile time only)
; SGPRBlocks: 0
; VGPRBlocks: 1
; NumSGPRsForWavesPerEU: 24
; NumVGPRsForWavesPerEU: 15
; Occupancy: 16
; WaveLimiterHint : 1
; COMPUTE_PGM_RSRC2:SCRATCH_EN: 0
; COMPUTE_PGM_RSRC2:USER_SGPR: 6
; COMPUTE_PGM_RSRC2:TRAP_HANDLER: 0
; COMPUTE_PGM_RSRC2:TGID_X_EN: 1
; COMPUTE_PGM_RSRC2:TGID_Y_EN: 0
; COMPUTE_PGM_RSRC2:TGID_Z_EN: 0
; COMPUTE_PGM_RSRC2:TIDIG_COMP_CNT: 0
	.section	.text._ZN2at6native12_GLOBAL__N_129segment_reduce_forward_kernelIN3c108BFloat16ElEEvNS0_13ReductionTypeEPT_PKS6_PKT0_SC_llbS6_lllllll,"axG",@progbits,_ZN2at6native12_GLOBAL__N_129segment_reduce_forward_kernelIN3c108BFloat16ElEEvNS0_13ReductionTypeEPT_PKS6_PKT0_SC_llbS6_lllllll,comdat
	.globl	_ZN2at6native12_GLOBAL__N_129segment_reduce_forward_kernelIN3c108BFloat16ElEEvNS0_13ReductionTypeEPT_PKS6_PKT0_SC_llbS6_lllllll ; -- Begin function _ZN2at6native12_GLOBAL__N_129segment_reduce_forward_kernelIN3c108BFloat16ElEEvNS0_13ReductionTypeEPT_PKS6_PKT0_SC_llbS6_lllllll
	.p2align	8
	.type	_ZN2at6native12_GLOBAL__N_129segment_reduce_forward_kernelIN3c108BFloat16ElEEvNS0_13ReductionTypeEPT_PKS6_PKT0_SC_llbS6_lllllll,@function
_ZN2at6native12_GLOBAL__N_129segment_reduce_forward_kernelIN3c108BFloat16ElEEvNS0_13ReductionTypeEPT_PKS6_PKT0_SC_llbS6_lllllll: ; @_ZN2at6native12_GLOBAL__N_129segment_reduce_forward_kernelIN3c108BFloat16ElEEvNS0_13ReductionTypeEPT_PKS6_PKT0_SC_llbS6_lllllll
; %bb.0:
	s_clause 0x2
	s_load_dwordx4 s[36:39], s[4:5], 0x28
	s_load_dword s0, s[4:5], 0x84
	s_load_dwordx8 s[24:31], s[4:5], 0x40
	v_mov_b32_e32 v2, 0
	v_mov_b32_e32 v1, v2
	s_waitcnt lgkmcnt(0)
	s_and_b32 s0, s0, 0xffff
	s_mul_i32 s1, s24, s37
	s_mul_hi_u32 s2, s24, s36
	s_mul_i32 s3, s25, s36
	s_mul_i32 s7, s24, s36
	v_mad_u64_u32 v[4:5], null, s0, s6, v[0:1]
	s_add_i32 s0, s2, s1
	s_mul_i32 s1, s7, s27
	s_mul_hi_u32 s2, s7, s26
	s_add_i32 s0, s0, s3
	s_add_i32 s1, s2, s1
	s_mul_i32 s0, s0, s26
	s_add_i32 s1, s1, s0
	s_mul_i32 s0, s7, s26
	v_cmp_gt_i64_e32 vcc_lo, s[0:1], v[4:5]
	s_and_saveexec_b32 s0, vcc_lo
	s_cbranch_execz .LBB246_37
; %bb.1:
	v_or_b32_e32 v3, s27, v5
                                        ; implicit-def: $vgpr10_vgpr11
	s_mov_b32 s0, exec_lo
	v_cmpx_ne_u64_e32 0, v[2:3]
	s_xor_b32 s1, exec_lo, s0
	s_cbranch_execz .LBB246_3
; %bb.2:
	s_ashr_i32 s2, s27, 31
	v_ashrrev_i32_e32 v8, 31, v5
	s_add_u32 s6, s26, s2
	s_mov_b32 s3, s2
	s_addc_u32 s7, s27, s2
	s_xor_b64 s[6:7], s[6:7], s[2:3]
	v_add_co_u32 v2, vcc_lo, v4, v8
	v_cvt_f32_u32_e32 v0, s6
	v_cvt_f32_u32_e32 v1, s7
	s_sub_u32 s8, 0, s6
	s_subb_u32 s9, 0, s7
	v_add_co_ci_u32_e64 v3, null, v5, v8, vcc_lo
	v_fmamk_f32 v0, v1, 0x4f800000, v0
	v_xor_b32_e32 v9, v2, v8
	v_xor_b32_e32 v10, v3, v8
	v_rcp_f32_e32 v0, v0
	v_mul_f32_e32 v0, 0x5f7ffffc, v0
	v_mul_f32_e32 v1, 0x2f800000, v0
	v_trunc_f32_e32 v1, v1
	v_fmamk_f32 v0, v1, 0xcf800000, v0
	v_cvt_u32_f32_e32 v1, v1
	v_cvt_u32_f32_e32 v0, v0
	v_readfirstlane_b32 s0, v1
	v_readfirstlane_b32 s3, v0
	s_mul_i32 s10, s8, s0
	s_mul_hi_u32 s12, s8, s3
	s_mul_i32 s11, s9, s3
	s_add_i32 s10, s12, s10
	s_mul_i32 s13, s8, s3
	s_add_i32 s10, s10, s11
	s_mul_hi_u32 s12, s3, s13
	s_mul_i32 s15, s3, s10
	s_mul_hi_u32 s14, s0, s13
	s_mul_i32 s11, s0, s13
	s_mul_hi_u32 s13, s3, s10
	s_add_u32 s12, s12, s15
	s_addc_u32 s13, 0, s13
	s_mul_hi_u32 s16, s0, s10
	s_add_u32 s11, s12, s11
	s_mul_i32 s10, s0, s10
	s_addc_u32 s11, s13, s14
	s_addc_u32 s12, s16, 0
	s_add_u32 s10, s11, s10
	s_addc_u32 s11, 0, s12
	s_add_u32 s3, s3, s10
	s_cselect_b32 s10, -1, 0
	s_mul_hi_u32 s12, s8, s3
	s_cmp_lg_u32 s10, 0
	s_mul_i32 s10, s8, s3
	s_addc_u32 s0, s0, s11
	s_mul_i32 s9, s9, s3
	s_mul_i32 s8, s8, s0
	s_mul_hi_u32 s11, s3, s10
	s_add_i32 s8, s12, s8
	s_mul_hi_u32 s12, s0, s10
	s_add_i32 s8, s8, s9
	s_mul_i32 s9, s0, s10
	s_mul_i32 s14, s3, s8
	s_mul_hi_u32 s13, s3, s8
	s_add_u32 s11, s11, s14
	s_addc_u32 s13, 0, s13
	s_mul_hi_u32 s10, s0, s8
	s_add_u32 s9, s11, s9
	s_mul_i32 s8, s0, s8
	s_addc_u32 s9, s13, s12
	s_addc_u32 s10, s10, 0
	s_add_u32 s8, s9, s8
	s_addc_u32 s9, 0, s10
	s_add_u32 s3, s3, s8
	s_cselect_b32 s8, -1, 0
	v_mul_hi_u32 v11, v9, s3
	s_cmp_lg_u32 s8, 0
	v_mad_u64_u32 v[2:3], null, v10, s3, 0
	s_addc_u32 s0, s0, s9
	v_mad_u64_u32 v[0:1], null, v9, s0, 0
	v_mad_u64_u32 v[6:7], null, v10, s0, 0
	v_add_co_u32 v0, vcc_lo, v11, v0
	v_add_co_ci_u32_e64 v1, null, 0, v1, vcc_lo
	v_add_co_u32 v0, vcc_lo, v0, v2
	v_add_co_ci_u32_e32 v0, vcc_lo, v1, v3, vcc_lo
	v_add_co_ci_u32_e32 v1, vcc_lo, 0, v7, vcc_lo
	v_add_co_u32 v2, vcc_lo, v0, v6
	v_add_co_ci_u32_e64 v3, null, 0, v1, vcc_lo
	v_mul_lo_u32 v6, s7, v2
	v_mad_u64_u32 v[0:1], null, s6, v2, 0
	v_mul_lo_u32 v7, s6, v3
	v_sub_co_u32 v0, vcc_lo, v9, v0
	v_add3_u32 v1, v1, v7, v6
	v_add_co_u32 v7, s0, v2, 2
	v_add_co_ci_u32_e64 v9, null, 0, v3, s0
	v_sub_nc_u32_e32 v6, v10, v1
	v_sub_co_u32 v11, s0, v0, s6
	v_sub_co_ci_u32_e64 v1, null, v10, v1, vcc_lo
	v_subrev_co_ci_u32_e64 v6, null, s7, v6, vcc_lo
	v_cmp_le_u32_e32 vcc_lo, s6, v11
	v_subrev_co_ci_u32_e64 v6, null, 0, v6, s0
	v_cndmask_b32_e64 v10, 0, -1, vcc_lo
	v_cmp_le_u32_e32 vcc_lo, s7, v6
	v_cndmask_b32_e64 v11, 0, -1, vcc_lo
	v_cmp_le_u32_e32 vcc_lo, s6, v0
	;; [unrolled: 2-line block ×3, first 2 shown]
	v_cndmask_b32_e64 v12, 0, -1, vcc_lo
	v_cmp_eq_u32_e32 vcc_lo, s7, v6
	v_cndmask_b32_e32 v6, v11, v10, vcc_lo
	v_add_co_u32 v10, vcc_lo, v2, 1
	v_add_co_ci_u32_e64 v11, null, 0, v3, vcc_lo
	v_cmp_eq_u32_e32 vcc_lo, s7, v1
	v_cndmask_b32_e32 v0, v12, v0, vcc_lo
	v_cmp_ne_u32_e32 vcc_lo, 0, v6
	v_xor_b32_e32 v6, s2, v8
	v_cmp_ne_u32_e64 s0, 0, v0
	v_cndmask_b32_e32 v0, v10, v7, vcc_lo
	v_cndmask_b32_e32 v1, v11, v9, vcc_lo
	v_cndmask_b32_e64 v0, v2, v0, s0
	v_cndmask_b32_e64 v1, v3, v1, s0
	v_xor_b32_e32 v0, v0, v6
	v_xor_b32_e32 v1, v1, v6
	v_sub_co_u32 v10, vcc_lo, v0, v6
	v_sub_co_ci_u32_e64 v11, null, v1, v6, vcc_lo
.LBB246_3:
	s_or_saveexec_b32 s0, s1
	s_clause 0x1
	s_load_dwordx8 s[8:15], s[4:5], 0x8
	s_load_dwordx8 s[16:23], s[4:5], 0x60
	s_xor_b32 exec_lo, exec_lo, s0
	s_cbranch_execz .LBB246_5
; %bb.4:
	v_cvt_f32_u32_e32 v0, s26
	s_sub_i32 s1, 0, s26
	v_mov_b32_e32 v11, 0
	v_rcp_iflag_f32_e32 v0, v0
	v_mul_f32_e32 v0, 0x4f7ffffe, v0
	v_cvt_u32_f32_e32 v0, v0
	v_mul_lo_u32 v1, s1, v0
	v_mul_hi_u32 v1, v0, v1
	v_add_nc_u32_e32 v0, v0, v1
	v_mul_hi_u32 v0, v4, v0
	v_mul_lo_u32 v1, v0, s26
	v_add_nc_u32_e32 v2, 1, v0
	v_sub_nc_u32_e32 v1, v4, v1
	v_subrev_nc_u32_e32 v3, s26, v1
	v_cmp_le_u32_e32 vcc_lo, s26, v1
	v_cndmask_b32_e32 v1, v1, v3, vcc_lo
	v_cndmask_b32_e32 v0, v0, v2, vcc_lo
	v_cmp_le_u32_e32 vcc_lo, s26, v1
	v_add_nc_u32_e32 v2, 1, v0
	v_cndmask_b32_e32 v10, v0, v2, vcc_lo
.LBB246_5:
	s_or_b32 exec_lo, exec_lo, s0
	v_or_b32_e32 v1, s37, v11
	v_mov_b32_e32 v0, 0
                                        ; implicit-def: $vgpr6_vgpr7
	s_mov_b32 s0, exec_lo
	v_cmpx_ne_u64_e32 0, v[0:1]
	s_xor_b32 s1, exec_lo, s0
	s_cbranch_execz .LBB246_7
; %bb.6:
	s_ashr_i32 s2, s37, 31
	v_ashrrev_i32_e32 v8, 31, v11
	s_add_u32 s6, s36, s2
	s_mov_b32 s3, s2
	s_addc_u32 s7, s37, s2
	s_xor_b64 s[6:7], s[6:7], s[2:3]
	v_add_co_u32 v2, vcc_lo, v10, v8
	v_cvt_f32_u32_e32 v0, s6
	v_cvt_f32_u32_e32 v1, s7
	s_waitcnt lgkmcnt(0)
	s_sub_u32 s22, 0, s6
	s_subb_u32 s23, 0, s7
	v_add_co_ci_u32_e64 v3, null, v11, v8, vcc_lo
	v_fmamk_f32 v0, v1, 0x4f800000, v0
	v_xor_b32_e32 v9, v2, v8
	v_xor_b32_e32 v12, v3, v8
	v_rcp_f32_e32 v0, v0
	v_mul_f32_e32 v0, 0x5f7ffffc, v0
	v_mul_f32_e32 v1, 0x2f800000, v0
	v_trunc_f32_e32 v1, v1
	v_fmamk_f32 v0, v1, 0xcf800000, v0
	v_cvt_u32_f32_e32 v1, v1
	v_cvt_u32_f32_e32 v0, v0
	v_readfirstlane_b32 s0, v1
	v_readfirstlane_b32 s3, v0
	s_mul_i32 s24, s22, s0
	s_mul_hi_u32 s33, s22, s3
	s_mul_i32 s25, s23, s3
	s_add_i32 s24, s33, s24
	s_mul_i32 s34, s22, s3
	s_add_i32 s24, s24, s25
	s_mul_hi_u32 s33, s3, s34
	s_mul_i32 s40, s3, s24
	s_mul_hi_u32 s35, s0, s34
	s_mul_i32 s25, s0, s34
	s_mul_hi_u32 s34, s3, s24
	s_add_u32 s33, s33, s40
	s_addc_u32 s34, 0, s34
	s_mul_hi_u32 s41, s0, s24
	s_add_u32 s25, s33, s25
	s_mul_i32 s24, s0, s24
	s_addc_u32 s25, s34, s35
	s_addc_u32 s33, s41, 0
	s_add_u32 s24, s25, s24
	s_addc_u32 s25, 0, s33
	s_add_u32 s3, s3, s24
	s_cselect_b32 s24, -1, 0
	s_mul_hi_u32 s33, s22, s3
	s_cmp_lg_u32 s24, 0
	s_mul_i32 s24, s22, s3
	s_addc_u32 s0, s0, s25
	s_mul_i32 s23, s23, s3
	s_mul_i32 s22, s22, s0
	s_mul_hi_u32 s25, s3, s24
	s_add_i32 s22, s33, s22
	s_mul_hi_u32 s33, s0, s24
	s_add_i32 s22, s22, s23
	s_mul_i32 s23, s0, s24
	s_mul_i32 s35, s3, s22
	s_mul_hi_u32 s34, s3, s22
	s_add_u32 s25, s25, s35
	s_addc_u32 s34, 0, s34
	s_mul_hi_u32 s24, s0, s22
	s_add_u32 s23, s25, s23
	s_mul_i32 s22, s0, s22
	s_addc_u32 s23, s34, s33
	s_addc_u32 s24, s24, 0
	s_add_u32 s22, s23, s22
	s_addc_u32 s23, 0, s24
	s_add_u32 s3, s3, s22
	s_cselect_b32 s22, -1, 0
	v_mul_hi_u32 v13, v9, s3
	s_cmp_lg_u32 s22, 0
	v_mad_u64_u32 v[2:3], null, v12, s3, 0
	s_addc_u32 s0, s0, s23
	v_mad_u64_u32 v[0:1], null, v9, s0, 0
	v_mad_u64_u32 v[6:7], null, v12, s0, 0
	v_add_co_u32 v0, vcc_lo, v13, v0
	v_add_co_ci_u32_e64 v1, null, 0, v1, vcc_lo
	v_add_co_u32 v0, vcc_lo, v0, v2
	v_add_co_ci_u32_e32 v0, vcc_lo, v1, v3, vcc_lo
	v_add_co_ci_u32_e32 v1, vcc_lo, 0, v7, vcc_lo
	v_add_co_u32 v2, vcc_lo, v0, v6
	v_add_co_ci_u32_e64 v3, null, 0, v1, vcc_lo
	v_mul_lo_u32 v6, s7, v2
	v_mad_u64_u32 v[0:1], null, s6, v2, 0
	v_mul_lo_u32 v7, s6, v3
	v_sub_co_u32 v0, vcc_lo, v9, v0
	v_add3_u32 v1, v1, v7, v6
	v_add_co_u32 v7, s0, v2, 2
	v_add_co_ci_u32_e64 v9, null, 0, v3, s0
	v_sub_nc_u32_e32 v6, v12, v1
	v_sub_co_u32 v13, s0, v0, s6
	v_sub_co_ci_u32_e64 v1, null, v12, v1, vcc_lo
	v_subrev_co_ci_u32_e64 v6, null, s7, v6, vcc_lo
	v_cmp_le_u32_e32 vcc_lo, s6, v13
	v_subrev_co_ci_u32_e64 v6, null, 0, v6, s0
	v_cndmask_b32_e64 v12, 0, -1, vcc_lo
	v_cmp_le_u32_e32 vcc_lo, s7, v6
	v_cndmask_b32_e64 v13, 0, -1, vcc_lo
	v_cmp_le_u32_e32 vcc_lo, s6, v0
	;; [unrolled: 2-line block ×3, first 2 shown]
	v_cndmask_b32_e64 v14, 0, -1, vcc_lo
	v_cmp_eq_u32_e32 vcc_lo, s7, v6
	v_cndmask_b32_e32 v6, v13, v12, vcc_lo
	v_add_co_u32 v12, vcc_lo, v2, 1
	v_add_co_ci_u32_e64 v13, null, 0, v3, vcc_lo
	v_cmp_eq_u32_e32 vcc_lo, s7, v1
	v_cndmask_b32_e32 v0, v14, v0, vcc_lo
	v_cmp_ne_u32_e32 vcc_lo, 0, v6
	v_cmp_ne_u32_e64 s0, 0, v0
	v_cndmask_b32_e32 v0, v12, v7, vcc_lo
	v_cndmask_b32_e32 v1, v13, v9, vcc_lo
	v_xor_b32_e32 v7, s2, v8
	v_cndmask_b32_e64 v0, v2, v0, s0
	v_cndmask_b32_e64 v1, v3, v1, s0
	v_xor_b32_e32 v0, v0, v7
	v_xor_b32_e32 v1, v1, v7
	v_sub_co_u32 v6, vcc_lo, v0, v7
	v_sub_co_ci_u32_e64 v7, null, v1, v7, vcc_lo
.LBB246_7:
	s_andn2_saveexec_b32 s0, s1
	s_cbranch_execz .LBB246_9
; %bb.8:
	v_cvt_f32_u32_e32 v0, s36
	s_sub_i32 s1, 0, s36
	v_mov_b32_e32 v7, 0
	v_rcp_iflag_f32_e32 v0, v0
	v_mul_f32_e32 v0, 0x4f7ffffe, v0
	v_cvt_u32_f32_e32 v0, v0
	v_mul_lo_u32 v1, s1, v0
	v_mul_hi_u32 v1, v0, v1
	v_add_nc_u32_e32 v0, v0, v1
	v_mul_hi_u32 v0, v10, v0
	v_mul_lo_u32 v1, v0, s36
	v_add_nc_u32_e32 v2, 1, v0
	v_sub_nc_u32_e32 v1, v10, v1
	v_subrev_nc_u32_e32 v3, s36, v1
	v_cmp_le_u32_e32 vcc_lo, s36, v1
	v_cndmask_b32_e32 v1, v1, v3, vcc_lo
	v_cndmask_b32_e32 v0, v0, v2, vcc_lo
	v_cmp_le_u32_e32 vcc_lo, s36, v1
	v_add_nc_u32_e32 v2, 1, v0
	v_cndmask_b32_e32 v6, v0, v2, vcc_lo
.LBB246_9:
	s_or_b32 exec_lo, exec_lo, s0
	s_load_dword s1, s[4:5], 0x38
	v_mul_lo_u32 v2, v7, s36
	v_mul_lo_u32 v3, v6, s37
	v_mad_u64_u32 v[12:13], null, v6, s36, 0
	s_load_dword s4, s[4:5], 0x0
	v_mul_lo_u32 v16, v11, s26
	v_mul_lo_u32 v17, v10, s27
	s_mov_b32 s5, exec_lo
	v_add3_u32 v13, v13, v3, v2
	s_waitcnt lgkmcnt(0)
	s_lshr_b32 s0, s1, 16
	s_add_u32 s2, s36, 1
	s_addc_u32 s3, s37, 0
	s_mul_hi_u32 s6, s20, s2
	s_mul_i32 s3, s20, s3
	s_mul_i32 s7, s21, s2
	s_add_i32 s3, s6, s3
	s_mul_i32 s2, s20, s2
	s_add_i32 s3, s3, s7
	v_mul_lo_u32 v8, s2, v7
	v_mad_u64_u32 v[0:1], null, s2, v6, 0
	v_mul_lo_u32 v9, s3, v6
	v_mov_b32_e32 v19, s0
	v_add3_u32 v1, v1, v8, v9
	v_sub_co_u32 v8, vcc_lo, v10, v12
	v_sub_co_ci_u32_e64 v9, null, v11, v13, vcc_lo
	v_lshlrev_b64 v[0:1], 3, v[0:1]
	v_mad_u64_u32 v[10:11], null, v10, s26, 0
	v_lshlrev_b64 v[14:15], 3, v[8:9]
	v_add_co_u32 v0, vcc_lo, s14, v0
	v_add_co_ci_u32_e64 v1, null, s15, v1, vcc_lo
	v_add3_u32 v11, v11, v17, v16
	v_add_co_u32 v0, vcc_lo, v0, v14
	v_add_co_ci_u32_e64 v1, null, v1, v15, vcc_lo
	global_load_dwordx4 v[0:3], v[0:1], off
	s_waitcnt vmcnt(0)
	v_cmpx_lt_i64_e64 v[0:1], v[2:3]
	s_cbranch_execz .LBB246_28
; %bb.10:
	v_mul_lo_u32 v18, v7, s30
	v_mul_lo_u32 v19, v6, s31
	v_mad_u64_u32 v[16:17], null, v6, s30, 0
	v_lshlrev_b64 v[21:22], 1, v[10:11]
	v_mov_b32_e32 v20, s0
	s_cmp_lg_u32 s4, 0
	s_mov_b32 s7, 0
	s_cselect_b32 s6, -1, 0
	s_and_b32 s0, s4, -3
	v_add3_u32 v17, v17, v19, v18
	v_lshlrev_b64 v[18:19], 1, v[0:1]
	s_cmp_lg_u32 s0, 1
	v_lshlrev_b64 v[16:17], 1, v[16:17]
	v_add_co_u32 v18, vcc_lo, v16, v18
	v_add_co_ci_u32_e64 v19, null, v17, v19, vcc_lo
	v_lshlrev_b64 v[16:17], 1, v[4:5]
	v_mul_lo_u32 v23, s29, v18
	v_mul_lo_u32 v19, s28, v19
	v_mad_u64_u32 v[16:17], null, s28, v18, v[16:17]
	v_mov_b32_e32 v18, 0x7fc0
	v_add3_u32 v17, v23, v17, v19
	v_sub_co_u32 v16, vcc_lo, v16, v21
	v_mov_b32_e32 v21, v20
	v_sub_co_ci_u32_e64 v17, null, v17, v22, vcc_lo
	v_add_co_u32 v16, vcc_lo, s10, v16
	s_cselect_b32 s10, -1, 0
	v_add_co_ci_u32_e64 v17, null, s11, v17, vcc_lo
	s_lshl_b64 s[2:3], s[28:29], 1
	s_branch .LBB246_12
.LBB246_11:                             ;   in Loop: Header=BB246_12 Depth=1
	v_add_co_u32 v0, vcc_lo, v0, 1
	v_add_co_ci_u32_e64 v1, null, 0, v1, vcc_lo
	v_add_co_u32 v16, s0, v16, s2
	v_add_co_ci_u32_e64 v17, null, s3, v17, s0
	v_cmp_ge_i64_e32 vcc_lo, v[0:1], v[2:3]
	v_mov_b32_e32 v20, v19
	v_mov_b32_e32 v21, v23
	s_or_b32 s7, vcc_lo, s7
	s_andn2_b32 exec_lo, exec_lo, s7
	s_cbranch_execz .LBB246_27
.LBB246_12:                             ; =>This Inner Loop Header: Depth=1
	global_load_ushort v19, v[16:17], off
	s_and_b32 vcc_lo, exec_lo, s6
	s_waitcnt vmcnt(0)
	v_and_b32_e32 v22, 0xffff, v19
	s_cbranch_vccz .LBB246_25
; %bb.13:                               ;   in Loop: Header=BB246_12 Depth=1
	s_and_b32 vcc_lo, exec_lo, s10
	s_mov_b32 s0, -1
                                        ; implicit-def: $vgpr23
                                        ; implicit-def: $vgpr19
	s_cbranch_vccz .LBB246_22
; %bb.14:                               ;   in Loop: Header=BB246_12 Depth=1
	s_cmp_lt_i32 s4, 4
                                        ; implicit-def: $vgpr23
                                        ; implicit-def: $vgpr19
	s_cbranch_scc1 .LBB246_18
; %bb.15:                               ;   in Loop: Header=BB246_12 Depth=1
	v_mov_b32_e32 v23, v21
	v_mov_b32_e32 v19, v20
	s_cmp_eq_u32 s4, 4
	s_cbranch_scc0 .LBB246_17
; %bb.16:                               ;   in Loop: Header=BB246_12 Depth=1
	v_lshlrev_b32_e32 v19, 16, v21
	v_lshlrev_b32_e32 v23, 16, v22
	v_mul_f32_e32 v19, v23, v19
	v_bfe_u32 v23, v19, 16, 1
	v_cmp_o_f32_e32 vcc_lo, v19, v19
	v_add3_u32 v19, v19, v23, 0x7fff
	v_cndmask_b32_sdwa v23, v18, v19, vcc_lo dst_sel:DWORD dst_unused:UNUSED_PAD src0_sel:DWORD src1_sel:WORD_1
	v_mov_b32_e32 v19, v23
.LBB246_17:                             ;   in Loop: Header=BB246_12 Depth=1
	s_mov_b32 s0, 0
.LBB246_18:                             ;   in Loop: Header=BB246_12 Depth=1
	s_andn2_b32 vcc_lo, exec_lo, s0
	s_cbranch_vccnz .LBB246_21
; %bb.19:                               ;   in Loop: Header=BB246_12 Depth=1
	v_mov_b32_e32 v23, v21
	v_mov_b32_e32 v19, v20
	s_cmp_lg_u32 s4, 2
	s_cbranch_scc1 .LBB246_21
; %bb.20:                               ;   in Loop: Header=BB246_12 Depth=1
	v_lshlrev_b32_e32 v19, 16, v22
	v_lshlrev_b32_e32 v23, 16, v21
	v_cmp_u_f32_e32 vcc_lo, v19, v19
	v_cmp_lt_f32_e64 s0, v19, v23
	s_or_b32 vcc_lo, vcc_lo, s0
	v_cndmask_b32_e32 v23, v20, v22, vcc_lo
	v_mov_b32_e32 v19, v23
.LBB246_21:                             ;   in Loop: Header=BB246_12 Depth=1
	s_mov_b32 s0, 0
.LBB246_22:                             ;   in Loop: Header=BB246_12 Depth=1
	s_and_b32 vcc_lo, exec_lo, s0
	s_cbranch_vccz .LBB246_24
; %bb.23:                               ;   in Loop: Header=BB246_12 Depth=1
	v_lshlrev_b32_e32 v19, 16, v21
	v_lshlrev_b32_e32 v23, 16, v22
	v_add_f32_e32 v19, v23, v19
	v_bfe_u32 v23, v19, 16, 1
	v_cmp_o_f32_e32 vcc_lo, v19, v19
	v_add3_u32 v19, v19, v23, 0x7fff
	v_cndmask_b32_sdwa v23, v18, v19, vcc_lo dst_sel:DWORD dst_unused:UNUSED_PAD src0_sel:DWORD src1_sel:WORD_1
	v_mov_b32_e32 v19, v23
.LBB246_24:                             ;   in Loop: Header=BB246_12 Depth=1
	s_cbranch_execnz .LBB246_11
	s_branch .LBB246_26
.LBB246_25:                             ;   in Loop: Header=BB246_12 Depth=1
                                        ; implicit-def: $vgpr23
                                        ; implicit-def: $vgpr19
.LBB246_26:                             ;   in Loop: Header=BB246_12 Depth=1
	v_lshlrev_b32_e32 v19, 16, v22
	v_lshlrev_b32_e32 v21, 16, v21
	v_cmp_u_f32_e32 vcc_lo, v19, v19
	v_cmp_lt_f32_e64 s0, v21, v19
	s_or_b32 vcc_lo, vcc_lo, s0
	v_cndmask_b32_e32 v19, v20, v22, vcc_lo
	v_mov_b32_e32 v23, v19
	s_branch .LBB246_11
.LBB246_27:
	s_or_b32 exec_lo, exec_lo, s7
.LBB246_28:
	s_or_b32 exec_lo, exec_lo, s5
	v_mul_lo_u32 v2, v13, s38
	v_mul_lo_u32 v3, v12, s39
	v_mad_u64_u32 v[0:1], null, v12, s38, 0
	s_mov_b32 s0, exec_lo
	v_add3_u32 v1, v1, v3, v2
	v_lshlrev_b64 v[0:1], 3, v[0:1]
	v_add_co_u32 v0, vcc_lo, s12, v0
	v_add_co_ci_u32_e64 v1, null, s13, v1, vcc_lo
	v_add_co_u32 v0, vcc_lo, v0, v14
	v_add_co_ci_u32_e64 v1, null, v1, v15, vcc_lo
	global_load_dwordx2 v[0:1], v[0:1], off
	s_waitcnt vmcnt(0)
	v_cmpx_lt_i64_e32 -1, v[0:1]
	s_xor_b32 s0, exec_lo, s0
	s_cbranch_execz .LBB246_36
; %bb.29:
	v_cmp_ne_u64_e32 vcc_lo, 0, v[0:1]
	s_bitcmp1_b32 s1, 0
	v_mov_b32_e32 v2, 0x7fc0
	s_cselect_b32 s1, -1, 0
	s_or_b32 s1, s1, vcc_lo
	s_cmp_lg_u32 s4, 1
	s_cselect_b32 s2, -1, 0
	s_or_b32 s3, s2, s1
	s_and_saveexec_b32 s1, s3
	s_cbranch_execz .LBB246_35
; %bb.30:
	v_cmp_ne_u64_e32 vcc_lo, 0, v[0:1]
	s_xor_b32 s2, s2, -1
	s_and_b32 s3, s2, vcc_lo
	s_and_saveexec_b32 s2, s3
	s_cbranch_execz .LBB246_34
; %bb.31:
	v_lshlrev_b32_e32 v2, 16, v19
	s_mov_b32 s3, exec_lo
	v_cmpx_o_f32_e32 v2, v2
	s_cbranch_execz .LBB246_33
; %bb.32:
	v_ffbh_u32_e32 v3, v1
	v_min_u32_e32 v3, 32, v3
	v_lshlrev_b64 v[0:1], v3, v[0:1]
	v_min_u32_e32 v0, 1, v0
	v_or_b32_e32 v0, v1, v0
	v_sub_nc_u32_e32 v1, 32, v3
	v_cvt_f32_u32_e32 v0, v0
	v_ldexp_f32 v0, v0, v1
	v_bfe_u32 v1, v0, 16, 1
	v_add3_u32 v0, v0, v1, 0x7fff
	v_and_b32_e32 v0, 0xffff0000, v0
	v_div_scale_f32 v1, null, v0, v0, v2
	v_div_scale_f32 v13, vcc_lo, v2, v0, v2
	v_rcp_f32_e32 v3, v1
	v_fma_f32 v12, -v1, v3, 1.0
	v_fmac_f32_e32 v3, v12, v3
	v_mul_f32_e32 v12, v13, v3
	v_fma_f32 v14, -v1, v12, v13
	v_fmac_f32_e32 v12, v14, v3
	v_fma_f32 v1, -v1, v12, v13
	v_div_fmas_f32 v1, v1, v3, v12
	v_div_fixup_f32 v0, v1, v0, v2
	v_bfe_u32 v1, v0, 16, 1
	v_cmp_o_f32_e32 vcc_lo, v0, v0
	v_add3_u32 v0, v0, v1, 0x7fff
	v_mov_b32_e32 v1, 0x7fc0
	v_cndmask_b32_sdwa v19, v1, v0, vcc_lo dst_sel:DWORD dst_unused:UNUSED_PAD src0_sel:DWORD src1_sel:WORD_1
.LBB246_33:
	s_or_b32 exec_lo, exec_lo, s3
.LBB246_34:
	s_or_b32 exec_lo, exec_lo, s2
	v_mov_b32_e32 v2, v19
.LBB246_35:
	s_or_b32 exec_lo, exec_lo, s1
	s_mul_i32 s1, s18, s17
	s_mul_hi_u32 s2, s18, s16
	s_mul_i32 s3, s19, s16
	s_add_i32 s1, s2, s1
	s_mul_i32 s2, s18, s16
	s_add_i32 s1, s1, s3
	v_mul_lo_u32 v12, s2, v7
	v_mul_lo_u32 v3, s1, v6
	v_mad_u64_u32 v[0:1], null, s2, v6, 0
	v_mul_lo_u32 v9, v9, s16
	v_mul_lo_u32 v13, v8, s17
	v_mad_u64_u32 v[6:7], null, v8, s16, 0
	v_add3_u32 v1, v1, v12, v3
	v_sub_co_u32 v3, vcc_lo, v4, v10
	v_sub_co_ci_u32_e64 v4, null, v5, v11, vcc_lo
	v_add3_u32 v7, v7, v13, v9
	v_lshlrev_b64 v[0:1], 1, v[0:1]
	v_lshlrev_b64 v[5:6], 1, v[6:7]
	v_add_co_u32 v7, vcc_lo, s8, v0
	v_add_co_ci_u32_e64 v8, null, s9, v1, vcc_lo
	v_lshlrev_b64 v[0:1], 1, v[3:4]
	v_add_co_u32 v3, vcc_lo, v7, v5
	v_add_co_ci_u32_e64 v4, null, v8, v6, vcc_lo
	v_add_co_u32 v0, vcc_lo, v3, v0
	v_add_co_ci_u32_e64 v1, null, v4, v1, vcc_lo
	global_store_short v[0:1], v2, off
.LBB246_36:
	s_andn2_saveexec_b32 s0, s0
	s_cbranch_execnz .LBB246_38
.LBB246_37:
	s_endpgm
.LBB246_38:
	s_trap 2
	; divergent unreachable
	s_endpgm
	.section	.rodata,"a",@progbits
	.p2align	6, 0x0
	.amdhsa_kernel _ZN2at6native12_GLOBAL__N_129segment_reduce_forward_kernelIN3c108BFloat16ElEEvNS0_13ReductionTypeEPT_PKS6_PKT0_SC_llbS6_lllllll
		.amdhsa_group_segment_fixed_size 0
		.amdhsa_private_segment_fixed_size 0
		.amdhsa_kernarg_size 376
		.amdhsa_user_sgpr_count 6
		.amdhsa_user_sgpr_private_segment_buffer 1
		.amdhsa_user_sgpr_dispatch_ptr 0
		.amdhsa_user_sgpr_queue_ptr 0
		.amdhsa_user_sgpr_kernarg_segment_ptr 1
		.amdhsa_user_sgpr_dispatch_id 0
		.amdhsa_user_sgpr_flat_scratch_init 0
		.amdhsa_user_sgpr_private_segment_size 0
		.amdhsa_wavefront_size32 1
		.amdhsa_uses_dynamic_stack 0
		.amdhsa_system_sgpr_private_segment_wavefront_offset 0
		.amdhsa_system_sgpr_workgroup_id_x 1
		.amdhsa_system_sgpr_workgroup_id_y 0
		.amdhsa_system_sgpr_workgroup_id_z 0
		.amdhsa_system_sgpr_workgroup_info 0
		.amdhsa_system_vgpr_workitem_id 0
		.amdhsa_next_free_vgpr 24
		.amdhsa_next_free_sgpr 42
		.amdhsa_reserve_vcc 1
		.amdhsa_reserve_flat_scratch 0
		.amdhsa_float_round_mode_32 0
		.amdhsa_float_round_mode_16_64 0
		.amdhsa_float_denorm_mode_32 3
		.amdhsa_float_denorm_mode_16_64 3
		.amdhsa_dx10_clamp 1
		.amdhsa_ieee_mode 1
		.amdhsa_fp16_overflow 0
		.amdhsa_workgroup_processor_mode 1
		.amdhsa_memory_ordered 1
		.amdhsa_forward_progress 1
		.amdhsa_shared_vgpr_count 0
		.amdhsa_exception_fp_ieee_invalid_op 0
		.amdhsa_exception_fp_denorm_src 0
		.amdhsa_exception_fp_ieee_div_zero 0
		.amdhsa_exception_fp_ieee_overflow 0
		.amdhsa_exception_fp_ieee_underflow 0
		.amdhsa_exception_fp_ieee_inexact 0
		.amdhsa_exception_int_div_zero 0
	.end_amdhsa_kernel
	.section	.text._ZN2at6native12_GLOBAL__N_129segment_reduce_forward_kernelIN3c108BFloat16ElEEvNS0_13ReductionTypeEPT_PKS6_PKT0_SC_llbS6_lllllll,"axG",@progbits,_ZN2at6native12_GLOBAL__N_129segment_reduce_forward_kernelIN3c108BFloat16ElEEvNS0_13ReductionTypeEPT_PKS6_PKT0_SC_llbS6_lllllll,comdat
.Lfunc_end246:
	.size	_ZN2at6native12_GLOBAL__N_129segment_reduce_forward_kernelIN3c108BFloat16ElEEvNS0_13ReductionTypeEPT_PKS6_PKT0_SC_llbS6_lllllll, .Lfunc_end246-_ZN2at6native12_GLOBAL__N_129segment_reduce_forward_kernelIN3c108BFloat16ElEEvNS0_13ReductionTypeEPT_PKS6_PKT0_SC_llbS6_lllllll
                                        ; -- End function
	.set _ZN2at6native12_GLOBAL__N_129segment_reduce_forward_kernelIN3c108BFloat16ElEEvNS0_13ReductionTypeEPT_PKS6_PKT0_SC_llbS6_lllllll.num_vgpr, 24
	.set _ZN2at6native12_GLOBAL__N_129segment_reduce_forward_kernelIN3c108BFloat16ElEEvNS0_13ReductionTypeEPT_PKS6_PKT0_SC_llbS6_lllllll.num_agpr, 0
	.set _ZN2at6native12_GLOBAL__N_129segment_reduce_forward_kernelIN3c108BFloat16ElEEvNS0_13ReductionTypeEPT_PKS6_PKT0_SC_llbS6_lllllll.numbered_sgpr, 42
	.set _ZN2at6native12_GLOBAL__N_129segment_reduce_forward_kernelIN3c108BFloat16ElEEvNS0_13ReductionTypeEPT_PKS6_PKT0_SC_llbS6_lllllll.num_named_barrier, 0
	.set _ZN2at6native12_GLOBAL__N_129segment_reduce_forward_kernelIN3c108BFloat16ElEEvNS0_13ReductionTypeEPT_PKS6_PKT0_SC_llbS6_lllllll.private_seg_size, 0
	.set _ZN2at6native12_GLOBAL__N_129segment_reduce_forward_kernelIN3c108BFloat16ElEEvNS0_13ReductionTypeEPT_PKS6_PKT0_SC_llbS6_lllllll.uses_vcc, 1
	.set _ZN2at6native12_GLOBAL__N_129segment_reduce_forward_kernelIN3c108BFloat16ElEEvNS0_13ReductionTypeEPT_PKS6_PKT0_SC_llbS6_lllllll.uses_flat_scratch, 0
	.set _ZN2at6native12_GLOBAL__N_129segment_reduce_forward_kernelIN3c108BFloat16ElEEvNS0_13ReductionTypeEPT_PKS6_PKT0_SC_llbS6_lllllll.has_dyn_sized_stack, 0
	.set _ZN2at6native12_GLOBAL__N_129segment_reduce_forward_kernelIN3c108BFloat16ElEEvNS0_13ReductionTypeEPT_PKS6_PKT0_SC_llbS6_lllllll.has_recursion, 0
	.set _ZN2at6native12_GLOBAL__N_129segment_reduce_forward_kernelIN3c108BFloat16ElEEvNS0_13ReductionTypeEPT_PKS6_PKT0_SC_llbS6_lllllll.has_indirect_call, 0
	.section	.AMDGPU.csdata,"",@progbits
; Kernel info:
; codeLenInByte = 3028
; TotalNumSgprs: 44
; NumVgprs: 24
; ScratchSize: 0
; MemoryBound: 0
; FloatMode: 240
; IeeeMode: 1
; LDSByteSize: 0 bytes/workgroup (compile time only)
; SGPRBlocks: 0
; VGPRBlocks: 2
; NumSGPRsForWavesPerEU: 44
; NumVGPRsForWavesPerEU: 24
; Occupancy: 16
; WaveLimiterHint : 0
; COMPUTE_PGM_RSRC2:SCRATCH_EN: 0
; COMPUTE_PGM_RSRC2:USER_SGPR: 6
; COMPUTE_PGM_RSRC2:TRAP_HANDLER: 0
; COMPUTE_PGM_RSRC2:TGID_X_EN: 1
; COMPUTE_PGM_RSRC2:TGID_Y_EN: 0
; COMPUTE_PGM_RSRC2:TGID_Z_EN: 0
; COMPUTE_PGM_RSRC2:TIDIG_COMP_CNT: 0
	.section	.text._ZN7rocprim17ROCPRIM_400000_NS6detail17trampoline_kernelINS0_14default_configENS1_32segmented_reduce_config_selectorIN3c108BFloat16EEEZNS1_21segmented_reduce_implIS3_PKS6_PS6_PKlS6_N6hipcub16HIPCUB_304000_NS6detail27convert_result_type_wrapperISA_SB_N2at6native12_GLOBAL__N_19CustomMaxEEEEE10hipError_tPvRmT0_T1_jT2_SS_T4_T3_P12ihipStream_tbEUlT_E_NS1_11comp_targetILNS1_3genE0ELNS1_11target_archE4294967295ELNS1_3gpuE0ELNS1_3repE0EEENS1_30default_config_static_selectorELNS0_4arch9wavefront6targetE0EEEvSR_,"axG",@progbits,_ZN7rocprim17ROCPRIM_400000_NS6detail17trampoline_kernelINS0_14default_configENS1_32segmented_reduce_config_selectorIN3c108BFloat16EEEZNS1_21segmented_reduce_implIS3_PKS6_PS6_PKlS6_N6hipcub16HIPCUB_304000_NS6detail27convert_result_type_wrapperISA_SB_N2at6native12_GLOBAL__N_19CustomMaxEEEEE10hipError_tPvRmT0_T1_jT2_SS_T4_T3_P12ihipStream_tbEUlT_E_NS1_11comp_targetILNS1_3genE0ELNS1_11target_archE4294967295ELNS1_3gpuE0ELNS1_3repE0EEENS1_30default_config_static_selectorELNS0_4arch9wavefront6targetE0EEEvSR_,comdat
	.globl	_ZN7rocprim17ROCPRIM_400000_NS6detail17trampoline_kernelINS0_14default_configENS1_32segmented_reduce_config_selectorIN3c108BFloat16EEEZNS1_21segmented_reduce_implIS3_PKS6_PS6_PKlS6_N6hipcub16HIPCUB_304000_NS6detail27convert_result_type_wrapperISA_SB_N2at6native12_GLOBAL__N_19CustomMaxEEEEE10hipError_tPvRmT0_T1_jT2_SS_T4_T3_P12ihipStream_tbEUlT_E_NS1_11comp_targetILNS1_3genE0ELNS1_11target_archE4294967295ELNS1_3gpuE0ELNS1_3repE0EEENS1_30default_config_static_selectorELNS0_4arch9wavefront6targetE0EEEvSR_ ; -- Begin function _ZN7rocprim17ROCPRIM_400000_NS6detail17trampoline_kernelINS0_14default_configENS1_32segmented_reduce_config_selectorIN3c108BFloat16EEEZNS1_21segmented_reduce_implIS3_PKS6_PS6_PKlS6_N6hipcub16HIPCUB_304000_NS6detail27convert_result_type_wrapperISA_SB_N2at6native12_GLOBAL__N_19CustomMaxEEEEE10hipError_tPvRmT0_T1_jT2_SS_T4_T3_P12ihipStream_tbEUlT_E_NS1_11comp_targetILNS1_3genE0ELNS1_11target_archE4294967295ELNS1_3gpuE0ELNS1_3repE0EEENS1_30default_config_static_selectorELNS0_4arch9wavefront6targetE0EEEvSR_
	.p2align	8
	.type	_ZN7rocprim17ROCPRIM_400000_NS6detail17trampoline_kernelINS0_14default_configENS1_32segmented_reduce_config_selectorIN3c108BFloat16EEEZNS1_21segmented_reduce_implIS3_PKS6_PS6_PKlS6_N6hipcub16HIPCUB_304000_NS6detail27convert_result_type_wrapperISA_SB_N2at6native12_GLOBAL__N_19CustomMaxEEEEE10hipError_tPvRmT0_T1_jT2_SS_T4_T3_P12ihipStream_tbEUlT_E_NS1_11comp_targetILNS1_3genE0ELNS1_11target_archE4294967295ELNS1_3gpuE0ELNS1_3repE0EEENS1_30default_config_static_selectorELNS0_4arch9wavefront6targetE0EEEvSR_,@function
_ZN7rocprim17ROCPRIM_400000_NS6detail17trampoline_kernelINS0_14default_configENS1_32segmented_reduce_config_selectorIN3c108BFloat16EEEZNS1_21segmented_reduce_implIS3_PKS6_PS6_PKlS6_N6hipcub16HIPCUB_304000_NS6detail27convert_result_type_wrapperISA_SB_N2at6native12_GLOBAL__N_19CustomMaxEEEEE10hipError_tPvRmT0_T1_jT2_SS_T4_T3_P12ihipStream_tbEUlT_E_NS1_11comp_targetILNS1_3genE0ELNS1_11target_archE4294967295ELNS1_3gpuE0ELNS1_3repE0EEENS1_30default_config_static_selectorELNS0_4arch9wavefront6targetE0EEEvSR_: ; @_ZN7rocprim17ROCPRIM_400000_NS6detail17trampoline_kernelINS0_14default_configENS1_32segmented_reduce_config_selectorIN3c108BFloat16EEEZNS1_21segmented_reduce_implIS3_PKS6_PS6_PKlS6_N6hipcub16HIPCUB_304000_NS6detail27convert_result_type_wrapperISA_SB_N2at6native12_GLOBAL__N_19CustomMaxEEEEE10hipError_tPvRmT0_T1_jT2_SS_T4_T3_P12ihipStream_tbEUlT_E_NS1_11comp_targetILNS1_3genE0ELNS1_11target_archE4294967295ELNS1_3gpuE0ELNS1_3repE0EEENS1_30default_config_static_selectorELNS0_4arch9wavefront6targetE0EEEvSR_
; %bb.0:
	.section	.rodata,"a",@progbits
	.p2align	6, 0x0
	.amdhsa_kernel _ZN7rocprim17ROCPRIM_400000_NS6detail17trampoline_kernelINS0_14default_configENS1_32segmented_reduce_config_selectorIN3c108BFloat16EEEZNS1_21segmented_reduce_implIS3_PKS6_PS6_PKlS6_N6hipcub16HIPCUB_304000_NS6detail27convert_result_type_wrapperISA_SB_N2at6native12_GLOBAL__N_19CustomMaxEEEEE10hipError_tPvRmT0_T1_jT2_SS_T4_T3_P12ihipStream_tbEUlT_E_NS1_11comp_targetILNS1_3genE0ELNS1_11target_archE4294967295ELNS1_3gpuE0ELNS1_3repE0EEENS1_30default_config_static_selectorELNS0_4arch9wavefront6targetE0EEEvSR_
		.amdhsa_group_segment_fixed_size 0
		.amdhsa_private_segment_fixed_size 0
		.amdhsa_kernarg_size 48
		.amdhsa_user_sgpr_count 6
		.amdhsa_user_sgpr_private_segment_buffer 1
		.amdhsa_user_sgpr_dispatch_ptr 0
		.amdhsa_user_sgpr_queue_ptr 0
		.amdhsa_user_sgpr_kernarg_segment_ptr 1
		.amdhsa_user_sgpr_dispatch_id 0
		.amdhsa_user_sgpr_flat_scratch_init 0
		.amdhsa_user_sgpr_private_segment_size 0
		.amdhsa_wavefront_size32 1
		.amdhsa_uses_dynamic_stack 0
		.amdhsa_system_sgpr_private_segment_wavefront_offset 0
		.amdhsa_system_sgpr_workgroup_id_x 1
		.amdhsa_system_sgpr_workgroup_id_y 0
		.amdhsa_system_sgpr_workgroup_id_z 0
		.amdhsa_system_sgpr_workgroup_info 0
		.amdhsa_system_vgpr_workitem_id 0
		.amdhsa_next_free_vgpr 1
		.amdhsa_next_free_sgpr 1
		.amdhsa_reserve_vcc 0
		.amdhsa_reserve_flat_scratch 0
		.amdhsa_float_round_mode_32 0
		.amdhsa_float_round_mode_16_64 0
		.amdhsa_float_denorm_mode_32 3
		.amdhsa_float_denorm_mode_16_64 3
		.amdhsa_dx10_clamp 1
		.amdhsa_ieee_mode 1
		.amdhsa_fp16_overflow 0
		.amdhsa_workgroup_processor_mode 1
		.amdhsa_memory_ordered 1
		.amdhsa_forward_progress 1
		.amdhsa_shared_vgpr_count 0
		.amdhsa_exception_fp_ieee_invalid_op 0
		.amdhsa_exception_fp_denorm_src 0
		.amdhsa_exception_fp_ieee_div_zero 0
		.amdhsa_exception_fp_ieee_overflow 0
		.amdhsa_exception_fp_ieee_underflow 0
		.amdhsa_exception_fp_ieee_inexact 0
		.amdhsa_exception_int_div_zero 0
	.end_amdhsa_kernel
	.section	.text._ZN7rocprim17ROCPRIM_400000_NS6detail17trampoline_kernelINS0_14default_configENS1_32segmented_reduce_config_selectorIN3c108BFloat16EEEZNS1_21segmented_reduce_implIS3_PKS6_PS6_PKlS6_N6hipcub16HIPCUB_304000_NS6detail27convert_result_type_wrapperISA_SB_N2at6native12_GLOBAL__N_19CustomMaxEEEEE10hipError_tPvRmT0_T1_jT2_SS_T4_T3_P12ihipStream_tbEUlT_E_NS1_11comp_targetILNS1_3genE0ELNS1_11target_archE4294967295ELNS1_3gpuE0ELNS1_3repE0EEENS1_30default_config_static_selectorELNS0_4arch9wavefront6targetE0EEEvSR_,"axG",@progbits,_ZN7rocprim17ROCPRIM_400000_NS6detail17trampoline_kernelINS0_14default_configENS1_32segmented_reduce_config_selectorIN3c108BFloat16EEEZNS1_21segmented_reduce_implIS3_PKS6_PS6_PKlS6_N6hipcub16HIPCUB_304000_NS6detail27convert_result_type_wrapperISA_SB_N2at6native12_GLOBAL__N_19CustomMaxEEEEE10hipError_tPvRmT0_T1_jT2_SS_T4_T3_P12ihipStream_tbEUlT_E_NS1_11comp_targetILNS1_3genE0ELNS1_11target_archE4294967295ELNS1_3gpuE0ELNS1_3repE0EEENS1_30default_config_static_selectorELNS0_4arch9wavefront6targetE0EEEvSR_,comdat
.Lfunc_end247:
	.size	_ZN7rocprim17ROCPRIM_400000_NS6detail17trampoline_kernelINS0_14default_configENS1_32segmented_reduce_config_selectorIN3c108BFloat16EEEZNS1_21segmented_reduce_implIS3_PKS6_PS6_PKlS6_N6hipcub16HIPCUB_304000_NS6detail27convert_result_type_wrapperISA_SB_N2at6native12_GLOBAL__N_19CustomMaxEEEEE10hipError_tPvRmT0_T1_jT2_SS_T4_T3_P12ihipStream_tbEUlT_E_NS1_11comp_targetILNS1_3genE0ELNS1_11target_archE4294967295ELNS1_3gpuE0ELNS1_3repE0EEENS1_30default_config_static_selectorELNS0_4arch9wavefront6targetE0EEEvSR_, .Lfunc_end247-_ZN7rocprim17ROCPRIM_400000_NS6detail17trampoline_kernelINS0_14default_configENS1_32segmented_reduce_config_selectorIN3c108BFloat16EEEZNS1_21segmented_reduce_implIS3_PKS6_PS6_PKlS6_N6hipcub16HIPCUB_304000_NS6detail27convert_result_type_wrapperISA_SB_N2at6native12_GLOBAL__N_19CustomMaxEEEEE10hipError_tPvRmT0_T1_jT2_SS_T4_T3_P12ihipStream_tbEUlT_E_NS1_11comp_targetILNS1_3genE0ELNS1_11target_archE4294967295ELNS1_3gpuE0ELNS1_3repE0EEENS1_30default_config_static_selectorELNS0_4arch9wavefront6targetE0EEEvSR_
                                        ; -- End function
	.set _ZN7rocprim17ROCPRIM_400000_NS6detail17trampoline_kernelINS0_14default_configENS1_32segmented_reduce_config_selectorIN3c108BFloat16EEEZNS1_21segmented_reduce_implIS3_PKS6_PS6_PKlS6_N6hipcub16HIPCUB_304000_NS6detail27convert_result_type_wrapperISA_SB_N2at6native12_GLOBAL__N_19CustomMaxEEEEE10hipError_tPvRmT0_T1_jT2_SS_T4_T3_P12ihipStream_tbEUlT_E_NS1_11comp_targetILNS1_3genE0ELNS1_11target_archE4294967295ELNS1_3gpuE0ELNS1_3repE0EEENS1_30default_config_static_selectorELNS0_4arch9wavefront6targetE0EEEvSR_.num_vgpr, 0
	.set _ZN7rocprim17ROCPRIM_400000_NS6detail17trampoline_kernelINS0_14default_configENS1_32segmented_reduce_config_selectorIN3c108BFloat16EEEZNS1_21segmented_reduce_implIS3_PKS6_PS6_PKlS6_N6hipcub16HIPCUB_304000_NS6detail27convert_result_type_wrapperISA_SB_N2at6native12_GLOBAL__N_19CustomMaxEEEEE10hipError_tPvRmT0_T1_jT2_SS_T4_T3_P12ihipStream_tbEUlT_E_NS1_11comp_targetILNS1_3genE0ELNS1_11target_archE4294967295ELNS1_3gpuE0ELNS1_3repE0EEENS1_30default_config_static_selectorELNS0_4arch9wavefront6targetE0EEEvSR_.num_agpr, 0
	.set _ZN7rocprim17ROCPRIM_400000_NS6detail17trampoline_kernelINS0_14default_configENS1_32segmented_reduce_config_selectorIN3c108BFloat16EEEZNS1_21segmented_reduce_implIS3_PKS6_PS6_PKlS6_N6hipcub16HIPCUB_304000_NS6detail27convert_result_type_wrapperISA_SB_N2at6native12_GLOBAL__N_19CustomMaxEEEEE10hipError_tPvRmT0_T1_jT2_SS_T4_T3_P12ihipStream_tbEUlT_E_NS1_11comp_targetILNS1_3genE0ELNS1_11target_archE4294967295ELNS1_3gpuE0ELNS1_3repE0EEENS1_30default_config_static_selectorELNS0_4arch9wavefront6targetE0EEEvSR_.numbered_sgpr, 0
	.set _ZN7rocprim17ROCPRIM_400000_NS6detail17trampoline_kernelINS0_14default_configENS1_32segmented_reduce_config_selectorIN3c108BFloat16EEEZNS1_21segmented_reduce_implIS3_PKS6_PS6_PKlS6_N6hipcub16HIPCUB_304000_NS6detail27convert_result_type_wrapperISA_SB_N2at6native12_GLOBAL__N_19CustomMaxEEEEE10hipError_tPvRmT0_T1_jT2_SS_T4_T3_P12ihipStream_tbEUlT_E_NS1_11comp_targetILNS1_3genE0ELNS1_11target_archE4294967295ELNS1_3gpuE0ELNS1_3repE0EEENS1_30default_config_static_selectorELNS0_4arch9wavefront6targetE0EEEvSR_.num_named_barrier, 0
	.set _ZN7rocprim17ROCPRIM_400000_NS6detail17trampoline_kernelINS0_14default_configENS1_32segmented_reduce_config_selectorIN3c108BFloat16EEEZNS1_21segmented_reduce_implIS3_PKS6_PS6_PKlS6_N6hipcub16HIPCUB_304000_NS6detail27convert_result_type_wrapperISA_SB_N2at6native12_GLOBAL__N_19CustomMaxEEEEE10hipError_tPvRmT0_T1_jT2_SS_T4_T3_P12ihipStream_tbEUlT_E_NS1_11comp_targetILNS1_3genE0ELNS1_11target_archE4294967295ELNS1_3gpuE0ELNS1_3repE0EEENS1_30default_config_static_selectorELNS0_4arch9wavefront6targetE0EEEvSR_.private_seg_size, 0
	.set _ZN7rocprim17ROCPRIM_400000_NS6detail17trampoline_kernelINS0_14default_configENS1_32segmented_reduce_config_selectorIN3c108BFloat16EEEZNS1_21segmented_reduce_implIS3_PKS6_PS6_PKlS6_N6hipcub16HIPCUB_304000_NS6detail27convert_result_type_wrapperISA_SB_N2at6native12_GLOBAL__N_19CustomMaxEEEEE10hipError_tPvRmT0_T1_jT2_SS_T4_T3_P12ihipStream_tbEUlT_E_NS1_11comp_targetILNS1_3genE0ELNS1_11target_archE4294967295ELNS1_3gpuE0ELNS1_3repE0EEENS1_30default_config_static_selectorELNS0_4arch9wavefront6targetE0EEEvSR_.uses_vcc, 0
	.set _ZN7rocprim17ROCPRIM_400000_NS6detail17trampoline_kernelINS0_14default_configENS1_32segmented_reduce_config_selectorIN3c108BFloat16EEEZNS1_21segmented_reduce_implIS3_PKS6_PS6_PKlS6_N6hipcub16HIPCUB_304000_NS6detail27convert_result_type_wrapperISA_SB_N2at6native12_GLOBAL__N_19CustomMaxEEEEE10hipError_tPvRmT0_T1_jT2_SS_T4_T3_P12ihipStream_tbEUlT_E_NS1_11comp_targetILNS1_3genE0ELNS1_11target_archE4294967295ELNS1_3gpuE0ELNS1_3repE0EEENS1_30default_config_static_selectorELNS0_4arch9wavefront6targetE0EEEvSR_.uses_flat_scratch, 0
	.set _ZN7rocprim17ROCPRIM_400000_NS6detail17trampoline_kernelINS0_14default_configENS1_32segmented_reduce_config_selectorIN3c108BFloat16EEEZNS1_21segmented_reduce_implIS3_PKS6_PS6_PKlS6_N6hipcub16HIPCUB_304000_NS6detail27convert_result_type_wrapperISA_SB_N2at6native12_GLOBAL__N_19CustomMaxEEEEE10hipError_tPvRmT0_T1_jT2_SS_T4_T3_P12ihipStream_tbEUlT_E_NS1_11comp_targetILNS1_3genE0ELNS1_11target_archE4294967295ELNS1_3gpuE0ELNS1_3repE0EEENS1_30default_config_static_selectorELNS0_4arch9wavefront6targetE0EEEvSR_.has_dyn_sized_stack, 0
	.set _ZN7rocprim17ROCPRIM_400000_NS6detail17trampoline_kernelINS0_14default_configENS1_32segmented_reduce_config_selectorIN3c108BFloat16EEEZNS1_21segmented_reduce_implIS3_PKS6_PS6_PKlS6_N6hipcub16HIPCUB_304000_NS6detail27convert_result_type_wrapperISA_SB_N2at6native12_GLOBAL__N_19CustomMaxEEEEE10hipError_tPvRmT0_T1_jT2_SS_T4_T3_P12ihipStream_tbEUlT_E_NS1_11comp_targetILNS1_3genE0ELNS1_11target_archE4294967295ELNS1_3gpuE0ELNS1_3repE0EEENS1_30default_config_static_selectorELNS0_4arch9wavefront6targetE0EEEvSR_.has_recursion, 0
	.set _ZN7rocprim17ROCPRIM_400000_NS6detail17trampoline_kernelINS0_14default_configENS1_32segmented_reduce_config_selectorIN3c108BFloat16EEEZNS1_21segmented_reduce_implIS3_PKS6_PS6_PKlS6_N6hipcub16HIPCUB_304000_NS6detail27convert_result_type_wrapperISA_SB_N2at6native12_GLOBAL__N_19CustomMaxEEEEE10hipError_tPvRmT0_T1_jT2_SS_T4_T3_P12ihipStream_tbEUlT_E_NS1_11comp_targetILNS1_3genE0ELNS1_11target_archE4294967295ELNS1_3gpuE0ELNS1_3repE0EEENS1_30default_config_static_selectorELNS0_4arch9wavefront6targetE0EEEvSR_.has_indirect_call, 0
	.section	.AMDGPU.csdata,"",@progbits
; Kernel info:
; codeLenInByte = 0
; TotalNumSgprs: 0
; NumVgprs: 0
; ScratchSize: 0
; MemoryBound: 0
; FloatMode: 240
; IeeeMode: 1
; LDSByteSize: 0 bytes/workgroup (compile time only)
; SGPRBlocks: 0
; VGPRBlocks: 0
; NumSGPRsForWavesPerEU: 1
; NumVGPRsForWavesPerEU: 1
; Occupancy: 16
; WaveLimiterHint : 0
; COMPUTE_PGM_RSRC2:SCRATCH_EN: 0
; COMPUTE_PGM_RSRC2:USER_SGPR: 6
; COMPUTE_PGM_RSRC2:TRAP_HANDLER: 0
; COMPUTE_PGM_RSRC2:TGID_X_EN: 1
; COMPUTE_PGM_RSRC2:TGID_Y_EN: 0
; COMPUTE_PGM_RSRC2:TGID_Z_EN: 0
; COMPUTE_PGM_RSRC2:TIDIG_COMP_CNT: 0
	.section	.text._ZN7rocprim17ROCPRIM_400000_NS6detail17trampoline_kernelINS0_14default_configENS1_32segmented_reduce_config_selectorIN3c108BFloat16EEEZNS1_21segmented_reduce_implIS3_PKS6_PS6_PKlS6_N6hipcub16HIPCUB_304000_NS6detail27convert_result_type_wrapperISA_SB_N2at6native12_GLOBAL__N_19CustomMaxEEEEE10hipError_tPvRmT0_T1_jT2_SS_T4_T3_P12ihipStream_tbEUlT_E_NS1_11comp_targetILNS1_3genE5ELNS1_11target_archE942ELNS1_3gpuE9ELNS1_3repE0EEENS1_30default_config_static_selectorELNS0_4arch9wavefront6targetE0EEEvSR_,"axG",@progbits,_ZN7rocprim17ROCPRIM_400000_NS6detail17trampoline_kernelINS0_14default_configENS1_32segmented_reduce_config_selectorIN3c108BFloat16EEEZNS1_21segmented_reduce_implIS3_PKS6_PS6_PKlS6_N6hipcub16HIPCUB_304000_NS6detail27convert_result_type_wrapperISA_SB_N2at6native12_GLOBAL__N_19CustomMaxEEEEE10hipError_tPvRmT0_T1_jT2_SS_T4_T3_P12ihipStream_tbEUlT_E_NS1_11comp_targetILNS1_3genE5ELNS1_11target_archE942ELNS1_3gpuE9ELNS1_3repE0EEENS1_30default_config_static_selectorELNS0_4arch9wavefront6targetE0EEEvSR_,comdat
	.globl	_ZN7rocprim17ROCPRIM_400000_NS6detail17trampoline_kernelINS0_14default_configENS1_32segmented_reduce_config_selectorIN3c108BFloat16EEEZNS1_21segmented_reduce_implIS3_PKS6_PS6_PKlS6_N6hipcub16HIPCUB_304000_NS6detail27convert_result_type_wrapperISA_SB_N2at6native12_GLOBAL__N_19CustomMaxEEEEE10hipError_tPvRmT0_T1_jT2_SS_T4_T3_P12ihipStream_tbEUlT_E_NS1_11comp_targetILNS1_3genE5ELNS1_11target_archE942ELNS1_3gpuE9ELNS1_3repE0EEENS1_30default_config_static_selectorELNS0_4arch9wavefront6targetE0EEEvSR_ ; -- Begin function _ZN7rocprim17ROCPRIM_400000_NS6detail17trampoline_kernelINS0_14default_configENS1_32segmented_reduce_config_selectorIN3c108BFloat16EEEZNS1_21segmented_reduce_implIS3_PKS6_PS6_PKlS6_N6hipcub16HIPCUB_304000_NS6detail27convert_result_type_wrapperISA_SB_N2at6native12_GLOBAL__N_19CustomMaxEEEEE10hipError_tPvRmT0_T1_jT2_SS_T4_T3_P12ihipStream_tbEUlT_E_NS1_11comp_targetILNS1_3genE5ELNS1_11target_archE942ELNS1_3gpuE9ELNS1_3repE0EEENS1_30default_config_static_selectorELNS0_4arch9wavefront6targetE0EEEvSR_
	.p2align	8
	.type	_ZN7rocprim17ROCPRIM_400000_NS6detail17trampoline_kernelINS0_14default_configENS1_32segmented_reduce_config_selectorIN3c108BFloat16EEEZNS1_21segmented_reduce_implIS3_PKS6_PS6_PKlS6_N6hipcub16HIPCUB_304000_NS6detail27convert_result_type_wrapperISA_SB_N2at6native12_GLOBAL__N_19CustomMaxEEEEE10hipError_tPvRmT0_T1_jT2_SS_T4_T3_P12ihipStream_tbEUlT_E_NS1_11comp_targetILNS1_3genE5ELNS1_11target_archE942ELNS1_3gpuE9ELNS1_3repE0EEENS1_30default_config_static_selectorELNS0_4arch9wavefront6targetE0EEEvSR_,@function
_ZN7rocprim17ROCPRIM_400000_NS6detail17trampoline_kernelINS0_14default_configENS1_32segmented_reduce_config_selectorIN3c108BFloat16EEEZNS1_21segmented_reduce_implIS3_PKS6_PS6_PKlS6_N6hipcub16HIPCUB_304000_NS6detail27convert_result_type_wrapperISA_SB_N2at6native12_GLOBAL__N_19CustomMaxEEEEE10hipError_tPvRmT0_T1_jT2_SS_T4_T3_P12ihipStream_tbEUlT_E_NS1_11comp_targetILNS1_3genE5ELNS1_11target_archE942ELNS1_3gpuE9ELNS1_3repE0EEENS1_30default_config_static_selectorELNS0_4arch9wavefront6targetE0EEEvSR_: ; @_ZN7rocprim17ROCPRIM_400000_NS6detail17trampoline_kernelINS0_14default_configENS1_32segmented_reduce_config_selectorIN3c108BFloat16EEEZNS1_21segmented_reduce_implIS3_PKS6_PS6_PKlS6_N6hipcub16HIPCUB_304000_NS6detail27convert_result_type_wrapperISA_SB_N2at6native12_GLOBAL__N_19CustomMaxEEEEE10hipError_tPvRmT0_T1_jT2_SS_T4_T3_P12ihipStream_tbEUlT_E_NS1_11comp_targetILNS1_3genE5ELNS1_11target_archE942ELNS1_3gpuE9ELNS1_3repE0EEENS1_30default_config_static_selectorELNS0_4arch9wavefront6targetE0EEEvSR_
; %bb.0:
	.section	.rodata,"a",@progbits
	.p2align	6, 0x0
	.amdhsa_kernel _ZN7rocprim17ROCPRIM_400000_NS6detail17trampoline_kernelINS0_14default_configENS1_32segmented_reduce_config_selectorIN3c108BFloat16EEEZNS1_21segmented_reduce_implIS3_PKS6_PS6_PKlS6_N6hipcub16HIPCUB_304000_NS6detail27convert_result_type_wrapperISA_SB_N2at6native12_GLOBAL__N_19CustomMaxEEEEE10hipError_tPvRmT0_T1_jT2_SS_T4_T3_P12ihipStream_tbEUlT_E_NS1_11comp_targetILNS1_3genE5ELNS1_11target_archE942ELNS1_3gpuE9ELNS1_3repE0EEENS1_30default_config_static_selectorELNS0_4arch9wavefront6targetE0EEEvSR_
		.amdhsa_group_segment_fixed_size 0
		.amdhsa_private_segment_fixed_size 0
		.amdhsa_kernarg_size 48
		.amdhsa_user_sgpr_count 6
		.amdhsa_user_sgpr_private_segment_buffer 1
		.amdhsa_user_sgpr_dispatch_ptr 0
		.amdhsa_user_sgpr_queue_ptr 0
		.amdhsa_user_sgpr_kernarg_segment_ptr 1
		.amdhsa_user_sgpr_dispatch_id 0
		.amdhsa_user_sgpr_flat_scratch_init 0
		.amdhsa_user_sgpr_private_segment_size 0
		.amdhsa_wavefront_size32 1
		.amdhsa_uses_dynamic_stack 0
		.amdhsa_system_sgpr_private_segment_wavefront_offset 0
		.amdhsa_system_sgpr_workgroup_id_x 1
		.amdhsa_system_sgpr_workgroup_id_y 0
		.amdhsa_system_sgpr_workgroup_id_z 0
		.amdhsa_system_sgpr_workgroup_info 0
		.amdhsa_system_vgpr_workitem_id 0
		.amdhsa_next_free_vgpr 1
		.amdhsa_next_free_sgpr 1
		.amdhsa_reserve_vcc 0
		.amdhsa_reserve_flat_scratch 0
		.amdhsa_float_round_mode_32 0
		.amdhsa_float_round_mode_16_64 0
		.amdhsa_float_denorm_mode_32 3
		.amdhsa_float_denorm_mode_16_64 3
		.amdhsa_dx10_clamp 1
		.amdhsa_ieee_mode 1
		.amdhsa_fp16_overflow 0
		.amdhsa_workgroup_processor_mode 1
		.amdhsa_memory_ordered 1
		.amdhsa_forward_progress 1
		.amdhsa_shared_vgpr_count 0
		.amdhsa_exception_fp_ieee_invalid_op 0
		.amdhsa_exception_fp_denorm_src 0
		.amdhsa_exception_fp_ieee_div_zero 0
		.amdhsa_exception_fp_ieee_overflow 0
		.amdhsa_exception_fp_ieee_underflow 0
		.amdhsa_exception_fp_ieee_inexact 0
		.amdhsa_exception_int_div_zero 0
	.end_amdhsa_kernel
	.section	.text._ZN7rocprim17ROCPRIM_400000_NS6detail17trampoline_kernelINS0_14default_configENS1_32segmented_reduce_config_selectorIN3c108BFloat16EEEZNS1_21segmented_reduce_implIS3_PKS6_PS6_PKlS6_N6hipcub16HIPCUB_304000_NS6detail27convert_result_type_wrapperISA_SB_N2at6native12_GLOBAL__N_19CustomMaxEEEEE10hipError_tPvRmT0_T1_jT2_SS_T4_T3_P12ihipStream_tbEUlT_E_NS1_11comp_targetILNS1_3genE5ELNS1_11target_archE942ELNS1_3gpuE9ELNS1_3repE0EEENS1_30default_config_static_selectorELNS0_4arch9wavefront6targetE0EEEvSR_,"axG",@progbits,_ZN7rocprim17ROCPRIM_400000_NS6detail17trampoline_kernelINS0_14default_configENS1_32segmented_reduce_config_selectorIN3c108BFloat16EEEZNS1_21segmented_reduce_implIS3_PKS6_PS6_PKlS6_N6hipcub16HIPCUB_304000_NS6detail27convert_result_type_wrapperISA_SB_N2at6native12_GLOBAL__N_19CustomMaxEEEEE10hipError_tPvRmT0_T1_jT2_SS_T4_T3_P12ihipStream_tbEUlT_E_NS1_11comp_targetILNS1_3genE5ELNS1_11target_archE942ELNS1_3gpuE9ELNS1_3repE0EEENS1_30default_config_static_selectorELNS0_4arch9wavefront6targetE0EEEvSR_,comdat
.Lfunc_end248:
	.size	_ZN7rocprim17ROCPRIM_400000_NS6detail17trampoline_kernelINS0_14default_configENS1_32segmented_reduce_config_selectorIN3c108BFloat16EEEZNS1_21segmented_reduce_implIS3_PKS6_PS6_PKlS6_N6hipcub16HIPCUB_304000_NS6detail27convert_result_type_wrapperISA_SB_N2at6native12_GLOBAL__N_19CustomMaxEEEEE10hipError_tPvRmT0_T1_jT2_SS_T4_T3_P12ihipStream_tbEUlT_E_NS1_11comp_targetILNS1_3genE5ELNS1_11target_archE942ELNS1_3gpuE9ELNS1_3repE0EEENS1_30default_config_static_selectorELNS0_4arch9wavefront6targetE0EEEvSR_, .Lfunc_end248-_ZN7rocprim17ROCPRIM_400000_NS6detail17trampoline_kernelINS0_14default_configENS1_32segmented_reduce_config_selectorIN3c108BFloat16EEEZNS1_21segmented_reduce_implIS3_PKS6_PS6_PKlS6_N6hipcub16HIPCUB_304000_NS6detail27convert_result_type_wrapperISA_SB_N2at6native12_GLOBAL__N_19CustomMaxEEEEE10hipError_tPvRmT0_T1_jT2_SS_T4_T3_P12ihipStream_tbEUlT_E_NS1_11comp_targetILNS1_3genE5ELNS1_11target_archE942ELNS1_3gpuE9ELNS1_3repE0EEENS1_30default_config_static_selectorELNS0_4arch9wavefront6targetE0EEEvSR_
                                        ; -- End function
	.set _ZN7rocprim17ROCPRIM_400000_NS6detail17trampoline_kernelINS0_14default_configENS1_32segmented_reduce_config_selectorIN3c108BFloat16EEEZNS1_21segmented_reduce_implIS3_PKS6_PS6_PKlS6_N6hipcub16HIPCUB_304000_NS6detail27convert_result_type_wrapperISA_SB_N2at6native12_GLOBAL__N_19CustomMaxEEEEE10hipError_tPvRmT0_T1_jT2_SS_T4_T3_P12ihipStream_tbEUlT_E_NS1_11comp_targetILNS1_3genE5ELNS1_11target_archE942ELNS1_3gpuE9ELNS1_3repE0EEENS1_30default_config_static_selectorELNS0_4arch9wavefront6targetE0EEEvSR_.num_vgpr, 0
	.set _ZN7rocprim17ROCPRIM_400000_NS6detail17trampoline_kernelINS0_14default_configENS1_32segmented_reduce_config_selectorIN3c108BFloat16EEEZNS1_21segmented_reduce_implIS3_PKS6_PS6_PKlS6_N6hipcub16HIPCUB_304000_NS6detail27convert_result_type_wrapperISA_SB_N2at6native12_GLOBAL__N_19CustomMaxEEEEE10hipError_tPvRmT0_T1_jT2_SS_T4_T3_P12ihipStream_tbEUlT_E_NS1_11comp_targetILNS1_3genE5ELNS1_11target_archE942ELNS1_3gpuE9ELNS1_3repE0EEENS1_30default_config_static_selectorELNS0_4arch9wavefront6targetE0EEEvSR_.num_agpr, 0
	.set _ZN7rocprim17ROCPRIM_400000_NS6detail17trampoline_kernelINS0_14default_configENS1_32segmented_reduce_config_selectorIN3c108BFloat16EEEZNS1_21segmented_reduce_implIS3_PKS6_PS6_PKlS6_N6hipcub16HIPCUB_304000_NS6detail27convert_result_type_wrapperISA_SB_N2at6native12_GLOBAL__N_19CustomMaxEEEEE10hipError_tPvRmT0_T1_jT2_SS_T4_T3_P12ihipStream_tbEUlT_E_NS1_11comp_targetILNS1_3genE5ELNS1_11target_archE942ELNS1_3gpuE9ELNS1_3repE0EEENS1_30default_config_static_selectorELNS0_4arch9wavefront6targetE0EEEvSR_.numbered_sgpr, 0
	.set _ZN7rocprim17ROCPRIM_400000_NS6detail17trampoline_kernelINS0_14default_configENS1_32segmented_reduce_config_selectorIN3c108BFloat16EEEZNS1_21segmented_reduce_implIS3_PKS6_PS6_PKlS6_N6hipcub16HIPCUB_304000_NS6detail27convert_result_type_wrapperISA_SB_N2at6native12_GLOBAL__N_19CustomMaxEEEEE10hipError_tPvRmT0_T1_jT2_SS_T4_T3_P12ihipStream_tbEUlT_E_NS1_11comp_targetILNS1_3genE5ELNS1_11target_archE942ELNS1_3gpuE9ELNS1_3repE0EEENS1_30default_config_static_selectorELNS0_4arch9wavefront6targetE0EEEvSR_.num_named_barrier, 0
	.set _ZN7rocprim17ROCPRIM_400000_NS6detail17trampoline_kernelINS0_14default_configENS1_32segmented_reduce_config_selectorIN3c108BFloat16EEEZNS1_21segmented_reduce_implIS3_PKS6_PS6_PKlS6_N6hipcub16HIPCUB_304000_NS6detail27convert_result_type_wrapperISA_SB_N2at6native12_GLOBAL__N_19CustomMaxEEEEE10hipError_tPvRmT0_T1_jT2_SS_T4_T3_P12ihipStream_tbEUlT_E_NS1_11comp_targetILNS1_3genE5ELNS1_11target_archE942ELNS1_3gpuE9ELNS1_3repE0EEENS1_30default_config_static_selectorELNS0_4arch9wavefront6targetE0EEEvSR_.private_seg_size, 0
	.set _ZN7rocprim17ROCPRIM_400000_NS6detail17trampoline_kernelINS0_14default_configENS1_32segmented_reduce_config_selectorIN3c108BFloat16EEEZNS1_21segmented_reduce_implIS3_PKS6_PS6_PKlS6_N6hipcub16HIPCUB_304000_NS6detail27convert_result_type_wrapperISA_SB_N2at6native12_GLOBAL__N_19CustomMaxEEEEE10hipError_tPvRmT0_T1_jT2_SS_T4_T3_P12ihipStream_tbEUlT_E_NS1_11comp_targetILNS1_3genE5ELNS1_11target_archE942ELNS1_3gpuE9ELNS1_3repE0EEENS1_30default_config_static_selectorELNS0_4arch9wavefront6targetE0EEEvSR_.uses_vcc, 0
	.set _ZN7rocprim17ROCPRIM_400000_NS6detail17trampoline_kernelINS0_14default_configENS1_32segmented_reduce_config_selectorIN3c108BFloat16EEEZNS1_21segmented_reduce_implIS3_PKS6_PS6_PKlS6_N6hipcub16HIPCUB_304000_NS6detail27convert_result_type_wrapperISA_SB_N2at6native12_GLOBAL__N_19CustomMaxEEEEE10hipError_tPvRmT0_T1_jT2_SS_T4_T3_P12ihipStream_tbEUlT_E_NS1_11comp_targetILNS1_3genE5ELNS1_11target_archE942ELNS1_3gpuE9ELNS1_3repE0EEENS1_30default_config_static_selectorELNS0_4arch9wavefront6targetE0EEEvSR_.uses_flat_scratch, 0
	.set _ZN7rocprim17ROCPRIM_400000_NS6detail17trampoline_kernelINS0_14default_configENS1_32segmented_reduce_config_selectorIN3c108BFloat16EEEZNS1_21segmented_reduce_implIS3_PKS6_PS6_PKlS6_N6hipcub16HIPCUB_304000_NS6detail27convert_result_type_wrapperISA_SB_N2at6native12_GLOBAL__N_19CustomMaxEEEEE10hipError_tPvRmT0_T1_jT2_SS_T4_T3_P12ihipStream_tbEUlT_E_NS1_11comp_targetILNS1_3genE5ELNS1_11target_archE942ELNS1_3gpuE9ELNS1_3repE0EEENS1_30default_config_static_selectorELNS0_4arch9wavefront6targetE0EEEvSR_.has_dyn_sized_stack, 0
	.set _ZN7rocprim17ROCPRIM_400000_NS6detail17trampoline_kernelINS0_14default_configENS1_32segmented_reduce_config_selectorIN3c108BFloat16EEEZNS1_21segmented_reduce_implIS3_PKS6_PS6_PKlS6_N6hipcub16HIPCUB_304000_NS6detail27convert_result_type_wrapperISA_SB_N2at6native12_GLOBAL__N_19CustomMaxEEEEE10hipError_tPvRmT0_T1_jT2_SS_T4_T3_P12ihipStream_tbEUlT_E_NS1_11comp_targetILNS1_3genE5ELNS1_11target_archE942ELNS1_3gpuE9ELNS1_3repE0EEENS1_30default_config_static_selectorELNS0_4arch9wavefront6targetE0EEEvSR_.has_recursion, 0
	.set _ZN7rocprim17ROCPRIM_400000_NS6detail17trampoline_kernelINS0_14default_configENS1_32segmented_reduce_config_selectorIN3c108BFloat16EEEZNS1_21segmented_reduce_implIS3_PKS6_PS6_PKlS6_N6hipcub16HIPCUB_304000_NS6detail27convert_result_type_wrapperISA_SB_N2at6native12_GLOBAL__N_19CustomMaxEEEEE10hipError_tPvRmT0_T1_jT2_SS_T4_T3_P12ihipStream_tbEUlT_E_NS1_11comp_targetILNS1_3genE5ELNS1_11target_archE942ELNS1_3gpuE9ELNS1_3repE0EEENS1_30default_config_static_selectorELNS0_4arch9wavefront6targetE0EEEvSR_.has_indirect_call, 0
	.section	.AMDGPU.csdata,"",@progbits
; Kernel info:
; codeLenInByte = 0
; TotalNumSgprs: 0
; NumVgprs: 0
; ScratchSize: 0
; MemoryBound: 0
; FloatMode: 240
; IeeeMode: 1
; LDSByteSize: 0 bytes/workgroup (compile time only)
; SGPRBlocks: 0
; VGPRBlocks: 0
; NumSGPRsForWavesPerEU: 1
; NumVGPRsForWavesPerEU: 1
; Occupancy: 16
; WaveLimiterHint : 0
; COMPUTE_PGM_RSRC2:SCRATCH_EN: 0
; COMPUTE_PGM_RSRC2:USER_SGPR: 6
; COMPUTE_PGM_RSRC2:TRAP_HANDLER: 0
; COMPUTE_PGM_RSRC2:TGID_X_EN: 1
; COMPUTE_PGM_RSRC2:TGID_Y_EN: 0
; COMPUTE_PGM_RSRC2:TGID_Z_EN: 0
; COMPUTE_PGM_RSRC2:TIDIG_COMP_CNT: 0
	.section	.text._ZN7rocprim17ROCPRIM_400000_NS6detail17trampoline_kernelINS0_14default_configENS1_32segmented_reduce_config_selectorIN3c108BFloat16EEEZNS1_21segmented_reduce_implIS3_PKS6_PS6_PKlS6_N6hipcub16HIPCUB_304000_NS6detail27convert_result_type_wrapperISA_SB_N2at6native12_GLOBAL__N_19CustomMaxEEEEE10hipError_tPvRmT0_T1_jT2_SS_T4_T3_P12ihipStream_tbEUlT_E_NS1_11comp_targetILNS1_3genE10ELNS1_11target_archE1201ELNS1_3gpuE5ELNS1_3repE0EEENS1_30default_config_static_selectorELNS0_4arch9wavefront6targetE0EEEvSR_,"axG",@progbits,_ZN7rocprim17ROCPRIM_400000_NS6detail17trampoline_kernelINS0_14default_configENS1_32segmented_reduce_config_selectorIN3c108BFloat16EEEZNS1_21segmented_reduce_implIS3_PKS6_PS6_PKlS6_N6hipcub16HIPCUB_304000_NS6detail27convert_result_type_wrapperISA_SB_N2at6native12_GLOBAL__N_19CustomMaxEEEEE10hipError_tPvRmT0_T1_jT2_SS_T4_T3_P12ihipStream_tbEUlT_E_NS1_11comp_targetILNS1_3genE10ELNS1_11target_archE1201ELNS1_3gpuE5ELNS1_3repE0EEENS1_30default_config_static_selectorELNS0_4arch9wavefront6targetE0EEEvSR_,comdat
	.globl	_ZN7rocprim17ROCPRIM_400000_NS6detail17trampoline_kernelINS0_14default_configENS1_32segmented_reduce_config_selectorIN3c108BFloat16EEEZNS1_21segmented_reduce_implIS3_PKS6_PS6_PKlS6_N6hipcub16HIPCUB_304000_NS6detail27convert_result_type_wrapperISA_SB_N2at6native12_GLOBAL__N_19CustomMaxEEEEE10hipError_tPvRmT0_T1_jT2_SS_T4_T3_P12ihipStream_tbEUlT_E_NS1_11comp_targetILNS1_3genE10ELNS1_11target_archE1201ELNS1_3gpuE5ELNS1_3repE0EEENS1_30default_config_static_selectorELNS0_4arch9wavefront6targetE0EEEvSR_ ; -- Begin function _ZN7rocprim17ROCPRIM_400000_NS6detail17trampoline_kernelINS0_14default_configENS1_32segmented_reduce_config_selectorIN3c108BFloat16EEEZNS1_21segmented_reduce_implIS3_PKS6_PS6_PKlS6_N6hipcub16HIPCUB_304000_NS6detail27convert_result_type_wrapperISA_SB_N2at6native12_GLOBAL__N_19CustomMaxEEEEE10hipError_tPvRmT0_T1_jT2_SS_T4_T3_P12ihipStream_tbEUlT_E_NS1_11comp_targetILNS1_3genE10ELNS1_11target_archE1201ELNS1_3gpuE5ELNS1_3repE0EEENS1_30default_config_static_selectorELNS0_4arch9wavefront6targetE0EEEvSR_
	.p2align	8
	.type	_ZN7rocprim17ROCPRIM_400000_NS6detail17trampoline_kernelINS0_14default_configENS1_32segmented_reduce_config_selectorIN3c108BFloat16EEEZNS1_21segmented_reduce_implIS3_PKS6_PS6_PKlS6_N6hipcub16HIPCUB_304000_NS6detail27convert_result_type_wrapperISA_SB_N2at6native12_GLOBAL__N_19CustomMaxEEEEE10hipError_tPvRmT0_T1_jT2_SS_T4_T3_P12ihipStream_tbEUlT_E_NS1_11comp_targetILNS1_3genE10ELNS1_11target_archE1201ELNS1_3gpuE5ELNS1_3repE0EEENS1_30default_config_static_selectorELNS0_4arch9wavefront6targetE0EEEvSR_,@function
_ZN7rocprim17ROCPRIM_400000_NS6detail17trampoline_kernelINS0_14default_configENS1_32segmented_reduce_config_selectorIN3c108BFloat16EEEZNS1_21segmented_reduce_implIS3_PKS6_PS6_PKlS6_N6hipcub16HIPCUB_304000_NS6detail27convert_result_type_wrapperISA_SB_N2at6native12_GLOBAL__N_19CustomMaxEEEEE10hipError_tPvRmT0_T1_jT2_SS_T4_T3_P12ihipStream_tbEUlT_E_NS1_11comp_targetILNS1_3genE10ELNS1_11target_archE1201ELNS1_3gpuE5ELNS1_3repE0EEENS1_30default_config_static_selectorELNS0_4arch9wavefront6targetE0EEEvSR_: ; @_ZN7rocprim17ROCPRIM_400000_NS6detail17trampoline_kernelINS0_14default_configENS1_32segmented_reduce_config_selectorIN3c108BFloat16EEEZNS1_21segmented_reduce_implIS3_PKS6_PS6_PKlS6_N6hipcub16HIPCUB_304000_NS6detail27convert_result_type_wrapperISA_SB_N2at6native12_GLOBAL__N_19CustomMaxEEEEE10hipError_tPvRmT0_T1_jT2_SS_T4_T3_P12ihipStream_tbEUlT_E_NS1_11comp_targetILNS1_3genE10ELNS1_11target_archE1201ELNS1_3gpuE5ELNS1_3repE0EEENS1_30default_config_static_selectorELNS0_4arch9wavefront6targetE0EEEvSR_
; %bb.0:
	.section	.rodata,"a",@progbits
	.p2align	6, 0x0
	.amdhsa_kernel _ZN7rocprim17ROCPRIM_400000_NS6detail17trampoline_kernelINS0_14default_configENS1_32segmented_reduce_config_selectorIN3c108BFloat16EEEZNS1_21segmented_reduce_implIS3_PKS6_PS6_PKlS6_N6hipcub16HIPCUB_304000_NS6detail27convert_result_type_wrapperISA_SB_N2at6native12_GLOBAL__N_19CustomMaxEEEEE10hipError_tPvRmT0_T1_jT2_SS_T4_T3_P12ihipStream_tbEUlT_E_NS1_11comp_targetILNS1_3genE10ELNS1_11target_archE1201ELNS1_3gpuE5ELNS1_3repE0EEENS1_30default_config_static_selectorELNS0_4arch9wavefront6targetE0EEEvSR_
		.amdhsa_group_segment_fixed_size 0
		.amdhsa_private_segment_fixed_size 0
		.amdhsa_kernarg_size 48
		.amdhsa_user_sgpr_count 6
		.amdhsa_user_sgpr_private_segment_buffer 1
		.amdhsa_user_sgpr_dispatch_ptr 0
		.amdhsa_user_sgpr_queue_ptr 0
		.amdhsa_user_sgpr_kernarg_segment_ptr 1
		.amdhsa_user_sgpr_dispatch_id 0
		.amdhsa_user_sgpr_flat_scratch_init 0
		.amdhsa_user_sgpr_private_segment_size 0
		.amdhsa_wavefront_size32 1
		.amdhsa_uses_dynamic_stack 0
		.amdhsa_system_sgpr_private_segment_wavefront_offset 0
		.amdhsa_system_sgpr_workgroup_id_x 1
		.amdhsa_system_sgpr_workgroup_id_y 0
		.amdhsa_system_sgpr_workgroup_id_z 0
		.amdhsa_system_sgpr_workgroup_info 0
		.amdhsa_system_vgpr_workitem_id 0
		.amdhsa_next_free_vgpr 1
		.amdhsa_next_free_sgpr 1
		.amdhsa_reserve_vcc 0
		.amdhsa_reserve_flat_scratch 0
		.amdhsa_float_round_mode_32 0
		.amdhsa_float_round_mode_16_64 0
		.amdhsa_float_denorm_mode_32 3
		.amdhsa_float_denorm_mode_16_64 3
		.amdhsa_dx10_clamp 1
		.amdhsa_ieee_mode 1
		.amdhsa_fp16_overflow 0
		.amdhsa_workgroup_processor_mode 1
		.amdhsa_memory_ordered 1
		.amdhsa_forward_progress 1
		.amdhsa_shared_vgpr_count 0
		.amdhsa_exception_fp_ieee_invalid_op 0
		.amdhsa_exception_fp_denorm_src 0
		.amdhsa_exception_fp_ieee_div_zero 0
		.amdhsa_exception_fp_ieee_overflow 0
		.amdhsa_exception_fp_ieee_underflow 0
		.amdhsa_exception_fp_ieee_inexact 0
		.amdhsa_exception_int_div_zero 0
	.end_amdhsa_kernel
	.section	.text._ZN7rocprim17ROCPRIM_400000_NS6detail17trampoline_kernelINS0_14default_configENS1_32segmented_reduce_config_selectorIN3c108BFloat16EEEZNS1_21segmented_reduce_implIS3_PKS6_PS6_PKlS6_N6hipcub16HIPCUB_304000_NS6detail27convert_result_type_wrapperISA_SB_N2at6native12_GLOBAL__N_19CustomMaxEEEEE10hipError_tPvRmT0_T1_jT2_SS_T4_T3_P12ihipStream_tbEUlT_E_NS1_11comp_targetILNS1_3genE10ELNS1_11target_archE1201ELNS1_3gpuE5ELNS1_3repE0EEENS1_30default_config_static_selectorELNS0_4arch9wavefront6targetE0EEEvSR_,"axG",@progbits,_ZN7rocprim17ROCPRIM_400000_NS6detail17trampoline_kernelINS0_14default_configENS1_32segmented_reduce_config_selectorIN3c108BFloat16EEEZNS1_21segmented_reduce_implIS3_PKS6_PS6_PKlS6_N6hipcub16HIPCUB_304000_NS6detail27convert_result_type_wrapperISA_SB_N2at6native12_GLOBAL__N_19CustomMaxEEEEE10hipError_tPvRmT0_T1_jT2_SS_T4_T3_P12ihipStream_tbEUlT_E_NS1_11comp_targetILNS1_3genE10ELNS1_11target_archE1201ELNS1_3gpuE5ELNS1_3repE0EEENS1_30default_config_static_selectorELNS0_4arch9wavefront6targetE0EEEvSR_,comdat
.Lfunc_end249:
	.size	_ZN7rocprim17ROCPRIM_400000_NS6detail17trampoline_kernelINS0_14default_configENS1_32segmented_reduce_config_selectorIN3c108BFloat16EEEZNS1_21segmented_reduce_implIS3_PKS6_PS6_PKlS6_N6hipcub16HIPCUB_304000_NS6detail27convert_result_type_wrapperISA_SB_N2at6native12_GLOBAL__N_19CustomMaxEEEEE10hipError_tPvRmT0_T1_jT2_SS_T4_T3_P12ihipStream_tbEUlT_E_NS1_11comp_targetILNS1_3genE10ELNS1_11target_archE1201ELNS1_3gpuE5ELNS1_3repE0EEENS1_30default_config_static_selectorELNS0_4arch9wavefront6targetE0EEEvSR_, .Lfunc_end249-_ZN7rocprim17ROCPRIM_400000_NS6detail17trampoline_kernelINS0_14default_configENS1_32segmented_reduce_config_selectorIN3c108BFloat16EEEZNS1_21segmented_reduce_implIS3_PKS6_PS6_PKlS6_N6hipcub16HIPCUB_304000_NS6detail27convert_result_type_wrapperISA_SB_N2at6native12_GLOBAL__N_19CustomMaxEEEEE10hipError_tPvRmT0_T1_jT2_SS_T4_T3_P12ihipStream_tbEUlT_E_NS1_11comp_targetILNS1_3genE10ELNS1_11target_archE1201ELNS1_3gpuE5ELNS1_3repE0EEENS1_30default_config_static_selectorELNS0_4arch9wavefront6targetE0EEEvSR_
                                        ; -- End function
	.set _ZN7rocprim17ROCPRIM_400000_NS6detail17trampoline_kernelINS0_14default_configENS1_32segmented_reduce_config_selectorIN3c108BFloat16EEEZNS1_21segmented_reduce_implIS3_PKS6_PS6_PKlS6_N6hipcub16HIPCUB_304000_NS6detail27convert_result_type_wrapperISA_SB_N2at6native12_GLOBAL__N_19CustomMaxEEEEE10hipError_tPvRmT0_T1_jT2_SS_T4_T3_P12ihipStream_tbEUlT_E_NS1_11comp_targetILNS1_3genE10ELNS1_11target_archE1201ELNS1_3gpuE5ELNS1_3repE0EEENS1_30default_config_static_selectorELNS0_4arch9wavefront6targetE0EEEvSR_.num_vgpr, 0
	.set _ZN7rocprim17ROCPRIM_400000_NS6detail17trampoline_kernelINS0_14default_configENS1_32segmented_reduce_config_selectorIN3c108BFloat16EEEZNS1_21segmented_reduce_implIS3_PKS6_PS6_PKlS6_N6hipcub16HIPCUB_304000_NS6detail27convert_result_type_wrapperISA_SB_N2at6native12_GLOBAL__N_19CustomMaxEEEEE10hipError_tPvRmT0_T1_jT2_SS_T4_T3_P12ihipStream_tbEUlT_E_NS1_11comp_targetILNS1_3genE10ELNS1_11target_archE1201ELNS1_3gpuE5ELNS1_3repE0EEENS1_30default_config_static_selectorELNS0_4arch9wavefront6targetE0EEEvSR_.num_agpr, 0
	.set _ZN7rocprim17ROCPRIM_400000_NS6detail17trampoline_kernelINS0_14default_configENS1_32segmented_reduce_config_selectorIN3c108BFloat16EEEZNS1_21segmented_reduce_implIS3_PKS6_PS6_PKlS6_N6hipcub16HIPCUB_304000_NS6detail27convert_result_type_wrapperISA_SB_N2at6native12_GLOBAL__N_19CustomMaxEEEEE10hipError_tPvRmT0_T1_jT2_SS_T4_T3_P12ihipStream_tbEUlT_E_NS1_11comp_targetILNS1_3genE10ELNS1_11target_archE1201ELNS1_3gpuE5ELNS1_3repE0EEENS1_30default_config_static_selectorELNS0_4arch9wavefront6targetE0EEEvSR_.numbered_sgpr, 0
	.set _ZN7rocprim17ROCPRIM_400000_NS6detail17trampoline_kernelINS0_14default_configENS1_32segmented_reduce_config_selectorIN3c108BFloat16EEEZNS1_21segmented_reduce_implIS3_PKS6_PS6_PKlS6_N6hipcub16HIPCUB_304000_NS6detail27convert_result_type_wrapperISA_SB_N2at6native12_GLOBAL__N_19CustomMaxEEEEE10hipError_tPvRmT0_T1_jT2_SS_T4_T3_P12ihipStream_tbEUlT_E_NS1_11comp_targetILNS1_3genE10ELNS1_11target_archE1201ELNS1_3gpuE5ELNS1_3repE0EEENS1_30default_config_static_selectorELNS0_4arch9wavefront6targetE0EEEvSR_.num_named_barrier, 0
	.set _ZN7rocprim17ROCPRIM_400000_NS6detail17trampoline_kernelINS0_14default_configENS1_32segmented_reduce_config_selectorIN3c108BFloat16EEEZNS1_21segmented_reduce_implIS3_PKS6_PS6_PKlS6_N6hipcub16HIPCUB_304000_NS6detail27convert_result_type_wrapperISA_SB_N2at6native12_GLOBAL__N_19CustomMaxEEEEE10hipError_tPvRmT0_T1_jT2_SS_T4_T3_P12ihipStream_tbEUlT_E_NS1_11comp_targetILNS1_3genE10ELNS1_11target_archE1201ELNS1_3gpuE5ELNS1_3repE0EEENS1_30default_config_static_selectorELNS0_4arch9wavefront6targetE0EEEvSR_.private_seg_size, 0
	.set _ZN7rocprim17ROCPRIM_400000_NS6detail17trampoline_kernelINS0_14default_configENS1_32segmented_reduce_config_selectorIN3c108BFloat16EEEZNS1_21segmented_reduce_implIS3_PKS6_PS6_PKlS6_N6hipcub16HIPCUB_304000_NS6detail27convert_result_type_wrapperISA_SB_N2at6native12_GLOBAL__N_19CustomMaxEEEEE10hipError_tPvRmT0_T1_jT2_SS_T4_T3_P12ihipStream_tbEUlT_E_NS1_11comp_targetILNS1_3genE10ELNS1_11target_archE1201ELNS1_3gpuE5ELNS1_3repE0EEENS1_30default_config_static_selectorELNS0_4arch9wavefront6targetE0EEEvSR_.uses_vcc, 0
	.set _ZN7rocprim17ROCPRIM_400000_NS6detail17trampoline_kernelINS0_14default_configENS1_32segmented_reduce_config_selectorIN3c108BFloat16EEEZNS1_21segmented_reduce_implIS3_PKS6_PS6_PKlS6_N6hipcub16HIPCUB_304000_NS6detail27convert_result_type_wrapperISA_SB_N2at6native12_GLOBAL__N_19CustomMaxEEEEE10hipError_tPvRmT0_T1_jT2_SS_T4_T3_P12ihipStream_tbEUlT_E_NS1_11comp_targetILNS1_3genE10ELNS1_11target_archE1201ELNS1_3gpuE5ELNS1_3repE0EEENS1_30default_config_static_selectorELNS0_4arch9wavefront6targetE0EEEvSR_.uses_flat_scratch, 0
	.set _ZN7rocprim17ROCPRIM_400000_NS6detail17trampoline_kernelINS0_14default_configENS1_32segmented_reduce_config_selectorIN3c108BFloat16EEEZNS1_21segmented_reduce_implIS3_PKS6_PS6_PKlS6_N6hipcub16HIPCUB_304000_NS6detail27convert_result_type_wrapperISA_SB_N2at6native12_GLOBAL__N_19CustomMaxEEEEE10hipError_tPvRmT0_T1_jT2_SS_T4_T3_P12ihipStream_tbEUlT_E_NS1_11comp_targetILNS1_3genE10ELNS1_11target_archE1201ELNS1_3gpuE5ELNS1_3repE0EEENS1_30default_config_static_selectorELNS0_4arch9wavefront6targetE0EEEvSR_.has_dyn_sized_stack, 0
	.set _ZN7rocprim17ROCPRIM_400000_NS6detail17trampoline_kernelINS0_14default_configENS1_32segmented_reduce_config_selectorIN3c108BFloat16EEEZNS1_21segmented_reduce_implIS3_PKS6_PS6_PKlS6_N6hipcub16HIPCUB_304000_NS6detail27convert_result_type_wrapperISA_SB_N2at6native12_GLOBAL__N_19CustomMaxEEEEE10hipError_tPvRmT0_T1_jT2_SS_T4_T3_P12ihipStream_tbEUlT_E_NS1_11comp_targetILNS1_3genE10ELNS1_11target_archE1201ELNS1_3gpuE5ELNS1_3repE0EEENS1_30default_config_static_selectorELNS0_4arch9wavefront6targetE0EEEvSR_.has_recursion, 0
	.set _ZN7rocprim17ROCPRIM_400000_NS6detail17trampoline_kernelINS0_14default_configENS1_32segmented_reduce_config_selectorIN3c108BFloat16EEEZNS1_21segmented_reduce_implIS3_PKS6_PS6_PKlS6_N6hipcub16HIPCUB_304000_NS6detail27convert_result_type_wrapperISA_SB_N2at6native12_GLOBAL__N_19CustomMaxEEEEE10hipError_tPvRmT0_T1_jT2_SS_T4_T3_P12ihipStream_tbEUlT_E_NS1_11comp_targetILNS1_3genE10ELNS1_11target_archE1201ELNS1_3gpuE5ELNS1_3repE0EEENS1_30default_config_static_selectorELNS0_4arch9wavefront6targetE0EEEvSR_.has_indirect_call, 0
	.section	.AMDGPU.csdata,"",@progbits
; Kernel info:
; codeLenInByte = 0
; TotalNumSgprs: 0
; NumVgprs: 0
; ScratchSize: 0
; MemoryBound: 0
; FloatMode: 240
; IeeeMode: 1
; LDSByteSize: 0 bytes/workgroup (compile time only)
; SGPRBlocks: 0
; VGPRBlocks: 0
; NumSGPRsForWavesPerEU: 1
; NumVGPRsForWavesPerEU: 1
; Occupancy: 16
; WaveLimiterHint : 0
; COMPUTE_PGM_RSRC2:SCRATCH_EN: 0
; COMPUTE_PGM_RSRC2:USER_SGPR: 6
; COMPUTE_PGM_RSRC2:TRAP_HANDLER: 0
; COMPUTE_PGM_RSRC2:TGID_X_EN: 1
; COMPUTE_PGM_RSRC2:TGID_Y_EN: 0
; COMPUTE_PGM_RSRC2:TGID_Z_EN: 0
; COMPUTE_PGM_RSRC2:TIDIG_COMP_CNT: 0
	.section	.text._ZN7rocprim17ROCPRIM_400000_NS6detail17trampoline_kernelINS0_14default_configENS1_32segmented_reduce_config_selectorIN3c108BFloat16EEEZNS1_21segmented_reduce_implIS3_PKS6_PS6_PKlS6_N6hipcub16HIPCUB_304000_NS6detail27convert_result_type_wrapperISA_SB_N2at6native12_GLOBAL__N_19CustomMaxEEEEE10hipError_tPvRmT0_T1_jT2_SS_T4_T3_P12ihipStream_tbEUlT_E_NS1_11comp_targetILNS1_3genE4ELNS1_11target_archE910ELNS1_3gpuE8ELNS1_3repE0EEENS1_30default_config_static_selectorELNS0_4arch9wavefront6targetE0EEEvSR_,"axG",@progbits,_ZN7rocprim17ROCPRIM_400000_NS6detail17trampoline_kernelINS0_14default_configENS1_32segmented_reduce_config_selectorIN3c108BFloat16EEEZNS1_21segmented_reduce_implIS3_PKS6_PS6_PKlS6_N6hipcub16HIPCUB_304000_NS6detail27convert_result_type_wrapperISA_SB_N2at6native12_GLOBAL__N_19CustomMaxEEEEE10hipError_tPvRmT0_T1_jT2_SS_T4_T3_P12ihipStream_tbEUlT_E_NS1_11comp_targetILNS1_3genE4ELNS1_11target_archE910ELNS1_3gpuE8ELNS1_3repE0EEENS1_30default_config_static_selectorELNS0_4arch9wavefront6targetE0EEEvSR_,comdat
	.globl	_ZN7rocprim17ROCPRIM_400000_NS6detail17trampoline_kernelINS0_14default_configENS1_32segmented_reduce_config_selectorIN3c108BFloat16EEEZNS1_21segmented_reduce_implIS3_PKS6_PS6_PKlS6_N6hipcub16HIPCUB_304000_NS6detail27convert_result_type_wrapperISA_SB_N2at6native12_GLOBAL__N_19CustomMaxEEEEE10hipError_tPvRmT0_T1_jT2_SS_T4_T3_P12ihipStream_tbEUlT_E_NS1_11comp_targetILNS1_3genE4ELNS1_11target_archE910ELNS1_3gpuE8ELNS1_3repE0EEENS1_30default_config_static_selectorELNS0_4arch9wavefront6targetE0EEEvSR_ ; -- Begin function _ZN7rocprim17ROCPRIM_400000_NS6detail17trampoline_kernelINS0_14default_configENS1_32segmented_reduce_config_selectorIN3c108BFloat16EEEZNS1_21segmented_reduce_implIS3_PKS6_PS6_PKlS6_N6hipcub16HIPCUB_304000_NS6detail27convert_result_type_wrapperISA_SB_N2at6native12_GLOBAL__N_19CustomMaxEEEEE10hipError_tPvRmT0_T1_jT2_SS_T4_T3_P12ihipStream_tbEUlT_E_NS1_11comp_targetILNS1_3genE4ELNS1_11target_archE910ELNS1_3gpuE8ELNS1_3repE0EEENS1_30default_config_static_selectorELNS0_4arch9wavefront6targetE0EEEvSR_
	.p2align	8
	.type	_ZN7rocprim17ROCPRIM_400000_NS6detail17trampoline_kernelINS0_14default_configENS1_32segmented_reduce_config_selectorIN3c108BFloat16EEEZNS1_21segmented_reduce_implIS3_PKS6_PS6_PKlS6_N6hipcub16HIPCUB_304000_NS6detail27convert_result_type_wrapperISA_SB_N2at6native12_GLOBAL__N_19CustomMaxEEEEE10hipError_tPvRmT0_T1_jT2_SS_T4_T3_P12ihipStream_tbEUlT_E_NS1_11comp_targetILNS1_3genE4ELNS1_11target_archE910ELNS1_3gpuE8ELNS1_3repE0EEENS1_30default_config_static_selectorELNS0_4arch9wavefront6targetE0EEEvSR_,@function
_ZN7rocprim17ROCPRIM_400000_NS6detail17trampoline_kernelINS0_14default_configENS1_32segmented_reduce_config_selectorIN3c108BFloat16EEEZNS1_21segmented_reduce_implIS3_PKS6_PS6_PKlS6_N6hipcub16HIPCUB_304000_NS6detail27convert_result_type_wrapperISA_SB_N2at6native12_GLOBAL__N_19CustomMaxEEEEE10hipError_tPvRmT0_T1_jT2_SS_T4_T3_P12ihipStream_tbEUlT_E_NS1_11comp_targetILNS1_3genE4ELNS1_11target_archE910ELNS1_3gpuE8ELNS1_3repE0EEENS1_30default_config_static_selectorELNS0_4arch9wavefront6targetE0EEEvSR_: ; @_ZN7rocprim17ROCPRIM_400000_NS6detail17trampoline_kernelINS0_14default_configENS1_32segmented_reduce_config_selectorIN3c108BFloat16EEEZNS1_21segmented_reduce_implIS3_PKS6_PS6_PKlS6_N6hipcub16HIPCUB_304000_NS6detail27convert_result_type_wrapperISA_SB_N2at6native12_GLOBAL__N_19CustomMaxEEEEE10hipError_tPvRmT0_T1_jT2_SS_T4_T3_P12ihipStream_tbEUlT_E_NS1_11comp_targetILNS1_3genE4ELNS1_11target_archE910ELNS1_3gpuE8ELNS1_3repE0EEENS1_30default_config_static_selectorELNS0_4arch9wavefront6targetE0EEEvSR_
; %bb.0:
	.section	.rodata,"a",@progbits
	.p2align	6, 0x0
	.amdhsa_kernel _ZN7rocprim17ROCPRIM_400000_NS6detail17trampoline_kernelINS0_14default_configENS1_32segmented_reduce_config_selectorIN3c108BFloat16EEEZNS1_21segmented_reduce_implIS3_PKS6_PS6_PKlS6_N6hipcub16HIPCUB_304000_NS6detail27convert_result_type_wrapperISA_SB_N2at6native12_GLOBAL__N_19CustomMaxEEEEE10hipError_tPvRmT0_T1_jT2_SS_T4_T3_P12ihipStream_tbEUlT_E_NS1_11comp_targetILNS1_3genE4ELNS1_11target_archE910ELNS1_3gpuE8ELNS1_3repE0EEENS1_30default_config_static_selectorELNS0_4arch9wavefront6targetE0EEEvSR_
		.amdhsa_group_segment_fixed_size 0
		.amdhsa_private_segment_fixed_size 0
		.amdhsa_kernarg_size 48
		.amdhsa_user_sgpr_count 6
		.amdhsa_user_sgpr_private_segment_buffer 1
		.amdhsa_user_sgpr_dispatch_ptr 0
		.amdhsa_user_sgpr_queue_ptr 0
		.amdhsa_user_sgpr_kernarg_segment_ptr 1
		.amdhsa_user_sgpr_dispatch_id 0
		.amdhsa_user_sgpr_flat_scratch_init 0
		.amdhsa_user_sgpr_private_segment_size 0
		.amdhsa_wavefront_size32 1
		.amdhsa_uses_dynamic_stack 0
		.amdhsa_system_sgpr_private_segment_wavefront_offset 0
		.amdhsa_system_sgpr_workgroup_id_x 1
		.amdhsa_system_sgpr_workgroup_id_y 0
		.amdhsa_system_sgpr_workgroup_id_z 0
		.amdhsa_system_sgpr_workgroup_info 0
		.amdhsa_system_vgpr_workitem_id 0
		.amdhsa_next_free_vgpr 1
		.amdhsa_next_free_sgpr 1
		.amdhsa_reserve_vcc 0
		.amdhsa_reserve_flat_scratch 0
		.amdhsa_float_round_mode_32 0
		.amdhsa_float_round_mode_16_64 0
		.amdhsa_float_denorm_mode_32 3
		.amdhsa_float_denorm_mode_16_64 3
		.amdhsa_dx10_clamp 1
		.amdhsa_ieee_mode 1
		.amdhsa_fp16_overflow 0
		.amdhsa_workgroup_processor_mode 1
		.amdhsa_memory_ordered 1
		.amdhsa_forward_progress 1
		.amdhsa_shared_vgpr_count 0
		.amdhsa_exception_fp_ieee_invalid_op 0
		.amdhsa_exception_fp_denorm_src 0
		.amdhsa_exception_fp_ieee_div_zero 0
		.amdhsa_exception_fp_ieee_overflow 0
		.amdhsa_exception_fp_ieee_underflow 0
		.amdhsa_exception_fp_ieee_inexact 0
		.amdhsa_exception_int_div_zero 0
	.end_amdhsa_kernel
	.section	.text._ZN7rocprim17ROCPRIM_400000_NS6detail17trampoline_kernelINS0_14default_configENS1_32segmented_reduce_config_selectorIN3c108BFloat16EEEZNS1_21segmented_reduce_implIS3_PKS6_PS6_PKlS6_N6hipcub16HIPCUB_304000_NS6detail27convert_result_type_wrapperISA_SB_N2at6native12_GLOBAL__N_19CustomMaxEEEEE10hipError_tPvRmT0_T1_jT2_SS_T4_T3_P12ihipStream_tbEUlT_E_NS1_11comp_targetILNS1_3genE4ELNS1_11target_archE910ELNS1_3gpuE8ELNS1_3repE0EEENS1_30default_config_static_selectorELNS0_4arch9wavefront6targetE0EEEvSR_,"axG",@progbits,_ZN7rocprim17ROCPRIM_400000_NS6detail17trampoline_kernelINS0_14default_configENS1_32segmented_reduce_config_selectorIN3c108BFloat16EEEZNS1_21segmented_reduce_implIS3_PKS6_PS6_PKlS6_N6hipcub16HIPCUB_304000_NS6detail27convert_result_type_wrapperISA_SB_N2at6native12_GLOBAL__N_19CustomMaxEEEEE10hipError_tPvRmT0_T1_jT2_SS_T4_T3_P12ihipStream_tbEUlT_E_NS1_11comp_targetILNS1_3genE4ELNS1_11target_archE910ELNS1_3gpuE8ELNS1_3repE0EEENS1_30default_config_static_selectorELNS0_4arch9wavefront6targetE0EEEvSR_,comdat
.Lfunc_end250:
	.size	_ZN7rocprim17ROCPRIM_400000_NS6detail17trampoline_kernelINS0_14default_configENS1_32segmented_reduce_config_selectorIN3c108BFloat16EEEZNS1_21segmented_reduce_implIS3_PKS6_PS6_PKlS6_N6hipcub16HIPCUB_304000_NS6detail27convert_result_type_wrapperISA_SB_N2at6native12_GLOBAL__N_19CustomMaxEEEEE10hipError_tPvRmT0_T1_jT2_SS_T4_T3_P12ihipStream_tbEUlT_E_NS1_11comp_targetILNS1_3genE4ELNS1_11target_archE910ELNS1_3gpuE8ELNS1_3repE0EEENS1_30default_config_static_selectorELNS0_4arch9wavefront6targetE0EEEvSR_, .Lfunc_end250-_ZN7rocprim17ROCPRIM_400000_NS6detail17trampoline_kernelINS0_14default_configENS1_32segmented_reduce_config_selectorIN3c108BFloat16EEEZNS1_21segmented_reduce_implIS3_PKS6_PS6_PKlS6_N6hipcub16HIPCUB_304000_NS6detail27convert_result_type_wrapperISA_SB_N2at6native12_GLOBAL__N_19CustomMaxEEEEE10hipError_tPvRmT0_T1_jT2_SS_T4_T3_P12ihipStream_tbEUlT_E_NS1_11comp_targetILNS1_3genE4ELNS1_11target_archE910ELNS1_3gpuE8ELNS1_3repE0EEENS1_30default_config_static_selectorELNS0_4arch9wavefront6targetE0EEEvSR_
                                        ; -- End function
	.set _ZN7rocprim17ROCPRIM_400000_NS6detail17trampoline_kernelINS0_14default_configENS1_32segmented_reduce_config_selectorIN3c108BFloat16EEEZNS1_21segmented_reduce_implIS3_PKS6_PS6_PKlS6_N6hipcub16HIPCUB_304000_NS6detail27convert_result_type_wrapperISA_SB_N2at6native12_GLOBAL__N_19CustomMaxEEEEE10hipError_tPvRmT0_T1_jT2_SS_T4_T3_P12ihipStream_tbEUlT_E_NS1_11comp_targetILNS1_3genE4ELNS1_11target_archE910ELNS1_3gpuE8ELNS1_3repE0EEENS1_30default_config_static_selectorELNS0_4arch9wavefront6targetE0EEEvSR_.num_vgpr, 0
	.set _ZN7rocprim17ROCPRIM_400000_NS6detail17trampoline_kernelINS0_14default_configENS1_32segmented_reduce_config_selectorIN3c108BFloat16EEEZNS1_21segmented_reduce_implIS3_PKS6_PS6_PKlS6_N6hipcub16HIPCUB_304000_NS6detail27convert_result_type_wrapperISA_SB_N2at6native12_GLOBAL__N_19CustomMaxEEEEE10hipError_tPvRmT0_T1_jT2_SS_T4_T3_P12ihipStream_tbEUlT_E_NS1_11comp_targetILNS1_3genE4ELNS1_11target_archE910ELNS1_3gpuE8ELNS1_3repE0EEENS1_30default_config_static_selectorELNS0_4arch9wavefront6targetE0EEEvSR_.num_agpr, 0
	.set _ZN7rocprim17ROCPRIM_400000_NS6detail17trampoline_kernelINS0_14default_configENS1_32segmented_reduce_config_selectorIN3c108BFloat16EEEZNS1_21segmented_reduce_implIS3_PKS6_PS6_PKlS6_N6hipcub16HIPCUB_304000_NS6detail27convert_result_type_wrapperISA_SB_N2at6native12_GLOBAL__N_19CustomMaxEEEEE10hipError_tPvRmT0_T1_jT2_SS_T4_T3_P12ihipStream_tbEUlT_E_NS1_11comp_targetILNS1_3genE4ELNS1_11target_archE910ELNS1_3gpuE8ELNS1_3repE0EEENS1_30default_config_static_selectorELNS0_4arch9wavefront6targetE0EEEvSR_.numbered_sgpr, 0
	.set _ZN7rocprim17ROCPRIM_400000_NS6detail17trampoline_kernelINS0_14default_configENS1_32segmented_reduce_config_selectorIN3c108BFloat16EEEZNS1_21segmented_reduce_implIS3_PKS6_PS6_PKlS6_N6hipcub16HIPCUB_304000_NS6detail27convert_result_type_wrapperISA_SB_N2at6native12_GLOBAL__N_19CustomMaxEEEEE10hipError_tPvRmT0_T1_jT2_SS_T4_T3_P12ihipStream_tbEUlT_E_NS1_11comp_targetILNS1_3genE4ELNS1_11target_archE910ELNS1_3gpuE8ELNS1_3repE0EEENS1_30default_config_static_selectorELNS0_4arch9wavefront6targetE0EEEvSR_.num_named_barrier, 0
	.set _ZN7rocprim17ROCPRIM_400000_NS6detail17trampoline_kernelINS0_14default_configENS1_32segmented_reduce_config_selectorIN3c108BFloat16EEEZNS1_21segmented_reduce_implIS3_PKS6_PS6_PKlS6_N6hipcub16HIPCUB_304000_NS6detail27convert_result_type_wrapperISA_SB_N2at6native12_GLOBAL__N_19CustomMaxEEEEE10hipError_tPvRmT0_T1_jT2_SS_T4_T3_P12ihipStream_tbEUlT_E_NS1_11comp_targetILNS1_3genE4ELNS1_11target_archE910ELNS1_3gpuE8ELNS1_3repE0EEENS1_30default_config_static_selectorELNS0_4arch9wavefront6targetE0EEEvSR_.private_seg_size, 0
	.set _ZN7rocprim17ROCPRIM_400000_NS6detail17trampoline_kernelINS0_14default_configENS1_32segmented_reduce_config_selectorIN3c108BFloat16EEEZNS1_21segmented_reduce_implIS3_PKS6_PS6_PKlS6_N6hipcub16HIPCUB_304000_NS6detail27convert_result_type_wrapperISA_SB_N2at6native12_GLOBAL__N_19CustomMaxEEEEE10hipError_tPvRmT0_T1_jT2_SS_T4_T3_P12ihipStream_tbEUlT_E_NS1_11comp_targetILNS1_3genE4ELNS1_11target_archE910ELNS1_3gpuE8ELNS1_3repE0EEENS1_30default_config_static_selectorELNS0_4arch9wavefront6targetE0EEEvSR_.uses_vcc, 0
	.set _ZN7rocprim17ROCPRIM_400000_NS6detail17trampoline_kernelINS0_14default_configENS1_32segmented_reduce_config_selectorIN3c108BFloat16EEEZNS1_21segmented_reduce_implIS3_PKS6_PS6_PKlS6_N6hipcub16HIPCUB_304000_NS6detail27convert_result_type_wrapperISA_SB_N2at6native12_GLOBAL__N_19CustomMaxEEEEE10hipError_tPvRmT0_T1_jT2_SS_T4_T3_P12ihipStream_tbEUlT_E_NS1_11comp_targetILNS1_3genE4ELNS1_11target_archE910ELNS1_3gpuE8ELNS1_3repE0EEENS1_30default_config_static_selectorELNS0_4arch9wavefront6targetE0EEEvSR_.uses_flat_scratch, 0
	.set _ZN7rocprim17ROCPRIM_400000_NS6detail17trampoline_kernelINS0_14default_configENS1_32segmented_reduce_config_selectorIN3c108BFloat16EEEZNS1_21segmented_reduce_implIS3_PKS6_PS6_PKlS6_N6hipcub16HIPCUB_304000_NS6detail27convert_result_type_wrapperISA_SB_N2at6native12_GLOBAL__N_19CustomMaxEEEEE10hipError_tPvRmT0_T1_jT2_SS_T4_T3_P12ihipStream_tbEUlT_E_NS1_11comp_targetILNS1_3genE4ELNS1_11target_archE910ELNS1_3gpuE8ELNS1_3repE0EEENS1_30default_config_static_selectorELNS0_4arch9wavefront6targetE0EEEvSR_.has_dyn_sized_stack, 0
	.set _ZN7rocprim17ROCPRIM_400000_NS6detail17trampoline_kernelINS0_14default_configENS1_32segmented_reduce_config_selectorIN3c108BFloat16EEEZNS1_21segmented_reduce_implIS3_PKS6_PS6_PKlS6_N6hipcub16HIPCUB_304000_NS6detail27convert_result_type_wrapperISA_SB_N2at6native12_GLOBAL__N_19CustomMaxEEEEE10hipError_tPvRmT0_T1_jT2_SS_T4_T3_P12ihipStream_tbEUlT_E_NS1_11comp_targetILNS1_3genE4ELNS1_11target_archE910ELNS1_3gpuE8ELNS1_3repE0EEENS1_30default_config_static_selectorELNS0_4arch9wavefront6targetE0EEEvSR_.has_recursion, 0
	.set _ZN7rocprim17ROCPRIM_400000_NS6detail17trampoline_kernelINS0_14default_configENS1_32segmented_reduce_config_selectorIN3c108BFloat16EEEZNS1_21segmented_reduce_implIS3_PKS6_PS6_PKlS6_N6hipcub16HIPCUB_304000_NS6detail27convert_result_type_wrapperISA_SB_N2at6native12_GLOBAL__N_19CustomMaxEEEEE10hipError_tPvRmT0_T1_jT2_SS_T4_T3_P12ihipStream_tbEUlT_E_NS1_11comp_targetILNS1_3genE4ELNS1_11target_archE910ELNS1_3gpuE8ELNS1_3repE0EEENS1_30default_config_static_selectorELNS0_4arch9wavefront6targetE0EEEvSR_.has_indirect_call, 0
	.section	.AMDGPU.csdata,"",@progbits
; Kernel info:
; codeLenInByte = 0
; TotalNumSgprs: 0
; NumVgprs: 0
; ScratchSize: 0
; MemoryBound: 0
; FloatMode: 240
; IeeeMode: 1
; LDSByteSize: 0 bytes/workgroup (compile time only)
; SGPRBlocks: 0
; VGPRBlocks: 0
; NumSGPRsForWavesPerEU: 1
; NumVGPRsForWavesPerEU: 1
; Occupancy: 16
; WaveLimiterHint : 0
; COMPUTE_PGM_RSRC2:SCRATCH_EN: 0
; COMPUTE_PGM_RSRC2:USER_SGPR: 6
; COMPUTE_PGM_RSRC2:TRAP_HANDLER: 0
; COMPUTE_PGM_RSRC2:TGID_X_EN: 1
; COMPUTE_PGM_RSRC2:TGID_Y_EN: 0
; COMPUTE_PGM_RSRC2:TGID_Z_EN: 0
; COMPUTE_PGM_RSRC2:TIDIG_COMP_CNT: 0
	.section	.text._ZN7rocprim17ROCPRIM_400000_NS6detail17trampoline_kernelINS0_14default_configENS1_32segmented_reduce_config_selectorIN3c108BFloat16EEEZNS1_21segmented_reduce_implIS3_PKS6_PS6_PKlS6_N6hipcub16HIPCUB_304000_NS6detail27convert_result_type_wrapperISA_SB_N2at6native12_GLOBAL__N_19CustomMaxEEEEE10hipError_tPvRmT0_T1_jT2_SS_T4_T3_P12ihipStream_tbEUlT_E_NS1_11comp_targetILNS1_3genE3ELNS1_11target_archE908ELNS1_3gpuE7ELNS1_3repE0EEENS1_30default_config_static_selectorELNS0_4arch9wavefront6targetE0EEEvSR_,"axG",@progbits,_ZN7rocprim17ROCPRIM_400000_NS6detail17trampoline_kernelINS0_14default_configENS1_32segmented_reduce_config_selectorIN3c108BFloat16EEEZNS1_21segmented_reduce_implIS3_PKS6_PS6_PKlS6_N6hipcub16HIPCUB_304000_NS6detail27convert_result_type_wrapperISA_SB_N2at6native12_GLOBAL__N_19CustomMaxEEEEE10hipError_tPvRmT0_T1_jT2_SS_T4_T3_P12ihipStream_tbEUlT_E_NS1_11comp_targetILNS1_3genE3ELNS1_11target_archE908ELNS1_3gpuE7ELNS1_3repE0EEENS1_30default_config_static_selectorELNS0_4arch9wavefront6targetE0EEEvSR_,comdat
	.globl	_ZN7rocprim17ROCPRIM_400000_NS6detail17trampoline_kernelINS0_14default_configENS1_32segmented_reduce_config_selectorIN3c108BFloat16EEEZNS1_21segmented_reduce_implIS3_PKS6_PS6_PKlS6_N6hipcub16HIPCUB_304000_NS6detail27convert_result_type_wrapperISA_SB_N2at6native12_GLOBAL__N_19CustomMaxEEEEE10hipError_tPvRmT0_T1_jT2_SS_T4_T3_P12ihipStream_tbEUlT_E_NS1_11comp_targetILNS1_3genE3ELNS1_11target_archE908ELNS1_3gpuE7ELNS1_3repE0EEENS1_30default_config_static_selectorELNS0_4arch9wavefront6targetE0EEEvSR_ ; -- Begin function _ZN7rocprim17ROCPRIM_400000_NS6detail17trampoline_kernelINS0_14default_configENS1_32segmented_reduce_config_selectorIN3c108BFloat16EEEZNS1_21segmented_reduce_implIS3_PKS6_PS6_PKlS6_N6hipcub16HIPCUB_304000_NS6detail27convert_result_type_wrapperISA_SB_N2at6native12_GLOBAL__N_19CustomMaxEEEEE10hipError_tPvRmT0_T1_jT2_SS_T4_T3_P12ihipStream_tbEUlT_E_NS1_11comp_targetILNS1_3genE3ELNS1_11target_archE908ELNS1_3gpuE7ELNS1_3repE0EEENS1_30default_config_static_selectorELNS0_4arch9wavefront6targetE0EEEvSR_
	.p2align	8
	.type	_ZN7rocprim17ROCPRIM_400000_NS6detail17trampoline_kernelINS0_14default_configENS1_32segmented_reduce_config_selectorIN3c108BFloat16EEEZNS1_21segmented_reduce_implIS3_PKS6_PS6_PKlS6_N6hipcub16HIPCUB_304000_NS6detail27convert_result_type_wrapperISA_SB_N2at6native12_GLOBAL__N_19CustomMaxEEEEE10hipError_tPvRmT0_T1_jT2_SS_T4_T3_P12ihipStream_tbEUlT_E_NS1_11comp_targetILNS1_3genE3ELNS1_11target_archE908ELNS1_3gpuE7ELNS1_3repE0EEENS1_30default_config_static_selectorELNS0_4arch9wavefront6targetE0EEEvSR_,@function
_ZN7rocprim17ROCPRIM_400000_NS6detail17trampoline_kernelINS0_14default_configENS1_32segmented_reduce_config_selectorIN3c108BFloat16EEEZNS1_21segmented_reduce_implIS3_PKS6_PS6_PKlS6_N6hipcub16HIPCUB_304000_NS6detail27convert_result_type_wrapperISA_SB_N2at6native12_GLOBAL__N_19CustomMaxEEEEE10hipError_tPvRmT0_T1_jT2_SS_T4_T3_P12ihipStream_tbEUlT_E_NS1_11comp_targetILNS1_3genE3ELNS1_11target_archE908ELNS1_3gpuE7ELNS1_3repE0EEENS1_30default_config_static_selectorELNS0_4arch9wavefront6targetE0EEEvSR_: ; @_ZN7rocprim17ROCPRIM_400000_NS6detail17trampoline_kernelINS0_14default_configENS1_32segmented_reduce_config_selectorIN3c108BFloat16EEEZNS1_21segmented_reduce_implIS3_PKS6_PS6_PKlS6_N6hipcub16HIPCUB_304000_NS6detail27convert_result_type_wrapperISA_SB_N2at6native12_GLOBAL__N_19CustomMaxEEEEE10hipError_tPvRmT0_T1_jT2_SS_T4_T3_P12ihipStream_tbEUlT_E_NS1_11comp_targetILNS1_3genE3ELNS1_11target_archE908ELNS1_3gpuE7ELNS1_3repE0EEENS1_30default_config_static_selectorELNS0_4arch9wavefront6targetE0EEEvSR_
; %bb.0:
	.section	.rodata,"a",@progbits
	.p2align	6, 0x0
	.amdhsa_kernel _ZN7rocprim17ROCPRIM_400000_NS6detail17trampoline_kernelINS0_14default_configENS1_32segmented_reduce_config_selectorIN3c108BFloat16EEEZNS1_21segmented_reduce_implIS3_PKS6_PS6_PKlS6_N6hipcub16HIPCUB_304000_NS6detail27convert_result_type_wrapperISA_SB_N2at6native12_GLOBAL__N_19CustomMaxEEEEE10hipError_tPvRmT0_T1_jT2_SS_T4_T3_P12ihipStream_tbEUlT_E_NS1_11comp_targetILNS1_3genE3ELNS1_11target_archE908ELNS1_3gpuE7ELNS1_3repE0EEENS1_30default_config_static_selectorELNS0_4arch9wavefront6targetE0EEEvSR_
		.amdhsa_group_segment_fixed_size 0
		.amdhsa_private_segment_fixed_size 0
		.amdhsa_kernarg_size 48
		.amdhsa_user_sgpr_count 6
		.amdhsa_user_sgpr_private_segment_buffer 1
		.amdhsa_user_sgpr_dispatch_ptr 0
		.amdhsa_user_sgpr_queue_ptr 0
		.amdhsa_user_sgpr_kernarg_segment_ptr 1
		.amdhsa_user_sgpr_dispatch_id 0
		.amdhsa_user_sgpr_flat_scratch_init 0
		.amdhsa_user_sgpr_private_segment_size 0
		.amdhsa_wavefront_size32 1
		.amdhsa_uses_dynamic_stack 0
		.amdhsa_system_sgpr_private_segment_wavefront_offset 0
		.amdhsa_system_sgpr_workgroup_id_x 1
		.amdhsa_system_sgpr_workgroup_id_y 0
		.amdhsa_system_sgpr_workgroup_id_z 0
		.amdhsa_system_sgpr_workgroup_info 0
		.amdhsa_system_vgpr_workitem_id 0
		.amdhsa_next_free_vgpr 1
		.amdhsa_next_free_sgpr 1
		.amdhsa_reserve_vcc 0
		.amdhsa_reserve_flat_scratch 0
		.amdhsa_float_round_mode_32 0
		.amdhsa_float_round_mode_16_64 0
		.amdhsa_float_denorm_mode_32 3
		.amdhsa_float_denorm_mode_16_64 3
		.amdhsa_dx10_clamp 1
		.amdhsa_ieee_mode 1
		.amdhsa_fp16_overflow 0
		.amdhsa_workgroup_processor_mode 1
		.amdhsa_memory_ordered 1
		.amdhsa_forward_progress 1
		.amdhsa_shared_vgpr_count 0
		.amdhsa_exception_fp_ieee_invalid_op 0
		.amdhsa_exception_fp_denorm_src 0
		.amdhsa_exception_fp_ieee_div_zero 0
		.amdhsa_exception_fp_ieee_overflow 0
		.amdhsa_exception_fp_ieee_underflow 0
		.amdhsa_exception_fp_ieee_inexact 0
		.amdhsa_exception_int_div_zero 0
	.end_amdhsa_kernel
	.section	.text._ZN7rocprim17ROCPRIM_400000_NS6detail17trampoline_kernelINS0_14default_configENS1_32segmented_reduce_config_selectorIN3c108BFloat16EEEZNS1_21segmented_reduce_implIS3_PKS6_PS6_PKlS6_N6hipcub16HIPCUB_304000_NS6detail27convert_result_type_wrapperISA_SB_N2at6native12_GLOBAL__N_19CustomMaxEEEEE10hipError_tPvRmT0_T1_jT2_SS_T4_T3_P12ihipStream_tbEUlT_E_NS1_11comp_targetILNS1_3genE3ELNS1_11target_archE908ELNS1_3gpuE7ELNS1_3repE0EEENS1_30default_config_static_selectorELNS0_4arch9wavefront6targetE0EEEvSR_,"axG",@progbits,_ZN7rocprim17ROCPRIM_400000_NS6detail17trampoline_kernelINS0_14default_configENS1_32segmented_reduce_config_selectorIN3c108BFloat16EEEZNS1_21segmented_reduce_implIS3_PKS6_PS6_PKlS6_N6hipcub16HIPCUB_304000_NS6detail27convert_result_type_wrapperISA_SB_N2at6native12_GLOBAL__N_19CustomMaxEEEEE10hipError_tPvRmT0_T1_jT2_SS_T4_T3_P12ihipStream_tbEUlT_E_NS1_11comp_targetILNS1_3genE3ELNS1_11target_archE908ELNS1_3gpuE7ELNS1_3repE0EEENS1_30default_config_static_selectorELNS0_4arch9wavefront6targetE0EEEvSR_,comdat
.Lfunc_end251:
	.size	_ZN7rocprim17ROCPRIM_400000_NS6detail17trampoline_kernelINS0_14default_configENS1_32segmented_reduce_config_selectorIN3c108BFloat16EEEZNS1_21segmented_reduce_implIS3_PKS6_PS6_PKlS6_N6hipcub16HIPCUB_304000_NS6detail27convert_result_type_wrapperISA_SB_N2at6native12_GLOBAL__N_19CustomMaxEEEEE10hipError_tPvRmT0_T1_jT2_SS_T4_T3_P12ihipStream_tbEUlT_E_NS1_11comp_targetILNS1_3genE3ELNS1_11target_archE908ELNS1_3gpuE7ELNS1_3repE0EEENS1_30default_config_static_selectorELNS0_4arch9wavefront6targetE0EEEvSR_, .Lfunc_end251-_ZN7rocprim17ROCPRIM_400000_NS6detail17trampoline_kernelINS0_14default_configENS1_32segmented_reduce_config_selectorIN3c108BFloat16EEEZNS1_21segmented_reduce_implIS3_PKS6_PS6_PKlS6_N6hipcub16HIPCUB_304000_NS6detail27convert_result_type_wrapperISA_SB_N2at6native12_GLOBAL__N_19CustomMaxEEEEE10hipError_tPvRmT0_T1_jT2_SS_T4_T3_P12ihipStream_tbEUlT_E_NS1_11comp_targetILNS1_3genE3ELNS1_11target_archE908ELNS1_3gpuE7ELNS1_3repE0EEENS1_30default_config_static_selectorELNS0_4arch9wavefront6targetE0EEEvSR_
                                        ; -- End function
	.set _ZN7rocprim17ROCPRIM_400000_NS6detail17trampoline_kernelINS0_14default_configENS1_32segmented_reduce_config_selectorIN3c108BFloat16EEEZNS1_21segmented_reduce_implIS3_PKS6_PS6_PKlS6_N6hipcub16HIPCUB_304000_NS6detail27convert_result_type_wrapperISA_SB_N2at6native12_GLOBAL__N_19CustomMaxEEEEE10hipError_tPvRmT0_T1_jT2_SS_T4_T3_P12ihipStream_tbEUlT_E_NS1_11comp_targetILNS1_3genE3ELNS1_11target_archE908ELNS1_3gpuE7ELNS1_3repE0EEENS1_30default_config_static_selectorELNS0_4arch9wavefront6targetE0EEEvSR_.num_vgpr, 0
	.set _ZN7rocprim17ROCPRIM_400000_NS6detail17trampoline_kernelINS0_14default_configENS1_32segmented_reduce_config_selectorIN3c108BFloat16EEEZNS1_21segmented_reduce_implIS3_PKS6_PS6_PKlS6_N6hipcub16HIPCUB_304000_NS6detail27convert_result_type_wrapperISA_SB_N2at6native12_GLOBAL__N_19CustomMaxEEEEE10hipError_tPvRmT0_T1_jT2_SS_T4_T3_P12ihipStream_tbEUlT_E_NS1_11comp_targetILNS1_3genE3ELNS1_11target_archE908ELNS1_3gpuE7ELNS1_3repE0EEENS1_30default_config_static_selectorELNS0_4arch9wavefront6targetE0EEEvSR_.num_agpr, 0
	.set _ZN7rocprim17ROCPRIM_400000_NS6detail17trampoline_kernelINS0_14default_configENS1_32segmented_reduce_config_selectorIN3c108BFloat16EEEZNS1_21segmented_reduce_implIS3_PKS6_PS6_PKlS6_N6hipcub16HIPCUB_304000_NS6detail27convert_result_type_wrapperISA_SB_N2at6native12_GLOBAL__N_19CustomMaxEEEEE10hipError_tPvRmT0_T1_jT2_SS_T4_T3_P12ihipStream_tbEUlT_E_NS1_11comp_targetILNS1_3genE3ELNS1_11target_archE908ELNS1_3gpuE7ELNS1_3repE0EEENS1_30default_config_static_selectorELNS0_4arch9wavefront6targetE0EEEvSR_.numbered_sgpr, 0
	.set _ZN7rocprim17ROCPRIM_400000_NS6detail17trampoline_kernelINS0_14default_configENS1_32segmented_reduce_config_selectorIN3c108BFloat16EEEZNS1_21segmented_reduce_implIS3_PKS6_PS6_PKlS6_N6hipcub16HIPCUB_304000_NS6detail27convert_result_type_wrapperISA_SB_N2at6native12_GLOBAL__N_19CustomMaxEEEEE10hipError_tPvRmT0_T1_jT2_SS_T4_T3_P12ihipStream_tbEUlT_E_NS1_11comp_targetILNS1_3genE3ELNS1_11target_archE908ELNS1_3gpuE7ELNS1_3repE0EEENS1_30default_config_static_selectorELNS0_4arch9wavefront6targetE0EEEvSR_.num_named_barrier, 0
	.set _ZN7rocprim17ROCPRIM_400000_NS6detail17trampoline_kernelINS0_14default_configENS1_32segmented_reduce_config_selectorIN3c108BFloat16EEEZNS1_21segmented_reduce_implIS3_PKS6_PS6_PKlS6_N6hipcub16HIPCUB_304000_NS6detail27convert_result_type_wrapperISA_SB_N2at6native12_GLOBAL__N_19CustomMaxEEEEE10hipError_tPvRmT0_T1_jT2_SS_T4_T3_P12ihipStream_tbEUlT_E_NS1_11comp_targetILNS1_3genE3ELNS1_11target_archE908ELNS1_3gpuE7ELNS1_3repE0EEENS1_30default_config_static_selectorELNS0_4arch9wavefront6targetE0EEEvSR_.private_seg_size, 0
	.set _ZN7rocprim17ROCPRIM_400000_NS6detail17trampoline_kernelINS0_14default_configENS1_32segmented_reduce_config_selectorIN3c108BFloat16EEEZNS1_21segmented_reduce_implIS3_PKS6_PS6_PKlS6_N6hipcub16HIPCUB_304000_NS6detail27convert_result_type_wrapperISA_SB_N2at6native12_GLOBAL__N_19CustomMaxEEEEE10hipError_tPvRmT0_T1_jT2_SS_T4_T3_P12ihipStream_tbEUlT_E_NS1_11comp_targetILNS1_3genE3ELNS1_11target_archE908ELNS1_3gpuE7ELNS1_3repE0EEENS1_30default_config_static_selectorELNS0_4arch9wavefront6targetE0EEEvSR_.uses_vcc, 0
	.set _ZN7rocprim17ROCPRIM_400000_NS6detail17trampoline_kernelINS0_14default_configENS1_32segmented_reduce_config_selectorIN3c108BFloat16EEEZNS1_21segmented_reduce_implIS3_PKS6_PS6_PKlS6_N6hipcub16HIPCUB_304000_NS6detail27convert_result_type_wrapperISA_SB_N2at6native12_GLOBAL__N_19CustomMaxEEEEE10hipError_tPvRmT0_T1_jT2_SS_T4_T3_P12ihipStream_tbEUlT_E_NS1_11comp_targetILNS1_3genE3ELNS1_11target_archE908ELNS1_3gpuE7ELNS1_3repE0EEENS1_30default_config_static_selectorELNS0_4arch9wavefront6targetE0EEEvSR_.uses_flat_scratch, 0
	.set _ZN7rocprim17ROCPRIM_400000_NS6detail17trampoline_kernelINS0_14default_configENS1_32segmented_reduce_config_selectorIN3c108BFloat16EEEZNS1_21segmented_reduce_implIS3_PKS6_PS6_PKlS6_N6hipcub16HIPCUB_304000_NS6detail27convert_result_type_wrapperISA_SB_N2at6native12_GLOBAL__N_19CustomMaxEEEEE10hipError_tPvRmT0_T1_jT2_SS_T4_T3_P12ihipStream_tbEUlT_E_NS1_11comp_targetILNS1_3genE3ELNS1_11target_archE908ELNS1_3gpuE7ELNS1_3repE0EEENS1_30default_config_static_selectorELNS0_4arch9wavefront6targetE0EEEvSR_.has_dyn_sized_stack, 0
	.set _ZN7rocprim17ROCPRIM_400000_NS6detail17trampoline_kernelINS0_14default_configENS1_32segmented_reduce_config_selectorIN3c108BFloat16EEEZNS1_21segmented_reduce_implIS3_PKS6_PS6_PKlS6_N6hipcub16HIPCUB_304000_NS6detail27convert_result_type_wrapperISA_SB_N2at6native12_GLOBAL__N_19CustomMaxEEEEE10hipError_tPvRmT0_T1_jT2_SS_T4_T3_P12ihipStream_tbEUlT_E_NS1_11comp_targetILNS1_3genE3ELNS1_11target_archE908ELNS1_3gpuE7ELNS1_3repE0EEENS1_30default_config_static_selectorELNS0_4arch9wavefront6targetE0EEEvSR_.has_recursion, 0
	.set _ZN7rocprim17ROCPRIM_400000_NS6detail17trampoline_kernelINS0_14default_configENS1_32segmented_reduce_config_selectorIN3c108BFloat16EEEZNS1_21segmented_reduce_implIS3_PKS6_PS6_PKlS6_N6hipcub16HIPCUB_304000_NS6detail27convert_result_type_wrapperISA_SB_N2at6native12_GLOBAL__N_19CustomMaxEEEEE10hipError_tPvRmT0_T1_jT2_SS_T4_T3_P12ihipStream_tbEUlT_E_NS1_11comp_targetILNS1_3genE3ELNS1_11target_archE908ELNS1_3gpuE7ELNS1_3repE0EEENS1_30default_config_static_selectorELNS0_4arch9wavefront6targetE0EEEvSR_.has_indirect_call, 0
	.section	.AMDGPU.csdata,"",@progbits
; Kernel info:
; codeLenInByte = 0
; TotalNumSgprs: 0
; NumVgprs: 0
; ScratchSize: 0
; MemoryBound: 0
; FloatMode: 240
; IeeeMode: 1
; LDSByteSize: 0 bytes/workgroup (compile time only)
; SGPRBlocks: 0
; VGPRBlocks: 0
; NumSGPRsForWavesPerEU: 1
; NumVGPRsForWavesPerEU: 1
; Occupancy: 16
; WaveLimiterHint : 0
; COMPUTE_PGM_RSRC2:SCRATCH_EN: 0
; COMPUTE_PGM_RSRC2:USER_SGPR: 6
; COMPUTE_PGM_RSRC2:TRAP_HANDLER: 0
; COMPUTE_PGM_RSRC2:TGID_X_EN: 1
; COMPUTE_PGM_RSRC2:TGID_Y_EN: 0
; COMPUTE_PGM_RSRC2:TGID_Z_EN: 0
; COMPUTE_PGM_RSRC2:TIDIG_COMP_CNT: 0
	.section	.text._ZN7rocprim17ROCPRIM_400000_NS6detail17trampoline_kernelINS0_14default_configENS1_32segmented_reduce_config_selectorIN3c108BFloat16EEEZNS1_21segmented_reduce_implIS3_PKS6_PS6_PKlS6_N6hipcub16HIPCUB_304000_NS6detail27convert_result_type_wrapperISA_SB_N2at6native12_GLOBAL__N_19CustomMaxEEEEE10hipError_tPvRmT0_T1_jT2_SS_T4_T3_P12ihipStream_tbEUlT_E_NS1_11comp_targetILNS1_3genE2ELNS1_11target_archE906ELNS1_3gpuE6ELNS1_3repE0EEENS1_30default_config_static_selectorELNS0_4arch9wavefront6targetE0EEEvSR_,"axG",@progbits,_ZN7rocprim17ROCPRIM_400000_NS6detail17trampoline_kernelINS0_14default_configENS1_32segmented_reduce_config_selectorIN3c108BFloat16EEEZNS1_21segmented_reduce_implIS3_PKS6_PS6_PKlS6_N6hipcub16HIPCUB_304000_NS6detail27convert_result_type_wrapperISA_SB_N2at6native12_GLOBAL__N_19CustomMaxEEEEE10hipError_tPvRmT0_T1_jT2_SS_T4_T3_P12ihipStream_tbEUlT_E_NS1_11comp_targetILNS1_3genE2ELNS1_11target_archE906ELNS1_3gpuE6ELNS1_3repE0EEENS1_30default_config_static_selectorELNS0_4arch9wavefront6targetE0EEEvSR_,comdat
	.globl	_ZN7rocprim17ROCPRIM_400000_NS6detail17trampoline_kernelINS0_14default_configENS1_32segmented_reduce_config_selectorIN3c108BFloat16EEEZNS1_21segmented_reduce_implIS3_PKS6_PS6_PKlS6_N6hipcub16HIPCUB_304000_NS6detail27convert_result_type_wrapperISA_SB_N2at6native12_GLOBAL__N_19CustomMaxEEEEE10hipError_tPvRmT0_T1_jT2_SS_T4_T3_P12ihipStream_tbEUlT_E_NS1_11comp_targetILNS1_3genE2ELNS1_11target_archE906ELNS1_3gpuE6ELNS1_3repE0EEENS1_30default_config_static_selectorELNS0_4arch9wavefront6targetE0EEEvSR_ ; -- Begin function _ZN7rocprim17ROCPRIM_400000_NS6detail17trampoline_kernelINS0_14default_configENS1_32segmented_reduce_config_selectorIN3c108BFloat16EEEZNS1_21segmented_reduce_implIS3_PKS6_PS6_PKlS6_N6hipcub16HIPCUB_304000_NS6detail27convert_result_type_wrapperISA_SB_N2at6native12_GLOBAL__N_19CustomMaxEEEEE10hipError_tPvRmT0_T1_jT2_SS_T4_T3_P12ihipStream_tbEUlT_E_NS1_11comp_targetILNS1_3genE2ELNS1_11target_archE906ELNS1_3gpuE6ELNS1_3repE0EEENS1_30default_config_static_selectorELNS0_4arch9wavefront6targetE0EEEvSR_
	.p2align	8
	.type	_ZN7rocprim17ROCPRIM_400000_NS6detail17trampoline_kernelINS0_14default_configENS1_32segmented_reduce_config_selectorIN3c108BFloat16EEEZNS1_21segmented_reduce_implIS3_PKS6_PS6_PKlS6_N6hipcub16HIPCUB_304000_NS6detail27convert_result_type_wrapperISA_SB_N2at6native12_GLOBAL__N_19CustomMaxEEEEE10hipError_tPvRmT0_T1_jT2_SS_T4_T3_P12ihipStream_tbEUlT_E_NS1_11comp_targetILNS1_3genE2ELNS1_11target_archE906ELNS1_3gpuE6ELNS1_3repE0EEENS1_30default_config_static_selectorELNS0_4arch9wavefront6targetE0EEEvSR_,@function
_ZN7rocprim17ROCPRIM_400000_NS6detail17trampoline_kernelINS0_14default_configENS1_32segmented_reduce_config_selectorIN3c108BFloat16EEEZNS1_21segmented_reduce_implIS3_PKS6_PS6_PKlS6_N6hipcub16HIPCUB_304000_NS6detail27convert_result_type_wrapperISA_SB_N2at6native12_GLOBAL__N_19CustomMaxEEEEE10hipError_tPvRmT0_T1_jT2_SS_T4_T3_P12ihipStream_tbEUlT_E_NS1_11comp_targetILNS1_3genE2ELNS1_11target_archE906ELNS1_3gpuE6ELNS1_3repE0EEENS1_30default_config_static_selectorELNS0_4arch9wavefront6targetE0EEEvSR_: ; @_ZN7rocprim17ROCPRIM_400000_NS6detail17trampoline_kernelINS0_14default_configENS1_32segmented_reduce_config_selectorIN3c108BFloat16EEEZNS1_21segmented_reduce_implIS3_PKS6_PS6_PKlS6_N6hipcub16HIPCUB_304000_NS6detail27convert_result_type_wrapperISA_SB_N2at6native12_GLOBAL__N_19CustomMaxEEEEE10hipError_tPvRmT0_T1_jT2_SS_T4_T3_P12ihipStream_tbEUlT_E_NS1_11comp_targetILNS1_3genE2ELNS1_11target_archE906ELNS1_3gpuE6ELNS1_3repE0EEENS1_30default_config_static_selectorELNS0_4arch9wavefront6targetE0EEEvSR_
; %bb.0:
	.section	.rodata,"a",@progbits
	.p2align	6, 0x0
	.amdhsa_kernel _ZN7rocprim17ROCPRIM_400000_NS6detail17trampoline_kernelINS0_14default_configENS1_32segmented_reduce_config_selectorIN3c108BFloat16EEEZNS1_21segmented_reduce_implIS3_PKS6_PS6_PKlS6_N6hipcub16HIPCUB_304000_NS6detail27convert_result_type_wrapperISA_SB_N2at6native12_GLOBAL__N_19CustomMaxEEEEE10hipError_tPvRmT0_T1_jT2_SS_T4_T3_P12ihipStream_tbEUlT_E_NS1_11comp_targetILNS1_3genE2ELNS1_11target_archE906ELNS1_3gpuE6ELNS1_3repE0EEENS1_30default_config_static_selectorELNS0_4arch9wavefront6targetE0EEEvSR_
		.amdhsa_group_segment_fixed_size 0
		.amdhsa_private_segment_fixed_size 0
		.amdhsa_kernarg_size 48
		.amdhsa_user_sgpr_count 6
		.amdhsa_user_sgpr_private_segment_buffer 1
		.amdhsa_user_sgpr_dispatch_ptr 0
		.amdhsa_user_sgpr_queue_ptr 0
		.amdhsa_user_sgpr_kernarg_segment_ptr 1
		.amdhsa_user_sgpr_dispatch_id 0
		.amdhsa_user_sgpr_flat_scratch_init 0
		.amdhsa_user_sgpr_private_segment_size 0
		.amdhsa_wavefront_size32 1
		.amdhsa_uses_dynamic_stack 0
		.amdhsa_system_sgpr_private_segment_wavefront_offset 0
		.amdhsa_system_sgpr_workgroup_id_x 1
		.amdhsa_system_sgpr_workgroup_id_y 0
		.amdhsa_system_sgpr_workgroup_id_z 0
		.amdhsa_system_sgpr_workgroup_info 0
		.amdhsa_system_vgpr_workitem_id 0
		.amdhsa_next_free_vgpr 1
		.amdhsa_next_free_sgpr 1
		.amdhsa_reserve_vcc 0
		.amdhsa_reserve_flat_scratch 0
		.amdhsa_float_round_mode_32 0
		.amdhsa_float_round_mode_16_64 0
		.amdhsa_float_denorm_mode_32 3
		.amdhsa_float_denorm_mode_16_64 3
		.amdhsa_dx10_clamp 1
		.amdhsa_ieee_mode 1
		.amdhsa_fp16_overflow 0
		.amdhsa_workgroup_processor_mode 1
		.amdhsa_memory_ordered 1
		.amdhsa_forward_progress 1
		.amdhsa_shared_vgpr_count 0
		.amdhsa_exception_fp_ieee_invalid_op 0
		.amdhsa_exception_fp_denorm_src 0
		.amdhsa_exception_fp_ieee_div_zero 0
		.amdhsa_exception_fp_ieee_overflow 0
		.amdhsa_exception_fp_ieee_underflow 0
		.amdhsa_exception_fp_ieee_inexact 0
		.amdhsa_exception_int_div_zero 0
	.end_amdhsa_kernel
	.section	.text._ZN7rocprim17ROCPRIM_400000_NS6detail17trampoline_kernelINS0_14default_configENS1_32segmented_reduce_config_selectorIN3c108BFloat16EEEZNS1_21segmented_reduce_implIS3_PKS6_PS6_PKlS6_N6hipcub16HIPCUB_304000_NS6detail27convert_result_type_wrapperISA_SB_N2at6native12_GLOBAL__N_19CustomMaxEEEEE10hipError_tPvRmT0_T1_jT2_SS_T4_T3_P12ihipStream_tbEUlT_E_NS1_11comp_targetILNS1_3genE2ELNS1_11target_archE906ELNS1_3gpuE6ELNS1_3repE0EEENS1_30default_config_static_selectorELNS0_4arch9wavefront6targetE0EEEvSR_,"axG",@progbits,_ZN7rocprim17ROCPRIM_400000_NS6detail17trampoline_kernelINS0_14default_configENS1_32segmented_reduce_config_selectorIN3c108BFloat16EEEZNS1_21segmented_reduce_implIS3_PKS6_PS6_PKlS6_N6hipcub16HIPCUB_304000_NS6detail27convert_result_type_wrapperISA_SB_N2at6native12_GLOBAL__N_19CustomMaxEEEEE10hipError_tPvRmT0_T1_jT2_SS_T4_T3_P12ihipStream_tbEUlT_E_NS1_11comp_targetILNS1_3genE2ELNS1_11target_archE906ELNS1_3gpuE6ELNS1_3repE0EEENS1_30default_config_static_selectorELNS0_4arch9wavefront6targetE0EEEvSR_,comdat
.Lfunc_end252:
	.size	_ZN7rocprim17ROCPRIM_400000_NS6detail17trampoline_kernelINS0_14default_configENS1_32segmented_reduce_config_selectorIN3c108BFloat16EEEZNS1_21segmented_reduce_implIS3_PKS6_PS6_PKlS6_N6hipcub16HIPCUB_304000_NS6detail27convert_result_type_wrapperISA_SB_N2at6native12_GLOBAL__N_19CustomMaxEEEEE10hipError_tPvRmT0_T1_jT2_SS_T4_T3_P12ihipStream_tbEUlT_E_NS1_11comp_targetILNS1_3genE2ELNS1_11target_archE906ELNS1_3gpuE6ELNS1_3repE0EEENS1_30default_config_static_selectorELNS0_4arch9wavefront6targetE0EEEvSR_, .Lfunc_end252-_ZN7rocprim17ROCPRIM_400000_NS6detail17trampoline_kernelINS0_14default_configENS1_32segmented_reduce_config_selectorIN3c108BFloat16EEEZNS1_21segmented_reduce_implIS3_PKS6_PS6_PKlS6_N6hipcub16HIPCUB_304000_NS6detail27convert_result_type_wrapperISA_SB_N2at6native12_GLOBAL__N_19CustomMaxEEEEE10hipError_tPvRmT0_T1_jT2_SS_T4_T3_P12ihipStream_tbEUlT_E_NS1_11comp_targetILNS1_3genE2ELNS1_11target_archE906ELNS1_3gpuE6ELNS1_3repE0EEENS1_30default_config_static_selectorELNS0_4arch9wavefront6targetE0EEEvSR_
                                        ; -- End function
	.set _ZN7rocprim17ROCPRIM_400000_NS6detail17trampoline_kernelINS0_14default_configENS1_32segmented_reduce_config_selectorIN3c108BFloat16EEEZNS1_21segmented_reduce_implIS3_PKS6_PS6_PKlS6_N6hipcub16HIPCUB_304000_NS6detail27convert_result_type_wrapperISA_SB_N2at6native12_GLOBAL__N_19CustomMaxEEEEE10hipError_tPvRmT0_T1_jT2_SS_T4_T3_P12ihipStream_tbEUlT_E_NS1_11comp_targetILNS1_3genE2ELNS1_11target_archE906ELNS1_3gpuE6ELNS1_3repE0EEENS1_30default_config_static_selectorELNS0_4arch9wavefront6targetE0EEEvSR_.num_vgpr, 0
	.set _ZN7rocprim17ROCPRIM_400000_NS6detail17trampoline_kernelINS0_14default_configENS1_32segmented_reduce_config_selectorIN3c108BFloat16EEEZNS1_21segmented_reduce_implIS3_PKS6_PS6_PKlS6_N6hipcub16HIPCUB_304000_NS6detail27convert_result_type_wrapperISA_SB_N2at6native12_GLOBAL__N_19CustomMaxEEEEE10hipError_tPvRmT0_T1_jT2_SS_T4_T3_P12ihipStream_tbEUlT_E_NS1_11comp_targetILNS1_3genE2ELNS1_11target_archE906ELNS1_3gpuE6ELNS1_3repE0EEENS1_30default_config_static_selectorELNS0_4arch9wavefront6targetE0EEEvSR_.num_agpr, 0
	.set _ZN7rocprim17ROCPRIM_400000_NS6detail17trampoline_kernelINS0_14default_configENS1_32segmented_reduce_config_selectorIN3c108BFloat16EEEZNS1_21segmented_reduce_implIS3_PKS6_PS6_PKlS6_N6hipcub16HIPCUB_304000_NS6detail27convert_result_type_wrapperISA_SB_N2at6native12_GLOBAL__N_19CustomMaxEEEEE10hipError_tPvRmT0_T1_jT2_SS_T4_T3_P12ihipStream_tbEUlT_E_NS1_11comp_targetILNS1_3genE2ELNS1_11target_archE906ELNS1_3gpuE6ELNS1_3repE0EEENS1_30default_config_static_selectorELNS0_4arch9wavefront6targetE0EEEvSR_.numbered_sgpr, 0
	.set _ZN7rocprim17ROCPRIM_400000_NS6detail17trampoline_kernelINS0_14default_configENS1_32segmented_reduce_config_selectorIN3c108BFloat16EEEZNS1_21segmented_reduce_implIS3_PKS6_PS6_PKlS6_N6hipcub16HIPCUB_304000_NS6detail27convert_result_type_wrapperISA_SB_N2at6native12_GLOBAL__N_19CustomMaxEEEEE10hipError_tPvRmT0_T1_jT2_SS_T4_T3_P12ihipStream_tbEUlT_E_NS1_11comp_targetILNS1_3genE2ELNS1_11target_archE906ELNS1_3gpuE6ELNS1_3repE0EEENS1_30default_config_static_selectorELNS0_4arch9wavefront6targetE0EEEvSR_.num_named_barrier, 0
	.set _ZN7rocprim17ROCPRIM_400000_NS6detail17trampoline_kernelINS0_14default_configENS1_32segmented_reduce_config_selectorIN3c108BFloat16EEEZNS1_21segmented_reduce_implIS3_PKS6_PS6_PKlS6_N6hipcub16HIPCUB_304000_NS6detail27convert_result_type_wrapperISA_SB_N2at6native12_GLOBAL__N_19CustomMaxEEEEE10hipError_tPvRmT0_T1_jT2_SS_T4_T3_P12ihipStream_tbEUlT_E_NS1_11comp_targetILNS1_3genE2ELNS1_11target_archE906ELNS1_3gpuE6ELNS1_3repE0EEENS1_30default_config_static_selectorELNS0_4arch9wavefront6targetE0EEEvSR_.private_seg_size, 0
	.set _ZN7rocprim17ROCPRIM_400000_NS6detail17trampoline_kernelINS0_14default_configENS1_32segmented_reduce_config_selectorIN3c108BFloat16EEEZNS1_21segmented_reduce_implIS3_PKS6_PS6_PKlS6_N6hipcub16HIPCUB_304000_NS6detail27convert_result_type_wrapperISA_SB_N2at6native12_GLOBAL__N_19CustomMaxEEEEE10hipError_tPvRmT0_T1_jT2_SS_T4_T3_P12ihipStream_tbEUlT_E_NS1_11comp_targetILNS1_3genE2ELNS1_11target_archE906ELNS1_3gpuE6ELNS1_3repE0EEENS1_30default_config_static_selectorELNS0_4arch9wavefront6targetE0EEEvSR_.uses_vcc, 0
	.set _ZN7rocprim17ROCPRIM_400000_NS6detail17trampoline_kernelINS0_14default_configENS1_32segmented_reduce_config_selectorIN3c108BFloat16EEEZNS1_21segmented_reduce_implIS3_PKS6_PS6_PKlS6_N6hipcub16HIPCUB_304000_NS6detail27convert_result_type_wrapperISA_SB_N2at6native12_GLOBAL__N_19CustomMaxEEEEE10hipError_tPvRmT0_T1_jT2_SS_T4_T3_P12ihipStream_tbEUlT_E_NS1_11comp_targetILNS1_3genE2ELNS1_11target_archE906ELNS1_3gpuE6ELNS1_3repE0EEENS1_30default_config_static_selectorELNS0_4arch9wavefront6targetE0EEEvSR_.uses_flat_scratch, 0
	.set _ZN7rocprim17ROCPRIM_400000_NS6detail17trampoline_kernelINS0_14default_configENS1_32segmented_reduce_config_selectorIN3c108BFloat16EEEZNS1_21segmented_reduce_implIS3_PKS6_PS6_PKlS6_N6hipcub16HIPCUB_304000_NS6detail27convert_result_type_wrapperISA_SB_N2at6native12_GLOBAL__N_19CustomMaxEEEEE10hipError_tPvRmT0_T1_jT2_SS_T4_T3_P12ihipStream_tbEUlT_E_NS1_11comp_targetILNS1_3genE2ELNS1_11target_archE906ELNS1_3gpuE6ELNS1_3repE0EEENS1_30default_config_static_selectorELNS0_4arch9wavefront6targetE0EEEvSR_.has_dyn_sized_stack, 0
	.set _ZN7rocprim17ROCPRIM_400000_NS6detail17trampoline_kernelINS0_14default_configENS1_32segmented_reduce_config_selectorIN3c108BFloat16EEEZNS1_21segmented_reduce_implIS3_PKS6_PS6_PKlS6_N6hipcub16HIPCUB_304000_NS6detail27convert_result_type_wrapperISA_SB_N2at6native12_GLOBAL__N_19CustomMaxEEEEE10hipError_tPvRmT0_T1_jT2_SS_T4_T3_P12ihipStream_tbEUlT_E_NS1_11comp_targetILNS1_3genE2ELNS1_11target_archE906ELNS1_3gpuE6ELNS1_3repE0EEENS1_30default_config_static_selectorELNS0_4arch9wavefront6targetE0EEEvSR_.has_recursion, 0
	.set _ZN7rocprim17ROCPRIM_400000_NS6detail17trampoline_kernelINS0_14default_configENS1_32segmented_reduce_config_selectorIN3c108BFloat16EEEZNS1_21segmented_reduce_implIS3_PKS6_PS6_PKlS6_N6hipcub16HIPCUB_304000_NS6detail27convert_result_type_wrapperISA_SB_N2at6native12_GLOBAL__N_19CustomMaxEEEEE10hipError_tPvRmT0_T1_jT2_SS_T4_T3_P12ihipStream_tbEUlT_E_NS1_11comp_targetILNS1_3genE2ELNS1_11target_archE906ELNS1_3gpuE6ELNS1_3repE0EEENS1_30default_config_static_selectorELNS0_4arch9wavefront6targetE0EEEvSR_.has_indirect_call, 0
	.section	.AMDGPU.csdata,"",@progbits
; Kernel info:
; codeLenInByte = 0
; TotalNumSgprs: 0
; NumVgprs: 0
; ScratchSize: 0
; MemoryBound: 0
; FloatMode: 240
; IeeeMode: 1
; LDSByteSize: 0 bytes/workgroup (compile time only)
; SGPRBlocks: 0
; VGPRBlocks: 0
; NumSGPRsForWavesPerEU: 1
; NumVGPRsForWavesPerEU: 1
; Occupancy: 16
; WaveLimiterHint : 0
; COMPUTE_PGM_RSRC2:SCRATCH_EN: 0
; COMPUTE_PGM_RSRC2:USER_SGPR: 6
; COMPUTE_PGM_RSRC2:TRAP_HANDLER: 0
; COMPUTE_PGM_RSRC2:TGID_X_EN: 1
; COMPUTE_PGM_RSRC2:TGID_Y_EN: 0
; COMPUTE_PGM_RSRC2:TGID_Z_EN: 0
; COMPUTE_PGM_RSRC2:TIDIG_COMP_CNT: 0
	.section	.text._ZN7rocprim17ROCPRIM_400000_NS6detail17trampoline_kernelINS0_14default_configENS1_32segmented_reduce_config_selectorIN3c108BFloat16EEEZNS1_21segmented_reduce_implIS3_PKS6_PS6_PKlS6_N6hipcub16HIPCUB_304000_NS6detail27convert_result_type_wrapperISA_SB_N2at6native12_GLOBAL__N_19CustomMaxEEEEE10hipError_tPvRmT0_T1_jT2_SS_T4_T3_P12ihipStream_tbEUlT_E_NS1_11comp_targetILNS1_3genE9ELNS1_11target_archE1100ELNS1_3gpuE3ELNS1_3repE0EEENS1_30default_config_static_selectorELNS0_4arch9wavefront6targetE0EEEvSR_,"axG",@progbits,_ZN7rocprim17ROCPRIM_400000_NS6detail17trampoline_kernelINS0_14default_configENS1_32segmented_reduce_config_selectorIN3c108BFloat16EEEZNS1_21segmented_reduce_implIS3_PKS6_PS6_PKlS6_N6hipcub16HIPCUB_304000_NS6detail27convert_result_type_wrapperISA_SB_N2at6native12_GLOBAL__N_19CustomMaxEEEEE10hipError_tPvRmT0_T1_jT2_SS_T4_T3_P12ihipStream_tbEUlT_E_NS1_11comp_targetILNS1_3genE9ELNS1_11target_archE1100ELNS1_3gpuE3ELNS1_3repE0EEENS1_30default_config_static_selectorELNS0_4arch9wavefront6targetE0EEEvSR_,comdat
	.globl	_ZN7rocprim17ROCPRIM_400000_NS6detail17trampoline_kernelINS0_14default_configENS1_32segmented_reduce_config_selectorIN3c108BFloat16EEEZNS1_21segmented_reduce_implIS3_PKS6_PS6_PKlS6_N6hipcub16HIPCUB_304000_NS6detail27convert_result_type_wrapperISA_SB_N2at6native12_GLOBAL__N_19CustomMaxEEEEE10hipError_tPvRmT0_T1_jT2_SS_T4_T3_P12ihipStream_tbEUlT_E_NS1_11comp_targetILNS1_3genE9ELNS1_11target_archE1100ELNS1_3gpuE3ELNS1_3repE0EEENS1_30default_config_static_selectorELNS0_4arch9wavefront6targetE0EEEvSR_ ; -- Begin function _ZN7rocprim17ROCPRIM_400000_NS6detail17trampoline_kernelINS0_14default_configENS1_32segmented_reduce_config_selectorIN3c108BFloat16EEEZNS1_21segmented_reduce_implIS3_PKS6_PS6_PKlS6_N6hipcub16HIPCUB_304000_NS6detail27convert_result_type_wrapperISA_SB_N2at6native12_GLOBAL__N_19CustomMaxEEEEE10hipError_tPvRmT0_T1_jT2_SS_T4_T3_P12ihipStream_tbEUlT_E_NS1_11comp_targetILNS1_3genE9ELNS1_11target_archE1100ELNS1_3gpuE3ELNS1_3repE0EEENS1_30default_config_static_selectorELNS0_4arch9wavefront6targetE0EEEvSR_
	.p2align	8
	.type	_ZN7rocprim17ROCPRIM_400000_NS6detail17trampoline_kernelINS0_14default_configENS1_32segmented_reduce_config_selectorIN3c108BFloat16EEEZNS1_21segmented_reduce_implIS3_PKS6_PS6_PKlS6_N6hipcub16HIPCUB_304000_NS6detail27convert_result_type_wrapperISA_SB_N2at6native12_GLOBAL__N_19CustomMaxEEEEE10hipError_tPvRmT0_T1_jT2_SS_T4_T3_P12ihipStream_tbEUlT_E_NS1_11comp_targetILNS1_3genE9ELNS1_11target_archE1100ELNS1_3gpuE3ELNS1_3repE0EEENS1_30default_config_static_selectorELNS0_4arch9wavefront6targetE0EEEvSR_,@function
_ZN7rocprim17ROCPRIM_400000_NS6detail17trampoline_kernelINS0_14default_configENS1_32segmented_reduce_config_selectorIN3c108BFloat16EEEZNS1_21segmented_reduce_implIS3_PKS6_PS6_PKlS6_N6hipcub16HIPCUB_304000_NS6detail27convert_result_type_wrapperISA_SB_N2at6native12_GLOBAL__N_19CustomMaxEEEEE10hipError_tPvRmT0_T1_jT2_SS_T4_T3_P12ihipStream_tbEUlT_E_NS1_11comp_targetILNS1_3genE9ELNS1_11target_archE1100ELNS1_3gpuE3ELNS1_3repE0EEENS1_30default_config_static_selectorELNS0_4arch9wavefront6targetE0EEEvSR_: ; @_ZN7rocprim17ROCPRIM_400000_NS6detail17trampoline_kernelINS0_14default_configENS1_32segmented_reduce_config_selectorIN3c108BFloat16EEEZNS1_21segmented_reduce_implIS3_PKS6_PS6_PKlS6_N6hipcub16HIPCUB_304000_NS6detail27convert_result_type_wrapperISA_SB_N2at6native12_GLOBAL__N_19CustomMaxEEEEE10hipError_tPvRmT0_T1_jT2_SS_T4_T3_P12ihipStream_tbEUlT_E_NS1_11comp_targetILNS1_3genE9ELNS1_11target_archE1100ELNS1_3gpuE3ELNS1_3repE0EEENS1_30default_config_static_selectorELNS0_4arch9wavefront6targetE0EEEvSR_
; %bb.0:
	.section	.rodata,"a",@progbits
	.p2align	6, 0x0
	.amdhsa_kernel _ZN7rocprim17ROCPRIM_400000_NS6detail17trampoline_kernelINS0_14default_configENS1_32segmented_reduce_config_selectorIN3c108BFloat16EEEZNS1_21segmented_reduce_implIS3_PKS6_PS6_PKlS6_N6hipcub16HIPCUB_304000_NS6detail27convert_result_type_wrapperISA_SB_N2at6native12_GLOBAL__N_19CustomMaxEEEEE10hipError_tPvRmT0_T1_jT2_SS_T4_T3_P12ihipStream_tbEUlT_E_NS1_11comp_targetILNS1_3genE9ELNS1_11target_archE1100ELNS1_3gpuE3ELNS1_3repE0EEENS1_30default_config_static_selectorELNS0_4arch9wavefront6targetE0EEEvSR_
		.amdhsa_group_segment_fixed_size 0
		.amdhsa_private_segment_fixed_size 0
		.amdhsa_kernarg_size 48
		.amdhsa_user_sgpr_count 6
		.amdhsa_user_sgpr_private_segment_buffer 1
		.amdhsa_user_sgpr_dispatch_ptr 0
		.amdhsa_user_sgpr_queue_ptr 0
		.amdhsa_user_sgpr_kernarg_segment_ptr 1
		.amdhsa_user_sgpr_dispatch_id 0
		.amdhsa_user_sgpr_flat_scratch_init 0
		.amdhsa_user_sgpr_private_segment_size 0
		.amdhsa_wavefront_size32 1
		.amdhsa_uses_dynamic_stack 0
		.amdhsa_system_sgpr_private_segment_wavefront_offset 0
		.amdhsa_system_sgpr_workgroup_id_x 1
		.amdhsa_system_sgpr_workgroup_id_y 0
		.amdhsa_system_sgpr_workgroup_id_z 0
		.amdhsa_system_sgpr_workgroup_info 0
		.amdhsa_system_vgpr_workitem_id 0
		.amdhsa_next_free_vgpr 1
		.amdhsa_next_free_sgpr 1
		.amdhsa_reserve_vcc 0
		.amdhsa_reserve_flat_scratch 0
		.amdhsa_float_round_mode_32 0
		.amdhsa_float_round_mode_16_64 0
		.amdhsa_float_denorm_mode_32 3
		.amdhsa_float_denorm_mode_16_64 3
		.amdhsa_dx10_clamp 1
		.amdhsa_ieee_mode 1
		.amdhsa_fp16_overflow 0
		.amdhsa_workgroup_processor_mode 1
		.amdhsa_memory_ordered 1
		.amdhsa_forward_progress 1
		.amdhsa_shared_vgpr_count 0
		.amdhsa_exception_fp_ieee_invalid_op 0
		.amdhsa_exception_fp_denorm_src 0
		.amdhsa_exception_fp_ieee_div_zero 0
		.amdhsa_exception_fp_ieee_overflow 0
		.amdhsa_exception_fp_ieee_underflow 0
		.amdhsa_exception_fp_ieee_inexact 0
		.amdhsa_exception_int_div_zero 0
	.end_amdhsa_kernel
	.section	.text._ZN7rocprim17ROCPRIM_400000_NS6detail17trampoline_kernelINS0_14default_configENS1_32segmented_reduce_config_selectorIN3c108BFloat16EEEZNS1_21segmented_reduce_implIS3_PKS6_PS6_PKlS6_N6hipcub16HIPCUB_304000_NS6detail27convert_result_type_wrapperISA_SB_N2at6native12_GLOBAL__N_19CustomMaxEEEEE10hipError_tPvRmT0_T1_jT2_SS_T4_T3_P12ihipStream_tbEUlT_E_NS1_11comp_targetILNS1_3genE9ELNS1_11target_archE1100ELNS1_3gpuE3ELNS1_3repE0EEENS1_30default_config_static_selectorELNS0_4arch9wavefront6targetE0EEEvSR_,"axG",@progbits,_ZN7rocprim17ROCPRIM_400000_NS6detail17trampoline_kernelINS0_14default_configENS1_32segmented_reduce_config_selectorIN3c108BFloat16EEEZNS1_21segmented_reduce_implIS3_PKS6_PS6_PKlS6_N6hipcub16HIPCUB_304000_NS6detail27convert_result_type_wrapperISA_SB_N2at6native12_GLOBAL__N_19CustomMaxEEEEE10hipError_tPvRmT0_T1_jT2_SS_T4_T3_P12ihipStream_tbEUlT_E_NS1_11comp_targetILNS1_3genE9ELNS1_11target_archE1100ELNS1_3gpuE3ELNS1_3repE0EEENS1_30default_config_static_selectorELNS0_4arch9wavefront6targetE0EEEvSR_,comdat
.Lfunc_end253:
	.size	_ZN7rocprim17ROCPRIM_400000_NS6detail17trampoline_kernelINS0_14default_configENS1_32segmented_reduce_config_selectorIN3c108BFloat16EEEZNS1_21segmented_reduce_implIS3_PKS6_PS6_PKlS6_N6hipcub16HIPCUB_304000_NS6detail27convert_result_type_wrapperISA_SB_N2at6native12_GLOBAL__N_19CustomMaxEEEEE10hipError_tPvRmT0_T1_jT2_SS_T4_T3_P12ihipStream_tbEUlT_E_NS1_11comp_targetILNS1_3genE9ELNS1_11target_archE1100ELNS1_3gpuE3ELNS1_3repE0EEENS1_30default_config_static_selectorELNS0_4arch9wavefront6targetE0EEEvSR_, .Lfunc_end253-_ZN7rocprim17ROCPRIM_400000_NS6detail17trampoline_kernelINS0_14default_configENS1_32segmented_reduce_config_selectorIN3c108BFloat16EEEZNS1_21segmented_reduce_implIS3_PKS6_PS6_PKlS6_N6hipcub16HIPCUB_304000_NS6detail27convert_result_type_wrapperISA_SB_N2at6native12_GLOBAL__N_19CustomMaxEEEEE10hipError_tPvRmT0_T1_jT2_SS_T4_T3_P12ihipStream_tbEUlT_E_NS1_11comp_targetILNS1_3genE9ELNS1_11target_archE1100ELNS1_3gpuE3ELNS1_3repE0EEENS1_30default_config_static_selectorELNS0_4arch9wavefront6targetE0EEEvSR_
                                        ; -- End function
	.set _ZN7rocprim17ROCPRIM_400000_NS6detail17trampoline_kernelINS0_14default_configENS1_32segmented_reduce_config_selectorIN3c108BFloat16EEEZNS1_21segmented_reduce_implIS3_PKS6_PS6_PKlS6_N6hipcub16HIPCUB_304000_NS6detail27convert_result_type_wrapperISA_SB_N2at6native12_GLOBAL__N_19CustomMaxEEEEE10hipError_tPvRmT0_T1_jT2_SS_T4_T3_P12ihipStream_tbEUlT_E_NS1_11comp_targetILNS1_3genE9ELNS1_11target_archE1100ELNS1_3gpuE3ELNS1_3repE0EEENS1_30default_config_static_selectorELNS0_4arch9wavefront6targetE0EEEvSR_.num_vgpr, 0
	.set _ZN7rocprim17ROCPRIM_400000_NS6detail17trampoline_kernelINS0_14default_configENS1_32segmented_reduce_config_selectorIN3c108BFloat16EEEZNS1_21segmented_reduce_implIS3_PKS6_PS6_PKlS6_N6hipcub16HIPCUB_304000_NS6detail27convert_result_type_wrapperISA_SB_N2at6native12_GLOBAL__N_19CustomMaxEEEEE10hipError_tPvRmT0_T1_jT2_SS_T4_T3_P12ihipStream_tbEUlT_E_NS1_11comp_targetILNS1_3genE9ELNS1_11target_archE1100ELNS1_3gpuE3ELNS1_3repE0EEENS1_30default_config_static_selectorELNS0_4arch9wavefront6targetE0EEEvSR_.num_agpr, 0
	.set _ZN7rocprim17ROCPRIM_400000_NS6detail17trampoline_kernelINS0_14default_configENS1_32segmented_reduce_config_selectorIN3c108BFloat16EEEZNS1_21segmented_reduce_implIS3_PKS6_PS6_PKlS6_N6hipcub16HIPCUB_304000_NS6detail27convert_result_type_wrapperISA_SB_N2at6native12_GLOBAL__N_19CustomMaxEEEEE10hipError_tPvRmT0_T1_jT2_SS_T4_T3_P12ihipStream_tbEUlT_E_NS1_11comp_targetILNS1_3genE9ELNS1_11target_archE1100ELNS1_3gpuE3ELNS1_3repE0EEENS1_30default_config_static_selectorELNS0_4arch9wavefront6targetE0EEEvSR_.numbered_sgpr, 0
	.set _ZN7rocprim17ROCPRIM_400000_NS6detail17trampoline_kernelINS0_14default_configENS1_32segmented_reduce_config_selectorIN3c108BFloat16EEEZNS1_21segmented_reduce_implIS3_PKS6_PS6_PKlS6_N6hipcub16HIPCUB_304000_NS6detail27convert_result_type_wrapperISA_SB_N2at6native12_GLOBAL__N_19CustomMaxEEEEE10hipError_tPvRmT0_T1_jT2_SS_T4_T3_P12ihipStream_tbEUlT_E_NS1_11comp_targetILNS1_3genE9ELNS1_11target_archE1100ELNS1_3gpuE3ELNS1_3repE0EEENS1_30default_config_static_selectorELNS0_4arch9wavefront6targetE0EEEvSR_.num_named_barrier, 0
	.set _ZN7rocprim17ROCPRIM_400000_NS6detail17trampoline_kernelINS0_14default_configENS1_32segmented_reduce_config_selectorIN3c108BFloat16EEEZNS1_21segmented_reduce_implIS3_PKS6_PS6_PKlS6_N6hipcub16HIPCUB_304000_NS6detail27convert_result_type_wrapperISA_SB_N2at6native12_GLOBAL__N_19CustomMaxEEEEE10hipError_tPvRmT0_T1_jT2_SS_T4_T3_P12ihipStream_tbEUlT_E_NS1_11comp_targetILNS1_3genE9ELNS1_11target_archE1100ELNS1_3gpuE3ELNS1_3repE0EEENS1_30default_config_static_selectorELNS0_4arch9wavefront6targetE0EEEvSR_.private_seg_size, 0
	.set _ZN7rocprim17ROCPRIM_400000_NS6detail17trampoline_kernelINS0_14default_configENS1_32segmented_reduce_config_selectorIN3c108BFloat16EEEZNS1_21segmented_reduce_implIS3_PKS6_PS6_PKlS6_N6hipcub16HIPCUB_304000_NS6detail27convert_result_type_wrapperISA_SB_N2at6native12_GLOBAL__N_19CustomMaxEEEEE10hipError_tPvRmT0_T1_jT2_SS_T4_T3_P12ihipStream_tbEUlT_E_NS1_11comp_targetILNS1_3genE9ELNS1_11target_archE1100ELNS1_3gpuE3ELNS1_3repE0EEENS1_30default_config_static_selectorELNS0_4arch9wavefront6targetE0EEEvSR_.uses_vcc, 0
	.set _ZN7rocprim17ROCPRIM_400000_NS6detail17trampoline_kernelINS0_14default_configENS1_32segmented_reduce_config_selectorIN3c108BFloat16EEEZNS1_21segmented_reduce_implIS3_PKS6_PS6_PKlS6_N6hipcub16HIPCUB_304000_NS6detail27convert_result_type_wrapperISA_SB_N2at6native12_GLOBAL__N_19CustomMaxEEEEE10hipError_tPvRmT0_T1_jT2_SS_T4_T3_P12ihipStream_tbEUlT_E_NS1_11comp_targetILNS1_3genE9ELNS1_11target_archE1100ELNS1_3gpuE3ELNS1_3repE0EEENS1_30default_config_static_selectorELNS0_4arch9wavefront6targetE0EEEvSR_.uses_flat_scratch, 0
	.set _ZN7rocprim17ROCPRIM_400000_NS6detail17trampoline_kernelINS0_14default_configENS1_32segmented_reduce_config_selectorIN3c108BFloat16EEEZNS1_21segmented_reduce_implIS3_PKS6_PS6_PKlS6_N6hipcub16HIPCUB_304000_NS6detail27convert_result_type_wrapperISA_SB_N2at6native12_GLOBAL__N_19CustomMaxEEEEE10hipError_tPvRmT0_T1_jT2_SS_T4_T3_P12ihipStream_tbEUlT_E_NS1_11comp_targetILNS1_3genE9ELNS1_11target_archE1100ELNS1_3gpuE3ELNS1_3repE0EEENS1_30default_config_static_selectorELNS0_4arch9wavefront6targetE0EEEvSR_.has_dyn_sized_stack, 0
	.set _ZN7rocprim17ROCPRIM_400000_NS6detail17trampoline_kernelINS0_14default_configENS1_32segmented_reduce_config_selectorIN3c108BFloat16EEEZNS1_21segmented_reduce_implIS3_PKS6_PS6_PKlS6_N6hipcub16HIPCUB_304000_NS6detail27convert_result_type_wrapperISA_SB_N2at6native12_GLOBAL__N_19CustomMaxEEEEE10hipError_tPvRmT0_T1_jT2_SS_T4_T3_P12ihipStream_tbEUlT_E_NS1_11comp_targetILNS1_3genE9ELNS1_11target_archE1100ELNS1_3gpuE3ELNS1_3repE0EEENS1_30default_config_static_selectorELNS0_4arch9wavefront6targetE0EEEvSR_.has_recursion, 0
	.set _ZN7rocprim17ROCPRIM_400000_NS6detail17trampoline_kernelINS0_14default_configENS1_32segmented_reduce_config_selectorIN3c108BFloat16EEEZNS1_21segmented_reduce_implIS3_PKS6_PS6_PKlS6_N6hipcub16HIPCUB_304000_NS6detail27convert_result_type_wrapperISA_SB_N2at6native12_GLOBAL__N_19CustomMaxEEEEE10hipError_tPvRmT0_T1_jT2_SS_T4_T3_P12ihipStream_tbEUlT_E_NS1_11comp_targetILNS1_3genE9ELNS1_11target_archE1100ELNS1_3gpuE3ELNS1_3repE0EEENS1_30default_config_static_selectorELNS0_4arch9wavefront6targetE0EEEvSR_.has_indirect_call, 0
	.section	.AMDGPU.csdata,"",@progbits
; Kernel info:
; codeLenInByte = 0
; TotalNumSgprs: 0
; NumVgprs: 0
; ScratchSize: 0
; MemoryBound: 0
; FloatMode: 240
; IeeeMode: 1
; LDSByteSize: 0 bytes/workgroup (compile time only)
; SGPRBlocks: 0
; VGPRBlocks: 0
; NumSGPRsForWavesPerEU: 1
; NumVGPRsForWavesPerEU: 1
; Occupancy: 16
; WaveLimiterHint : 0
; COMPUTE_PGM_RSRC2:SCRATCH_EN: 0
; COMPUTE_PGM_RSRC2:USER_SGPR: 6
; COMPUTE_PGM_RSRC2:TRAP_HANDLER: 0
; COMPUTE_PGM_RSRC2:TGID_X_EN: 1
; COMPUTE_PGM_RSRC2:TGID_Y_EN: 0
; COMPUTE_PGM_RSRC2:TGID_Z_EN: 0
; COMPUTE_PGM_RSRC2:TIDIG_COMP_CNT: 0
	.section	.text._ZN7rocprim17ROCPRIM_400000_NS6detail17trampoline_kernelINS0_14default_configENS1_32segmented_reduce_config_selectorIN3c108BFloat16EEEZNS1_21segmented_reduce_implIS3_PKS6_PS6_PKlS6_N6hipcub16HIPCUB_304000_NS6detail27convert_result_type_wrapperISA_SB_N2at6native12_GLOBAL__N_19CustomMaxEEEEE10hipError_tPvRmT0_T1_jT2_SS_T4_T3_P12ihipStream_tbEUlT_E_NS1_11comp_targetILNS1_3genE8ELNS1_11target_archE1030ELNS1_3gpuE2ELNS1_3repE0EEENS1_30default_config_static_selectorELNS0_4arch9wavefront6targetE0EEEvSR_,"axG",@progbits,_ZN7rocprim17ROCPRIM_400000_NS6detail17trampoline_kernelINS0_14default_configENS1_32segmented_reduce_config_selectorIN3c108BFloat16EEEZNS1_21segmented_reduce_implIS3_PKS6_PS6_PKlS6_N6hipcub16HIPCUB_304000_NS6detail27convert_result_type_wrapperISA_SB_N2at6native12_GLOBAL__N_19CustomMaxEEEEE10hipError_tPvRmT0_T1_jT2_SS_T4_T3_P12ihipStream_tbEUlT_E_NS1_11comp_targetILNS1_3genE8ELNS1_11target_archE1030ELNS1_3gpuE2ELNS1_3repE0EEENS1_30default_config_static_selectorELNS0_4arch9wavefront6targetE0EEEvSR_,comdat
	.globl	_ZN7rocprim17ROCPRIM_400000_NS6detail17trampoline_kernelINS0_14default_configENS1_32segmented_reduce_config_selectorIN3c108BFloat16EEEZNS1_21segmented_reduce_implIS3_PKS6_PS6_PKlS6_N6hipcub16HIPCUB_304000_NS6detail27convert_result_type_wrapperISA_SB_N2at6native12_GLOBAL__N_19CustomMaxEEEEE10hipError_tPvRmT0_T1_jT2_SS_T4_T3_P12ihipStream_tbEUlT_E_NS1_11comp_targetILNS1_3genE8ELNS1_11target_archE1030ELNS1_3gpuE2ELNS1_3repE0EEENS1_30default_config_static_selectorELNS0_4arch9wavefront6targetE0EEEvSR_ ; -- Begin function _ZN7rocprim17ROCPRIM_400000_NS6detail17trampoline_kernelINS0_14default_configENS1_32segmented_reduce_config_selectorIN3c108BFloat16EEEZNS1_21segmented_reduce_implIS3_PKS6_PS6_PKlS6_N6hipcub16HIPCUB_304000_NS6detail27convert_result_type_wrapperISA_SB_N2at6native12_GLOBAL__N_19CustomMaxEEEEE10hipError_tPvRmT0_T1_jT2_SS_T4_T3_P12ihipStream_tbEUlT_E_NS1_11comp_targetILNS1_3genE8ELNS1_11target_archE1030ELNS1_3gpuE2ELNS1_3repE0EEENS1_30default_config_static_selectorELNS0_4arch9wavefront6targetE0EEEvSR_
	.p2align	8
	.type	_ZN7rocprim17ROCPRIM_400000_NS6detail17trampoline_kernelINS0_14default_configENS1_32segmented_reduce_config_selectorIN3c108BFloat16EEEZNS1_21segmented_reduce_implIS3_PKS6_PS6_PKlS6_N6hipcub16HIPCUB_304000_NS6detail27convert_result_type_wrapperISA_SB_N2at6native12_GLOBAL__N_19CustomMaxEEEEE10hipError_tPvRmT0_T1_jT2_SS_T4_T3_P12ihipStream_tbEUlT_E_NS1_11comp_targetILNS1_3genE8ELNS1_11target_archE1030ELNS1_3gpuE2ELNS1_3repE0EEENS1_30default_config_static_selectorELNS0_4arch9wavefront6targetE0EEEvSR_,@function
_ZN7rocprim17ROCPRIM_400000_NS6detail17trampoline_kernelINS0_14default_configENS1_32segmented_reduce_config_selectorIN3c108BFloat16EEEZNS1_21segmented_reduce_implIS3_PKS6_PS6_PKlS6_N6hipcub16HIPCUB_304000_NS6detail27convert_result_type_wrapperISA_SB_N2at6native12_GLOBAL__N_19CustomMaxEEEEE10hipError_tPvRmT0_T1_jT2_SS_T4_T3_P12ihipStream_tbEUlT_E_NS1_11comp_targetILNS1_3genE8ELNS1_11target_archE1030ELNS1_3gpuE2ELNS1_3repE0EEENS1_30default_config_static_selectorELNS0_4arch9wavefront6targetE0EEEvSR_: ; @_ZN7rocprim17ROCPRIM_400000_NS6detail17trampoline_kernelINS0_14default_configENS1_32segmented_reduce_config_selectorIN3c108BFloat16EEEZNS1_21segmented_reduce_implIS3_PKS6_PS6_PKlS6_N6hipcub16HIPCUB_304000_NS6detail27convert_result_type_wrapperISA_SB_N2at6native12_GLOBAL__N_19CustomMaxEEEEE10hipError_tPvRmT0_T1_jT2_SS_T4_T3_P12ihipStream_tbEUlT_E_NS1_11comp_targetILNS1_3genE8ELNS1_11target_archE1030ELNS1_3gpuE2ELNS1_3repE0EEENS1_30default_config_static_selectorELNS0_4arch9wavefront6targetE0EEEvSR_
; %bb.0:
	s_clause 0x2
	s_load_dwordx8 s[12:19], s[4:5], 0x0
	s_load_dword s8, s[4:5], 0x28
	s_load_dwordx2 s[0:1], s[4:5], 0x20
	s_mov_b32 s7, 0
	s_mov_b32 s22, s7
	s_waitcnt lgkmcnt(0)
	s_lshl_b64 s[2:3], s[16:17], 3
	s_lshr_b32 s9, s8, 16
	s_add_u32 s4, s18, s2
	s_addc_u32 s5, s19, s3
	s_add_u32 s8, s0, s2
	s_addc_u32 s10, s1, s3
	s_lshl_b64 s[0:1], s[6:7], 3
	s_add_u32 s2, s4, s0
	s_addc_u32 s3, s5, s1
	s_add_u32 s0, s8, s0
	s_addc_u32 s1, s10, s1
	s_load_dwordx2 s[18:19], s[2:3], 0x0
	s_load_dwordx2 s[10:11], s[0:1], 0x0
	s_mov_b32 s1, -1
	s_waitcnt lgkmcnt(0)
	v_cmp_gt_i64_e64 s0, s[10:11], s[18:19]
	s_and_b32 vcc_lo, exec_lo, s0
	v_cmp_eq_u32_e64 s0, 0, v0
	s_cbranch_vccnz .LBB254_2
; %bb.1:
	s_mov_b32 s1, 0
	s_and_b32 s22, s0, exec_lo
.LBB254_2:
	s_andn2_b32 vcc_lo, exec_lo, s1
	s_cbranch_vccnz .LBB254_68
; %bb.3:
	s_add_u32 s0, s18, 0x800
	s_addc_u32 s1, s19, 0
	v_cmp_le_i64_e64 s2, s[0:1], s[10:11]
	s_and_b32 vcc_lo, exec_lo, s2
	s_cbranch_vccz .LBB254_69
; %bb.4:
	v_lshlrev_b32_e32 v12, 1, v0
	s_lshl_b64 s[2:3], s[18:19], 1
	s_add_u32 s4, s12, s2
	s_addc_u32 s5, s13, s3
	v_add_co_u32 v1, s8, s4, v12
	v_add_co_ci_u32_e64 v2, null, s5, 0, s8
	global_load_ushort v11, v12, s[4:5]
	v_add_co_u32 v1, vcc_lo, 0x800, v1
	v_add_co_ci_u32_e64 v2, null, 0, v2, vcc_lo
	s_clause 0x6
	global_load_ushort v10, v12, s[4:5] offset:512
	global_load_ushort v9, v12, s[4:5] offset:1024
	;; [unrolled: 1-line block ×3, first 2 shown]
	global_load_ushort v7, v[1:2], off
	global_load_ushort v5, v[1:2], off offset:512
	global_load_ushort v4, v[1:2], off offset:1024
	;; [unrolled: 1-line block ×3, first 2 shown]
	s_mov_b32 s4, exec_lo
	s_waitcnt vmcnt(7)
	v_lshlrev_b32_e32 v1, 16, v11
	v_mov_b32_e32 v6, v11
	v_cmpx_o_f32_e32 v1, v1
	s_cbranch_execz .LBB254_8
; %bb.5:
	s_waitcnt vmcnt(6)
	v_lshlrev_b32_e32 v2, 16, v10
	v_mov_b32_e32 v6, v10
	s_mov_b32 s5, exec_lo
	v_cmpx_o_f32_e32 v2, v2
; %bb.6:
	v_cmp_lt_f32_e32 vcc_lo, v1, v2
	v_cndmask_b32_e32 v6, v11, v10, vcc_lo
	v_lshlrev_b32_e32 v2, 16, v6
; %bb.7:
	s_or_b32 exec_lo, exec_lo, s5
	v_mov_b32_e32 v1, v2
.LBB254_8:
	s_or_b32 exec_lo, exec_lo, s4
	s_mov_b32 s4, exec_lo
	v_cmpx_o_f32_e32 v1, v1
	s_cbranch_execz .LBB254_12
; %bb.9:
	s_waitcnt vmcnt(5)
	v_lshlrev_b32_e32 v2, 16, v9
	v_mov_b32_e32 v13, v9
	s_mov_b32 s5, exec_lo
	v_cmpx_o_f32_e32 v2, v2
; %bb.10:
	v_cmp_lt_f32_e32 vcc_lo, v1, v2
	v_cndmask_b32_e32 v13, v6, v9, vcc_lo
	v_lshlrev_b32_e32 v2, 16, v13
; %bb.11:
	s_or_b32 exec_lo, exec_lo, s5
	v_mov_b32_e32 v1, v2
	v_mov_b32_e32 v6, v13
.LBB254_12:
	s_or_b32 exec_lo, exec_lo, s4
	s_mov_b32 s4, exec_lo
	v_cmpx_o_f32_e32 v1, v1
	s_cbranch_execz .LBB254_16
; %bb.13:
	s_waitcnt vmcnt(4)
	v_lshlrev_b32_e32 v2, 16, v8
	v_mov_b32_e32 v13, v8
	s_mov_b32 s5, exec_lo
	v_cmpx_o_f32_e32 v2, v2
; %bb.14:
	v_cmp_lt_f32_e32 vcc_lo, v1, v2
	v_cndmask_b32_e32 v13, v6, v8, vcc_lo
	v_lshlrev_b32_e32 v2, 16, v13
; %bb.15:
	s_or_b32 exec_lo, exec_lo, s5
	v_mov_b32_e32 v1, v2
	v_mov_b32_e32 v6, v13
.LBB254_16:
	;; [unrolled: 19-line block ×5, first 2 shown]
	s_or_b32 exec_lo, exec_lo, s4
	s_mov_b32 s4, exec_lo
	v_cmpx_o_f32_e32 v1, v1
	s_cbranch_execz .LBB254_32
; %bb.29:
	s_waitcnt vmcnt(0)
	v_lshlrev_b32_e32 v13, 16, v3
	v_mov_b32_e32 v2, v3
	s_mov_b32 s5, exec_lo
	v_cmpx_o_f32_e32 v13, v13
; %bb.30:
	v_cmp_lt_f32_e32 vcc_lo, v1, v13
	v_cndmask_b32_e32 v2, v6, v3, vcc_lo
; %bb.31:
	s_or_b32 exec_lo, exec_lo, s5
	v_mov_b32_e32 v6, v2
.LBB254_32:
	s_or_b32 exec_lo, exec_lo, s4
	s_add_u32 s4, s18, 0x1000
	s_addc_u32 s5, s19, 0
	v_cmp_ge_i64_e64 s4, s[4:5], s[10:11]
	s_and_b32 vcc_lo, exec_lo, s4
	s_cbranch_vccnz .LBB254_70
; %bb.33:
	s_add_u32 s2, s12, s2
	s_addc_u32 s3, s13, s3
	v_add_co_u32 v1, s2, s2, v12
	v_add_co_ci_u32_e64 v2, null, s3, 0, s2
	v_add_co_u32 v1, vcc_lo, 0x1000, v1
	v_add_co_ci_u32_e64 v2, null, 0, v2, vcc_lo
.LBB254_34:                             ; =>This Inner Loop Header: Depth=1
	v_add_co_u32 v13, vcc_lo, 0x800, v1
	v_add_co_ci_u32_e64 v14, null, 0, v2, vcc_lo
	s_clause 0x7
	global_load_ushort v11, v[1:2], off
	global_load_ushort v10, v[1:2], off offset:512
	global_load_ushort v9, v[1:2], off offset:1024
	;; [unrolled: 1-line block ×3, first 2 shown]
	global_load_ushort v7, v[13:14], off
	global_load_ushort v5, v[13:14], off offset:512
	global_load_ushort v4, v[13:14], off offset:1024
	global_load_ushort v3, v[13:14], off offset:1536
	v_lshlrev_b32_e32 v13, 16, v6
	s_mov_b32 s2, exec_lo
	v_cmpx_o_f32_e32 v13, v13
	s_cbranch_execz .LBB254_38
; %bb.35:                               ;   in Loop: Header=BB254_34 Depth=1
	s_waitcnt vmcnt(7)
	v_lshlrev_b32_e32 v14, 16, v11
	v_mov_b32_e32 v15, v11
	s_mov_b32 s3, exec_lo
	v_cmpx_o_f32_e32 v14, v14
; %bb.36:                               ;   in Loop: Header=BB254_34 Depth=1
	v_cmp_lt_f32_e32 vcc_lo, v13, v14
	v_cndmask_b32_e32 v15, v6, v11, vcc_lo
	v_lshlrev_b32_e32 v14, 16, v15
; %bb.37:                               ;   in Loop: Header=BB254_34 Depth=1
	s_or_b32 exec_lo, exec_lo, s3
	v_mov_b32_e32 v13, v14
	v_mov_b32_e32 v6, v15
.LBB254_38:                             ;   in Loop: Header=BB254_34 Depth=1
	s_or_b32 exec_lo, exec_lo, s2
	s_mov_b32 s2, exec_lo
	v_cmpx_o_f32_e32 v13, v13
	s_cbranch_execz .LBB254_42
; %bb.39:                               ;   in Loop: Header=BB254_34 Depth=1
	s_waitcnt vmcnt(6)
	v_lshlrev_b32_e32 v14, 16, v10
	v_mov_b32_e32 v15, v10
	s_mov_b32 s3, exec_lo
	v_cmpx_o_f32_e32 v14, v14
; %bb.40:                               ;   in Loop: Header=BB254_34 Depth=1
	v_cmp_lt_f32_e32 vcc_lo, v13, v14
	v_cndmask_b32_e32 v15, v6, v10, vcc_lo
	v_lshlrev_b32_e32 v14, 16, v15
; %bb.41:                               ;   in Loop: Header=BB254_34 Depth=1
	s_or_b32 exec_lo, exec_lo, s3
	v_mov_b32_e32 v13, v14
	v_mov_b32_e32 v6, v15
.LBB254_42:                             ;   in Loop: Header=BB254_34 Depth=1
	s_or_b32 exec_lo, exec_lo, s2
	;; [unrolled: 19-line block ×7, first 2 shown]
	s_mov_b32 s2, exec_lo
	v_cmpx_o_f32_e32 v13, v13
	s_cbranch_execz .LBB254_66
; %bb.63:                               ;   in Loop: Header=BB254_34 Depth=1
	s_waitcnt vmcnt(0)
	v_lshlrev_b32_e32 v15, 16, v3
	v_mov_b32_e32 v14, v3
	s_mov_b32 s3, exec_lo
	v_cmpx_o_f32_e32 v15, v15
; %bb.64:                               ;   in Loop: Header=BB254_34 Depth=1
	v_cmp_lt_f32_e32 vcc_lo, v13, v15
	v_cndmask_b32_e32 v14, v6, v3, vcc_lo
; %bb.65:                               ;   in Loop: Header=BB254_34 Depth=1
	s_or_b32 exec_lo, exec_lo, s3
	v_mov_b32_e32 v6, v14
.LBB254_66:                             ;   in Loop: Header=BB254_34 Depth=1
	s_or_b32 exec_lo, exec_lo, s2
	s_add_u32 s2, s0, 0x800
	s_addc_u32 s3, s1, 0
	s_add_u32 s0, s0, 0x1000
	s_addc_u32 s1, s1, 0
	v_add_co_u32 v1, vcc_lo, 0x1000, v1
	v_cmp_lt_i64_e64 s0, s[0:1], s[10:11]
	v_add_co_ci_u32_e64 v2, null, 0, v2, vcc_lo
	s_and_b32 vcc_lo, exec_lo, s0
	s_cbranch_vccz .LBB254_71
; %bb.67:                               ;   in Loop: Header=BB254_34 Depth=1
	s_mov_b64 s[0:1], s[2:3]
	s_branch .LBB254_34
.LBB254_68:
	v_mov_b32_e32 v1, s9
	s_and_saveexec_b32 s0, s22
	s_cbranch_execnz .LBB254_281
	s_branch .LBB254_282
.LBB254_69:
                                        ; implicit-def: $vgpr2
	s_cbranch_execnz .LBB254_172
	s_branch .LBB254_274
.LBB254_70:
	s_mov_b64 s[2:3], s[0:1]
.LBB254_71:
	s_sub_i32 s23, s10, s2
	s_lshl_b64 s[0:1], s[2:3], 1
	v_cmp_gt_u32_e64 s8, s23, v0
	s_add_u32 s20, s12, s0
	s_addc_u32 s21, s13, s1
	s_and_saveexec_b32 s0, s8
	s_cbranch_execz .LBB254_73
; %bb.72:
	global_load_ushort v11, v12, s[20:21]
.LBB254_73:
	s_or_b32 exec_lo, exec_lo, s0
	v_or_b32_e32 v1, 0x100, v0
	v_cmp_gt_u32_e64 s5, s23, v1
	s_and_saveexec_b32 s0, s5
	s_cbranch_execz .LBB254_75
; %bb.74:
	global_load_ushort v10, v12, s[20:21] offset:512
.LBB254_75:
	s_or_b32 exec_lo, exec_lo, s0
	v_or_b32_e32 v1, 0x200, v0
	v_cmp_gt_u32_e64 s4, s23, v1
	s_and_saveexec_b32 s0, s4
	s_cbranch_execz .LBB254_77
; %bb.76:
	global_load_ushort v9, v12, s[20:21] offset:1024
.LBB254_77:
	;; [unrolled: 8-line block ×3, first 2 shown]
	s_or_b32 exec_lo, exec_lo, s0
	v_or_b32_e32 v1, 0x400, v0
	v_cmp_gt_u32_e64 s2, s23, v1
	s_and_saveexec_b32 s0, s2
	s_cbranch_execz .LBB254_81
; %bb.80:
	v_lshlrev_b32_e32 v1, 1, v1
	global_load_ushort v7, v1, s[20:21]
.LBB254_81:
	s_or_b32 exec_lo, exec_lo, s0
	v_or_b32_e32 v1, 0x500, v0
	v_cmp_gt_u32_e64 s1, s23, v1
	s_and_saveexec_b32 s0, s1
	s_cbranch_execz .LBB254_83
; %bb.82:
	v_lshlrev_b32_e32 v1, 1, v1
	global_load_ushort v5, v1, s[20:21]
.LBB254_83:
	;; [unrolled: 9-line block ×3, first 2 shown]
	s_or_b32 exec_lo, exec_lo, s24
	v_or_b32_e32 v1, 0x700, v0
	v_cmp_gt_u32_e32 vcc_lo, s23, v1
	s_and_saveexec_b32 s23, vcc_lo
	s_cbranch_execnz .LBB254_94
; %bb.86:
	s_or_b32 exec_lo, exec_lo, s23
	s_and_saveexec_b32 s20, s8
	s_cbranch_execnz .LBB254_95
.LBB254_87:
	s_or_b32 exec_lo, exec_lo, s20
	s_and_saveexec_b32 s8, s5
	s_cbranch_execnz .LBB254_100
.LBB254_88:
	s_or_b32 exec_lo, exec_lo, s8
	s_and_saveexec_b32 s5, s4
	s_cbranch_execnz .LBB254_105
.LBB254_89:
	s_or_b32 exec_lo, exec_lo, s5
	s_and_saveexec_b32 s4, s3
	s_cbranch_execnz .LBB254_110
.LBB254_90:
	s_or_b32 exec_lo, exec_lo, s4
	s_and_saveexec_b32 s3, s2
	s_cbranch_execnz .LBB254_115
.LBB254_91:
	s_or_b32 exec_lo, exec_lo, s3
	s_and_saveexec_b32 s2, s1
	s_cbranch_execnz .LBB254_120
.LBB254_92:
	s_or_b32 exec_lo, exec_lo, s2
	s_and_saveexec_b32 s1, s0
	s_cbranch_execnz .LBB254_125
.LBB254_93:
	s_or_b32 exec_lo, exec_lo, s1
	s_and_saveexec_b32 s0, vcc_lo
	s_cbranch_execnz .LBB254_130
	s_branch .LBB254_135
.LBB254_94:
	v_lshlrev_b32_e32 v1, 1, v1
	global_load_ushort v3, v1, s[20:21]
	s_or_b32 exec_lo, exec_lo, s23
	s_and_saveexec_b32 s20, s8
	s_cbranch_execz .LBB254_87
.LBB254_95:
	v_lshlrev_b32_e32 v1, 16, v6
	s_mov_b32 s21, exec_lo
	v_cmpx_o_f32_e32 v1, v1
	s_cbranch_execz .LBB254_99
; %bb.96:
	s_waitcnt vmcnt(0)
	v_lshlrev_b32_e32 v2, 16, v11
	s_mov_b32 s23, exec_lo
	v_cmpx_o_f32_e32 v2, v2
; %bb.97:
	v_cmp_lt_f32_e64 s8, v1, v2
	v_cndmask_b32_e64 v11, v6, v11, s8
; %bb.98:
	s_or_b32 exec_lo, exec_lo, s23
	v_mov_b32_e32 v6, v11
.LBB254_99:
	s_or_b32 exec_lo, exec_lo, s21
	s_or_b32 exec_lo, exec_lo, s20
	s_and_saveexec_b32 s8, s5
	s_cbranch_execz .LBB254_88
.LBB254_100:
	v_lshlrev_b32_e32 v1, 16, v6
	s_mov_b32 s20, exec_lo
	v_cmpx_o_f32_e32 v1, v1
	s_cbranch_execz .LBB254_104
; %bb.101:
	s_waitcnt vmcnt(0)
	v_lshlrev_b32_e32 v2, 16, v10
	s_mov_b32 s21, exec_lo
	v_cmpx_o_f32_e32 v2, v2
; %bb.102:
	v_cmp_lt_f32_e64 s5, v1, v2
	v_cndmask_b32_e64 v10, v6, v10, s5
; %bb.103:
	s_or_b32 exec_lo, exec_lo, s21
	v_mov_b32_e32 v6, v10
.LBB254_104:
	s_or_b32 exec_lo, exec_lo, s20
	s_or_b32 exec_lo, exec_lo, s8
	s_and_saveexec_b32 s5, s4
	s_cbranch_execz .LBB254_89
.LBB254_105:
	v_lshlrev_b32_e32 v1, 16, v6
	s_mov_b32 s8, exec_lo
	v_cmpx_o_f32_e32 v1, v1
	s_cbranch_execz .LBB254_109
; %bb.106:
	s_waitcnt vmcnt(0)
	v_lshlrev_b32_e32 v2, 16, v9
	s_mov_b32 s20, exec_lo
	v_cmpx_o_f32_e32 v2, v2
; %bb.107:
	v_cmp_lt_f32_e64 s4, v1, v2
	v_cndmask_b32_e64 v9, v6, v9, s4
; %bb.108:
	s_or_b32 exec_lo, exec_lo, s20
	v_mov_b32_e32 v6, v9
.LBB254_109:
	s_or_b32 exec_lo, exec_lo, s8
	s_or_b32 exec_lo, exec_lo, s5
	s_and_saveexec_b32 s4, s3
	s_cbranch_execz .LBB254_90
.LBB254_110:
	v_lshlrev_b32_e32 v1, 16, v6
	s_mov_b32 s5, exec_lo
	v_cmpx_o_f32_e32 v1, v1
	s_cbranch_execz .LBB254_114
; %bb.111:
	s_waitcnt vmcnt(0)
	v_lshlrev_b32_e32 v2, 16, v8
	s_mov_b32 s8, exec_lo
	v_cmpx_o_f32_e32 v2, v2
; %bb.112:
	v_cmp_lt_f32_e64 s3, v1, v2
	v_cndmask_b32_e64 v8, v6, v8, s3
; %bb.113:
	s_or_b32 exec_lo, exec_lo, s8
	v_mov_b32_e32 v6, v8
.LBB254_114:
	s_or_b32 exec_lo, exec_lo, s5
	s_or_b32 exec_lo, exec_lo, s4
	s_and_saveexec_b32 s3, s2
	s_cbranch_execz .LBB254_91
.LBB254_115:
	v_lshlrev_b32_e32 v1, 16, v6
	s_mov_b32 s4, exec_lo
	v_cmpx_o_f32_e32 v1, v1
	s_cbranch_execz .LBB254_119
; %bb.116:
	s_waitcnt vmcnt(0)
	v_lshlrev_b32_e32 v2, 16, v7
	s_mov_b32 s5, exec_lo
	v_cmpx_o_f32_e32 v2, v2
; %bb.117:
	v_cmp_lt_f32_e64 s2, v1, v2
	v_cndmask_b32_e64 v7, v6, v7, s2
; %bb.118:
	s_or_b32 exec_lo, exec_lo, s5
	v_mov_b32_e32 v6, v7
.LBB254_119:
	s_or_b32 exec_lo, exec_lo, s4
	s_or_b32 exec_lo, exec_lo, s3
	s_and_saveexec_b32 s2, s1
	s_cbranch_execz .LBB254_92
.LBB254_120:
	v_lshlrev_b32_e32 v1, 16, v6
	s_mov_b32 s3, exec_lo
	v_cmpx_o_f32_e32 v1, v1
	s_cbranch_execz .LBB254_124
; %bb.121:
	s_waitcnt vmcnt(0)
	v_lshlrev_b32_e32 v2, 16, v5
	s_mov_b32 s4, exec_lo
	v_cmpx_o_f32_e32 v2, v2
; %bb.122:
	v_cmp_lt_f32_e64 s1, v1, v2
	v_cndmask_b32_e64 v5, v6, v5, s1
; %bb.123:
	s_or_b32 exec_lo, exec_lo, s4
	v_mov_b32_e32 v6, v5
.LBB254_124:
	s_or_b32 exec_lo, exec_lo, s3
	s_or_b32 exec_lo, exec_lo, s2
	s_and_saveexec_b32 s1, s0
	s_cbranch_execz .LBB254_93
.LBB254_125:
	v_lshlrev_b32_e32 v1, 16, v6
	s_mov_b32 s2, exec_lo
	v_cmpx_o_f32_e32 v1, v1
	s_cbranch_execz .LBB254_129
; %bb.126:
	s_waitcnt vmcnt(0)
	v_lshlrev_b32_e32 v2, 16, v4
	s_mov_b32 s3, exec_lo
	v_cmpx_o_f32_e32 v2, v2
; %bb.127:
	v_cmp_lt_f32_e64 s0, v1, v2
	v_cndmask_b32_e64 v4, v6, v4, s0
; %bb.128:
	s_or_b32 exec_lo, exec_lo, s3
	v_mov_b32_e32 v6, v4
.LBB254_129:
	s_or_b32 exec_lo, exec_lo, s2
	s_or_b32 exec_lo, exec_lo, s1
	s_and_saveexec_b32 s0, vcc_lo
	s_cbranch_execz .LBB254_135
.LBB254_130:
	v_lshlrev_b32_e32 v1, 16, v6
	s_mov_b32 s1, exec_lo
	v_cmpx_o_f32_e32 v1, v1
	s_cbranch_execz .LBB254_134
; %bb.131:
	s_waitcnt vmcnt(0)
	v_lshlrev_b32_e32 v2, 16, v3
	s_mov_b32 s2, exec_lo
	v_cmpx_o_f32_e32 v2, v2
; %bb.132:
	v_cmp_lt_f32_e32 vcc_lo, v1, v2
	v_cndmask_b32_e32 v3, v6, v3, vcc_lo
; %bb.133:
	s_or_b32 exec_lo, exec_lo, s2
	v_mov_b32_e32 v6, v3
.LBB254_134:
	s_or_b32 exec_lo, exec_lo, s1
.LBB254_135:
	s_or_b32 exec_lo, exec_lo, s0
	s_waitcnt vmcnt(0)
	v_and_b32_e32 v3, 0xffff, v6
	s_mov_b32 s0, exec_lo
	v_mov_b32_dpp v1, v3 quad_perm:[1,0,3,2] row_mask:0xf bank_mask:0xf
	v_lshlrev_b32_e32 v2, 16, v1
	v_cmpx_o_f32_e32 v2, v2
	s_xor_b32 s0, exec_lo, s0
	s_cbranch_execz .LBB254_139
; %bb.136:
	v_lshlrev_b32_e32 v3, 16, v3
	s_mov_b32 s1, exec_lo
	v_cmpx_o_f32_e32 v3, v3
; %bb.137:
	v_cmp_lt_f32_e32 vcc_lo, v2, v3
	v_cndmask_b32_e32 v6, v1, v6, vcc_lo
; %bb.138:
	s_or_b32 exec_lo, exec_lo, s1
	v_mov_b32_e32 v1, v6
.LBB254_139:
	s_or_b32 exec_lo, exec_lo, s0
	v_and_b32_e32 v4, 0xffff, v1
	s_mov_b32 s0, exec_lo
	v_mov_b32_dpp v2, v4 quad_perm:[2,3,0,1] row_mask:0xf bank_mask:0xf
	v_lshlrev_b32_e32 v3, 16, v2
	v_cmpx_o_f32_e32 v3, v3
	s_cbranch_execz .LBB254_143
; %bb.140:
	v_lshlrev_b32_e32 v4, 16, v4
	s_mov_b32 s1, exec_lo
	v_cmpx_o_f32_e32 v4, v4
; %bb.141:
	v_cmp_lt_f32_e32 vcc_lo, v3, v4
	v_cndmask_b32_e32 v1, v2, v1, vcc_lo
; %bb.142:
	s_or_b32 exec_lo, exec_lo, s1
	v_mov_b32_e32 v2, v1
.LBB254_143:
	s_or_b32 exec_lo, exec_lo, s0
	v_and_b32_e32 v4, 0xffff, v2
	s_mov_b32 s0, exec_lo
	v_mov_b32_dpp v1, v4 row_ror:4 row_mask:0xf bank_mask:0xf
	v_lshlrev_b32_e32 v3, 16, v1
	v_cmpx_o_f32_e32 v3, v3
	s_cbranch_execz .LBB254_147
; %bb.144:
	v_lshlrev_b32_e32 v4, 16, v4
	s_mov_b32 s1, exec_lo
	v_cmpx_o_f32_e32 v4, v4
; %bb.145:
	v_cmp_lt_f32_e32 vcc_lo, v3, v4
	v_cndmask_b32_e32 v2, v1, v2, vcc_lo
; %bb.146:
	s_or_b32 exec_lo, exec_lo, s1
	v_mov_b32_e32 v1, v2
.LBB254_147:
	s_or_b32 exec_lo, exec_lo, s0
	v_and_b32_e32 v4, 0xffff, v1
	s_mov_b32 s0, exec_lo
	v_mov_b32_dpp v2, v4 row_ror:8 row_mask:0xf bank_mask:0xf
	v_lshlrev_b32_e32 v3, 16, v2
	v_cmpx_o_f32_e32 v3, v3
	s_cbranch_execz .LBB254_151
; %bb.148:
	v_lshlrev_b32_e32 v4, 16, v4
	s_mov_b32 s1, exec_lo
	v_cmpx_o_f32_e32 v4, v4
; %bb.149:
	v_cmp_lt_f32_e32 vcc_lo, v3, v4
	v_cndmask_b32_e32 v1, v2, v1, vcc_lo
; %bb.150:
	s_or_b32 exec_lo, exec_lo, s1
	v_mov_b32_e32 v2, v1
.LBB254_151:
	s_or_b32 exec_lo, exec_lo, s0
	v_and_b32_e32 v4, 0xffff, v2
	s_mov_b32 s0, exec_lo
	ds_swizzle_b32 v1, v4 offset:swizzle(BROADCAST,32,15)
	s_waitcnt lgkmcnt(0)
	v_lshlrev_b32_e32 v3, 16, v1
	v_cmpx_o_f32_e32 v3, v3
	s_cbranch_execz .LBB254_155
; %bb.152:
	v_lshlrev_b32_e32 v4, 16, v4
	s_mov_b32 s1, exec_lo
	v_cmpx_o_f32_e32 v4, v4
; %bb.153:
	v_cmp_lt_f32_e32 vcc_lo, v3, v4
	v_cndmask_b32_e32 v2, v1, v2, vcc_lo
; %bb.154:
	s_or_b32 exec_lo, exec_lo, s1
	v_mov_b32_e32 v1, v2
.LBB254_155:
	s_or_b32 exec_lo, exec_lo, s0
	v_and_b32_e32 v1, 0xffff, v1
	v_mov_b32_e32 v2, 0
	s_mov_b32 s0, exec_lo
	ds_bpermute_b32 v2, v2, v1 offset:124
	v_mbcnt_lo_u32_b32 v1, -1, 0
	v_cmpx_eq_u32_e32 0, v1
	s_cbranch_execz .LBB254_157
; %bb.156:
	v_lshrrev_b32_e32 v3, 4, v0
	v_and_b32_e32 v3, 14, v3
	s_waitcnt lgkmcnt(0)
	ds_write_b16 v3, v2
.LBB254_157:
	s_or_b32 exec_lo, exec_lo, s0
	s_mov_b32 s0, exec_lo
	s_waitcnt lgkmcnt(0)
	s_barrier
	buffer_gl0_inv
	v_cmpx_gt_u32_e32 32, v0
	s_cbranch_execz .LBB254_171
; %bb.158:
	v_and_b32_e32 v3, 7, v1
	s_mov_b32 s1, exec_lo
	v_lshlrev_b32_e32 v2, 1, v3
	v_cmp_ne_u32_e32 vcc_lo, 7, v3
	ds_read_u16 v2, v2
	v_add_co_ci_u32_e64 v4, null, 0, v1, vcc_lo
	v_lshlrev_b32_e32 v4, 2, v4
	s_waitcnt lgkmcnt(0)
	v_and_b32_e32 v5, 0xffff, v2
	ds_bpermute_b32 v4, v4, v5
	v_lshlrev_b32_e32 v5, 16, v2
	v_cmpx_o_f32_e32 v5, v5
	s_cbranch_execz .LBB254_162
; %bb.159:
	s_waitcnt lgkmcnt(0)
	v_lshlrev_b32_e32 v6, 16, v4
	s_mov_b32 s2, exec_lo
	v_cmpx_o_f32_e32 v6, v6
; %bb.160:
	v_cmp_lt_f32_e32 vcc_lo, v5, v6
	v_cndmask_b32_e32 v4, v2, v4, vcc_lo
; %bb.161:
	s_or_b32 exec_lo, exec_lo, s2
	v_mov_b32_e32 v2, v4
.LBB254_162:
	s_or_b32 exec_lo, exec_lo, s1
	v_cmp_gt_u32_e32 vcc_lo, 6, v3
	s_waitcnt lgkmcnt(0)
	v_and_b32_e32 v4, 0xffff, v2
	s_mov_b32 s1, exec_lo
	v_cndmask_b32_e64 v3, 0, 2, vcc_lo
	v_add_lshl_u32 v3, v3, v1, 2
	v_lshlrev_b32_e32 v1, 2, v1
	ds_bpermute_b32 v3, v3, v4
	v_lshlrev_b32_e32 v4, 16, v2
	v_cmpx_o_f32_e32 v4, v4
	s_cbranch_execz .LBB254_166
; %bb.163:
	s_waitcnt lgkmcnt(0)
	v_lshlrev_b32_e32 v5, 16, v3
	s_mov_b32 s2, exec_lo
	v_cmpx_o_f32_e32 v5, v5
; %bb.164:
	v_cmp_lt_f32_e32 vcc_lo, v4, v5
	v_cndmask_b32_e32 v3, v2, v3, vcc_lo
; %bb.165:
	s_or_b32 exec_lo, exec_lo, s2
	v_mov_b32_e32 v2, v3
.LBB254_166:
	s_or_b32 exec_lo, exec_lo, s1
	v_or_b32_e32 v1, 16, v1
	s_waitcnt lgkmcnt(0)
	v_and_b32_e32 v3, 0xffff, v2
	s_mov_b32 s1, exec_lo
	ds_bpermute_b32 v1, v1, v3
	v_lshlrev_b32_e32 v3, 16, v2
	v_cmpx_o_f32_e32 v3, v3
	s_cbranch_execz .LBB254_170
; %bb.167:
	s_waitcnt lgkmcnt(0)
	v_lshlrev_b32_e32 v4, 16, v1
	s_mov_b32 s2, exec_lo
	v_cmpx_o_f32_e32 v4, v4
; %bb.168:
	v_cmp_lt_f32_e32 vcc_lo, v3, v4
	v_cndmask_b32_e32 v1, v2, v1, vcc_lo
; %bb.169:
	s_or_b32 exec_lo, exec_lo, s2
	v_mov_b32_e32 v2, v1
.LBB254_170:
	s_or_b32 exec_lo, exec_lo, s1
.LBB254_171:
	s_or_b32 exec_lo, exec_lo, s0
	s_branch .LBB254_274
.LBB254_172:
	s_sub_i32 s1, s10, s18
	s_mov_b32 s2, exec_lo
                                        ; implicit-def: $vgpr5
	v_cmpx_gt_u32_e64 s1, v0
	s_cbranch_execz .LBB254_182
; %bb.173:
	s_waitcnt lgkmcnt(0)
	v_add_co_u32 v1, s0, s18, v0
	v_add_co_ci_u32_e64 v2, null, s19, 0, s0
	s_mov_b32 s3, exec_lo
	v_lshlrev_b64 v[3:4], 1, v[1:2]
	v_add_co_u32 v3, vcc_lo, s12, v3
	v_add_co_ci_u32_e64 v4, null, s13, v4, vcc_lo
	v_add_co_u32 v1, vcc_lo, 0x100, v1
	v_add_co_ci_u32_e64 v2, null, 0, v2, vcc_lo
	global_load_ushort v5, v[3:4], off
	v_cmpx_gt_i64_e64 s[10:11], v[1:2]
	s_cbranch_execz .LBB254_181
; %bb.174:
	v_add_co_u32 v3, vcc_lo, 0x200, v3
	v_add_co_ci_u32_e64 v4, null, 0, v4, vcc_lo
	s_mov_b32 s4, 0
	s_inst_prefetch 0x1
	s_branch .LBB254_177
	.p2align	6
.LBB254_175:                            ;   in Loop: Header=BB254_177 Depth=1
	s_or_b32 exec_lo, exec_lo, s5
	v_mov_b32_e32 v5, v7
.LBB254_176:                            ;   in Loop: Header=BB254_177 Depth=1
	s_or_b32 exec_lo, exec_lo, s0
	v_add_co_u32 v1, vcc_lo, 0x100, v1
	v_add_co_ci_u32_e64 v2, null, 0, v2, vcc_lo
	v_add_co_u32 v3, s0, 0x200, v3
	v_add_co_ci_u32_e64 v4, null, 0, v4, s0
	v_cmp_le_i64_e32 vcc_lo, s[10:11], v[1:2]
	s_or_b32 s4, vcc_lo, s4
	s_andn2_b32 exec_lo, exec_lo, s4
	s_cbranch_execz .LBB254_180
.LBB254_177:                            ; =>This Inner Loop Header: Depth=1
	s_waitcnt vmcnt(0)
	v_lshlrev_b32_e32 v6, 16, v5
	s_mov_b32 s0, exec_lo
	v_cmpx_o_f32_e32 v6, v6
	s_cbranch_execz .LBB254_176
; %bb.178:                              ;   in Loop: Header=BB254_177 Depth=1
	global_load_ushort v7, v[3:4], off
	s_mov_b32 s5, exec_lo
	s_waitcnt vmcnt(0)
	v_lshlrev_b32_e32 v8, 16, v7
	v_cmpx_o_f32_e32 v8, v8
	s_cbranch_execz .LBB254_175
; %bb.179:                              ;   in Loop: Header=BB254_177 Depth=1
	v_cmp_lt_f32_e32 vcc_lo, v6, v8
	v_cndmask_b32_e32 v7, v5, v7, vcc_lo
	s_branch .LBB254_175
.LBB254_180:
	s_inst_prefetch 0x2
	s_or_b32 exec_lo, exec_lo, s4
.LBB254_181:
	s_or_b32 exec_lo, exec_lo, s3
.LBB254_182:
	s_or_b32 exec_lo, exec_lo, s2
	v_lshrrev_b32_e32 v3, 5, v0
	s_waitcnt lgkmcnt(0)
	v_mbcnt_lo_u32_b32 v1, -1, 0
	s_waitcnt vmcnt(0)
	v_and_b32_e32 v4, 0xffff, v5
	s_cmpk_lt_u32 s1, 0x100
	s_mov_b32 s0, -1
                                        ; implicit-def: $vgpr2
	s_cbranch_scc0 .LBB254_236
; %bb.183:
	v_cmp_ne_u32_e32 vcc_lo, 31, v1
	v_mov_b32_e32 v8, v4
	v_add_co_ci_u32_e64 v2, null, 0, v1, vcc_lo
	v_lshlrev_b32_e32 v2, 2, v2
	ds_bpermute_b32 v7, v2, v4
	v_and_b32_e32 v2, 0xe0, v0
	v_sub_nc_u32_e64 v6, s1, v2 clamp
	v_add_nc_u32_e32 v2, 1, v1
	v_cmp_lt_u32_e32 vcc_lo, v2, v6
	v_mov_b32_e32 v2, v5
	s_and_saveexec_b32 s0, vcc_lo
	s_cbranch_execz .LBB254_189
; %bb.184:
	v_lshlrev_b32_e32 v8, 16, v4
	v_mov_b32_e32 v2, v5
	s_mov_b32 s2, exec_lo
	v_cmpx_o_f32_e32 v8, v8
	s_cbranch_execz .LBB254_188
; %bb.185:
	s_waitcnt lgkmcnt(0)
	v_lshlrev_b32_e32 v2, 16, v7
	s_mov_b32 s3, exec_lo
	v_cmpx_o_f32_e32 v2, v2
; %bb.186:
	v_cmp_lt_f32_e32 vcc_lo, v8, v2
	v_cndmask_b32_e32 v7, v5, v7, vcc_lo
; %bb.187:
	s_or_b32 exec_lo, exec_lo, s3
	v_mov_b32_e32 v2, v7
.LBB254_188:
	s_or_b32 exec_lo, exec_lo, s2
	v_and_b32_e32 v8, 0xffff, v2
.LBB254_189:
	s_or_b32 exec_lo, exec_lo, s0
	v_cmp_gt_u32_e32 vcc_lo, 30, v1
	v_add_nc_u32_e32 v9, 2, v1
	s_mov_b32 s0, exec_lo
	s_waitcnt lgkmcnt(0)
	v_cndmask_b32_e64 v7, 0, 2, vcc_lo
	v_add_lshl_u32 v7, v7, v1, 2
	ds_bpermute_b32 v7, v7, v8
	v_cmpx_lt_u32_e64 v9, v6
	s_cbranch_execz .LBB254_195
; %bb.190:
	v_lshlrev_b32_e32 v8, 16, v8
	s_mov_b32 s2, exec_lo
	v_cmpx_o_f32_e32 v8, v8
	s_cbranch_execz .LBB254_194
; %bb.191:
	s_waitcnt lgkmcnt(0)
	v_lshlrev_b32_e32 v9, 16, v7
	s_mov_b32 s3, exec_lo
	v_cmpx_o_f32_e32 v9, v9
; %bb.192:
	v_cmp_lt_f32_e32 vcc_lo, v8, v9
	v_cndmask_b32_e32 v7, v2, v7, vcc_lo
; %bb.193:
	s_or_b32 exec_lo, exec_lo, s3
	v_mov_b32_e32 v2, v7
.LBB254_194:
	s_or_b32 exec_lo, exec_lo, s2
	v_and_b32_e32 v8, 0xffff, v2
.LBB254_195:
	s_or_b32 exec_lo, exec_lo, s0
	v_cmp_gt_u32_e32 vcc_lo, 28, v1
	v_add_nc_u32_e32 v9, 4, v1
	s_mov_b32 s0, exec_lo
	s_waitcnt lgkmcnt(0)
	v_cndmask_b32_e64 v7, 0, 4, vcc_lo
	v_add_lshl_u32 v7, v7, v1, 2
	ds_bpermute_b32 v7, v7, v8
	v_cmpx_lt_u32_e64 v9, v6
	s_cbranch_execz .LBB254_201
; %bb.196:
	v_lshlrev_b32_e32 v8, 16, v8
	s_mov_b32 s2, exec_lo
	v_cmpx_o_f32_e32 v8, v8
	s_cbranch_execz .LBB254_200
; %bb.197:
	s_waitcnt lgkmcnt(0)
	v_lshlrev_b32_e32 v9, 16, v7
	s_mov_b32 s3, exec_lo
	v_cmpx_o_f32_e32 v9, v9
; %bb.198:
	v_cmp_lt_f32_e32 vcc_lo, v8, v9
	v_cndmask_b32_e32 v7, v2, v7, vcc_lo
; %bb.199:
	s_or_b32 exec_lo, exec_lo, s3
	v_mov_b32_e32 v2, v7
.LBB254_200:
	s_or_b32 exec_lo, exec_lo, s2
	v_and_b32_e32 v8, 0xffff, v2
.LBB254_201:
	;; [unrolled: 30-line block ×3, first 2 shown]
	s_or_b32 exec_lo, exec_lo, s0
	s_waitcnt lgkmcnt(0)
	v_lshlrev_b32_e32 v7, 2, v1
	v_add_nc_u32_e32 v10, 16, v1
	s_mov_b32 s0, exec_lo
	v_or_b32_e32 v9, 64, v7
	ds_bpermute_b32 v9, v9, v8
	v_cmpx_lt_u32_e64 v10, v6
	s_cbranch_execz .LBB254_213
; %bb.208:
	v_lshlrev_b32_e32 v6, 16, v8
	s_mov_b32 s2, exec_lo
	v_cmpx_o_f32_e32 v6, v6
	s_cbranch_execz .LBB254_212
; %bb.209:
	s_waitcnt lgkmcnt(0)
	v_lshlrev_b32_e32 v8, 16, v9
	s_mov_b32 s3, exec_lo
	v_cmpx_o_f32_e32 v8, v8
; %bb.210:
	v_cmp_lt_f32_e32 vcc_lo, v6, v8
	v_cndmask_b32_e32 v9, v2, v9, vcc_lo
; %bb.211:
	s_or_b32 exec_lo, exec_lo, s3
	v_mov_b32_e32 v2, v9
.LBB254_212:
	s_or_b32 exec_lo, exec_lo, s2
.LBB254_213:
	s_or_b32 exec_lo, exec_lo, s0
	s_mov_b32 s0, exec_lo
	v_cmpx_eq_u32_e32 0, v1
; %bb.214:
	v_lshlrev_b32_e32 v6, 1, v3
	ds_write_b16 v6, v2
; %bb.215:
	s_or_b32 exec_lo, exec_lo, s0
	s_mov_b32 s0, exec_lo
	s_waitcnt lgkmcnt(0)
	s_barrier
	buffer_gl0_inv
	v_cmpx_gt_u32_e32 8, v0
	s_cbranch_execz .LBB254_235
; %bb.216:
	v_lshlrev_b32_e32 v2, 1, v1
	v_and_b32_e32 v6, 7, v1
	s_add_i32 s1, s1, 31
	s_mov_b32 s2, exec_lo
	s_lshr_b32 s1, s1, 5
	ds_read_u16 v2, v2
	v_cmp_ne_u32_e32 vcc_lo, 7, v6
	v_add_nc_u32_e32 v10, 1, v6
	v_add_co_ci_u32_e64 v8, null, 0, v1, vcc_lo
	v_lshlrev_b32_e32 v9, 2, v8
	s_waitcnt lgkmcnt(0)
	v_and_b32_e32 v8, 0xffff, v2
	ds_bpermute_b32 v9, v9, v8
	v_cmpx_gt_u32_e64 s1, v10
	s_cbranch_execz .LBB254_222
; %bb.217:
	v_lshlrev_b32_e32 v8, 16, v8
	s_mov_b32 s3, exec_lo
	v_cmpx_o_f32_e32 v8, v8
	s_cbranch_execz .LBB254_221
; %bb.218:
	s_waitcnt lgkmcnt(0)
	v_lshlrev_b32_e32 v10, 16, v9
	s_mov_b32 s4, exec_lo
	v_cmpx_o_f32_e32 v10, v10
; %bb.219:
	v_cmp_lt_f32_e32 vcc_lo, v8, v10
	v_cndmask_b32_e32 v9, v2, v9, vcc_lo
; %bb.220:
	s_or_b32 exec_lo, exec_lo, s4
	v_mov_b32_e32 v2, v9
.LBB254_221:
	s_or_b32 exec_lo, exec_lo, s3
	v_and_b32_e32 v8, 0xffff, v2
.LBB254_222:
	s_or_b32 exec_lo, exec_lo, s2
	v_cmp_gt_u32_e32 vcc_lo, 6, v6
	v_add_nc_u32_e32 v10, 2, v6
	s_mov_b32 s2, exec_lo
	s_waitcnt lgkmcnt(0)
	v_cndmask_b32_e64 v9, 0, 2, vcc_lo
	v_add_lshl_u32 v9, v9, v1, 2
	ds_bpermute_b32 v9, v9, v8
	v_cmpx_gt_u32_e64 s1, v10
	s_cbranch_execz .LBB254_228
; %bb.223:
	v_lshlrev_b32_e32 v8, 16, v8
	s_mov_b32 s3, exec_lo
	v_cmpx_o_f32_e32 v8, v8
	s_cbranch_execz .LBB254_227
; %bb.224:
	s_waitcnt lgkmcnt(0)
	v_lshlrev_b32_e32 v10, 16, v9
	s_mov_b32 s4, exec_lo
	v_cmpx_o_f32_e32 v10, v10
; %bb.225:
	v_cmp_lt_f32_e32 vcc_lo, v8, v10
	v_cndmask_b32_e32 v9, v2, v9, vcc_lo
; %bb.226:
	s_or_b32 exec_lo, exec_lo, s4
	v_mov_b32_e32 v2, v9
.LBB254_227:
	s_or_b32 exec_lo, exec_lo, s3
	v_and_b32_e32 v8, 0xffff, v2
.LBB254_228:
	s_or_b32 exec_lo, exec_lo, s2
	v_or_b32_e32 v7, 16, v7
	v_add_nc_u32_e32 v6, 4, v6
	ds_bpermute_b32 v7, v7, v8
	v_cmp_gt_u32_e32 vcc_lo, s1, v6
	s_and_saveexec_b32 s1, vcc_lo
	s_cbranch_execz .LBB254_234
; %bb.229:
	v_lshlrev_b32_e32 v6, 16, v8
	s_mov_b32 s2, exec_lo
	v_cmpx_o_f32_e32 v6, v6
	s_cbranch_execz .LBB254_233
; %bb.230:
	s_waitcnt lgkmcnt(0)
	v_lshlrev_b32_e32 v8, 16, v7
	s_mov_b32 s3, exec_lo
	v_cmpx_o_f32_e32 v8, v8
; %bb.231:
	v_cmp_lt_f32_e32 vcc_lo, v6, v8
	v_cndmask_b32_e32 v7, v2, v7, vcc_lo
; %bb.232:
	s_or_b32 exec_lo, exec_lo, s3
	v_mov_b32_e32 v2, v7
.LBB254_233:
	s_or_b32 exec_lo, exec_lo, s2
.LBB254_234:
	s_or_b32 exec_lo, exec_lo, s1
.LBB254_235:
	s_or_b32 exec_lo, exec_lo, s0
	s_mov_b32 s0, 0
.LBB254_236:
	s_and_b32 vcc_lo, exec_lo, s0
	s_cbranch_vccz .LBB254_274
; %bb.237:
	v_mov_b32_dpp v2, v4 quad_perm:[1,0,3,2] row_mask:0xf bank_mask:0xf
	s_mov_b32 s0, exec_lo
	v_lshlrev_b32_e32 v6, 16, v2
	v_cmpx_o_f32_e32 v6, v6
	s_cbranch_execz .LBB254_241
; %bb.238:
	v_lshlrev_b32_e32 v4, 16, v4
	s_mov_b32 s1, exec_lo
	v_cmpx_o_f32_e32 v4, v4
; %bb.239:
	v_cmp_lt_f32_e32 vcc_lo, v6, v4
	v_cndmask_b32_e32 v5, v2, v5, vcc_lo
; %bb.240:
	s_or_b32 exec_lo, exec_lo, s1
	v_mov_b32_e32 v2, v5
.LBB254_241:
	s_or_b32 exec_lo, exec_lo, s0
	v_and_b32_e32 v6, 0xffff, v2
	s_mov_b32 s0, exec_lo
	v_mov_b32_dpp v4, v6 quad_perm:[2,3,0,1] row_mask:0xf bank_mask:0xf
	v_lshlrev_b32_e32 v5, 16, v4
	v_cmpx_o_f32_e32 v5, v5
	s_cbranch_execz .LBB254_245
; %bb.242:
	v_lshlrev_b32_e32 v6, 16, v6
	s_mov_b32 s1, exec_lo
	v_cmpx_o_f32_e32 v6, v6
; %bb.243:
	v_cmp_lt_f32_e32 vcc_lo, v5, v6
	v_cndmask_b32_e32 v2, v4, v2, vcc_lo
; %bb.244:
	s_or_b32 exec_lo, exec_lo, s1
	v_mov_b32_e32 v4, v2
.LBB254_245:
	s_or_b32 exec_lo, exec_lo, s0
	v_and_b32_e32 v6, 0xffff, v4
	s_mov_b32 s0, exec_lo
	v_mov_b32_dpp v2, v6 row_ror:4 row_mask:0xf bank_mask:0xf
	v_lshlrev_b32_e32 v5, 16, v2
	v_cmpx_o_f32_e32 v5, v5
	s_cbranch_execz .LBB254_249
; %bb.246:
	v_lshlrev_b32_e32 v6, 16, v6
	s_mov_b32 s1, exec_lo
	v_cmpx_o_f32_e32 v6, v6
; %bb.247:
	v_cmp_lt_f32_e32 vcc_lo, v5, v6
	v_cndmask_b32_e32 v4, v2, v4, vcc_lo
; %bb.248:
	s_or_b32 exec_lo, exec_lo, s1
	v_mov_b32_e32 v2, v4
.LBB254_249:
	s_or_b32 exec_lo, exec_lo, s0
	v_and_b32_e32 v6, 0xffff, v2
	s_mov_b32 s0, exec_lo
	v_mov_b32_dpp v4, v6 row_ror:8 row_mask:0xf bank_mask:0xf
	v_lshlrev_b32_e32 v5, 16, v4
	v_cmpx_o_f32_e32 v5, v5
	s_cbranch_execz .LBB254_253
; %bb.250:
	v_lshlrev_b32_e32 v6, 16, v6
	s_mov_b32 s1, exec_lo
	v_cmpx_o_f32_e32 v6, v6
; %bb.251:
	v_cmp_lt_f32_e32 vcc_lo, v5, v6
	v_cndmask_b32_e32 v2, v4, v2, vcc_lo
; %bb.252:
	s_or_b32 exec_lo, exec_lo, s1
	v_mov_b32_e32 v4, v2
.LBB254_253:
	s_or_b32 exec_lo, exec_lo, s0
	v_and_b32_e32 v6, 0xffff, v4
	s_mov_b32 s0, exec_lo
	ds_swizzle_b32 v2, v6 offset:swizzle(BROADCAST,32,15)
	s_waitcnt lgkmcnt(0)
	v_lshlrev_b32_e32 v5, 16, v2
	v_cmpx_o_f32_e32 v5, v5
	s_cbranch_execz .LBB254_257
; %bb.254:
	v_lshlrev_b32_e32 v6, 16, v6
	s_mov_b32 s1, exec_lo
	v_cmpx_o_f32_e32 v6, v6
; %bb.255:
	v_cmp_lt_f32_e32 vcc_lo, v5, v6
	v_cndmask_b32_e32 v4, v2, v4, vcc_lo
; %bb.256:
	s_or_b32 exec_lo, exec_lo, s1
	v_mov_b32_e32 v2, v4
.LBB254_257:
	s_or_b32 exec_lo, exec_lo, s0
	v_and_b32_e32 v2, 0xffff, v2
	v_mov_b32_e32 v4, 0
	s_mov_b32 s0, exec_lo
	ds_bpermute_b32 v2, v4, v2 offset:124
	v_cmpx_eq_u32_e32 0, v1
	s_cbranch_execz .LBB254_259
; %bb.258:
	v_lshlrev_b32_e32 v3, 1, v3
	s_waitcnt lgkmcnt(0)
	ds_write_b16 v3, v2
.LBB254_259:
	s_or_b32 exec_lo, exec_lo, s0
	s_mov_b32 s0, exec_lo
	s_waitcnt lgkmcnt(0)
	s_barrier
	buffer_gl0_inv
	v_cmpx_gt_u32_e32 32, v0
	s_cbranch_execz .LBB254_273
; %bb.260:
	v_and_b32_e32 v3, 7, v1
	s_mov_b32 s1, exec_lo
	v_lshlrev_b32_e32 v2, 1, v3
	v_cmp_ne_u32_e32 vcc_lo, 7, v3
	ds_read_u16 v2, v2
	v_add_co_ci_u32_e64 v4, null, 0, v1, vcc_lo
	v_lshlrev_b32_e32 v4, 2, v4
	s_waitcnt lgkmcnt(0)
	v_and_b32_e32 v5, 0xffff, v2
	ds_bpermute_b32 v4, v4, v5
	v_lshlrev_b32_e32 v5, 16, v2
	v_cmpx_o_f32_e32 v5, v5
	s_cbranch_execz .LBB254_264
; %bb.261:
	s_waitcnt lgkmcnt(0)
	v_lshlrev_b32_e32 v6, 16, v4
	s_mov_b32 s2, exec_lo
	v_cmpx_o_f32_e32 v6, v6
; %bb.262:
	v_cmp_lt_f32_e32 vcc_lo, v5, v6
	v_cndmask_b32_e32 v4, v2, v4, vcc_lo
; %bb.263:
	s_or_b32 exec_lo, exec_lo, s2
	v_mov_b32_e32 v2, v4
.LBB254_264:
	s_or_b32 exec_lo, exec_lo, s1
	v_cmp_gt_u32_e32 vcc_lo, 6, v3
	s_waitcnt lgkmcnt(0)
	v_and_b32_e32 v4, 0xffff, v2
	s_mov_b32 s1, exec_lo
	v_cndmask_b32_e64 v3, 0, 2, vcc_lo
	v_add_lshl_u32 v3, v3, v1, 2
	v_lshlrev_b32_e32 v1, 2, v1
	ds_bpermute_b32 v3, v3, v4
	v_lshlrev_b32_e32 v4, 16, v2
	v_cmpx_o_f32_e32 v4, v4
	s_cbranch_execz .LBB254_268
; %bb.265:
	s_waitcnt lgkmcnt(0)
	v_lshlrev_b32_e32 v5, 16, v3
	s_mov_b32 s2, exec_lo
	v_cmpx_o_f32_e32 v5, v5
; %bb.266:
	v_cmp_lt_f32_e32 vcc_lo, v4, v5
	v_cndmask_b32_e32 v3, v2, v3, vcc_lo
; %bb.267:
	s_or_b32 exec_lo, exec_lo, s2
	v_mov_b32_e32 v2, v3
.LBB254_268:
	s_or_b32 exec_lo, exec_lo, s1
	v_or_b32_e32 v1, 16, v1
	s_waitcnt lgkmcnt(0)
	v_and_b32_e32 v3, 0xffff, v2
	s_mov_b32 s1, exec_lo
	ds_bpermute_b32 v1, v1, v3
	v_lshlrev_b32_e32 v3, 16, v2
	v_cmpx_o_f32_e32 v3, v3
	s_cbranch_execz .LBB254_272
; %bb.269:
	s_waitcnt lgkmcnt(0)
	v_lshlrev_b32_e32 v4, 16, v1
	s_mov_b32 s2, exec_lo
	v_cmpx_o_f32_e32 v4, v4
; %bb.270:
	v_cmp_lt_f32_e32 vcc_lo, v3, v4
	v_cndmask_b32_e32 v1, v2, v1, vcc_lo
; %bb.271:
	s_or_b32 exec_lo, exec_lo, s2
	v_mov_b32_e32 v2, v1
.LBB254_272:
	s_or_b32 exec_lo, exec_lo, s1
.LBB254_273:
	s_or_b32 exec_lo, exec_lo, s0
.LBB254_274:
	s_mov_b32 s0, exec_lo
                                        ; implicit-def: $vgpr1
	v_cmpx_eq_u32_e32 0, v0
	s_cbranch_execz .LBB254_280
; %bb.275:
	s_lshl_b32 s1, s9, 16
	s_waitcnt lgkmcnt(0)
	v_mov_b32_e32 v1, s9
	v_cmp_u_f32_e64 s2, s1, s1
	s_and_b32 vcc_lo, exec_lo, s2
	s_cbranch_vccnz .LBB254_279
; %bb.276:
	v_lshlrev_b32_e32 v0, 16, v2
	s_mov_b32 s2, exec_lo
	v_cmpx_o_f32_e32 v0, v0
; %bb.277:
	v_cmp_lt_f32_e32 vcc_lo, s1, v0
	v_cndmask_b32_e32 v2, s9, v2, vcc_lo
; %bb.278:
	s_or_b32 exec_lo, exec_lo, s2
	v_mov_b32_e32 v1, v2
.LBB254_279:
	s_or_b32 s22, s22, exec_lo
.LBB254_280:
	s_or_b32 exec_lo, exec_lo, s0
	s_and_saveexec_b32 s0, s22
	s_cbranch_execz .LBB254_282
.LBB254_281:
	s_lshl_b64 s[0:1], s[16:17], 1
	v_mov_b32_e32 v0, 0
	s_add_u32 s2, s14, s0
	s_addc_u32 s3, s15, s1
	s_lshl_b64 s[0:1], s[6:7], 1
	s_add_u32 s0, s2, s0
	s_addc_u32 s1, s3, s1
	s_waitcnt lgkmcnt(0)
	global_store_short v0, v1, s[0:1]
.LBB254_282:
	s_endpgm
	.section	.rodata,"a",@progbits
	.p2align	6, 0x0
	.amdhsa_kernel _ZN7rocprim17ROCPRIM_400000_NS6detail17trampoline_kernelINS0_14default_configENS1_32segmented_reduce_config_selectorIN3c108BFloat16EEEZNS1_21segmented_reduce_implIS3_PKS6_PS6_PKlS6_N6hipcub16HIPCUB_304000_NS6detail27convert_result_type_wrapperISA_SB_N2at6native12_GLOBAL__N_19CustomMaxEEEEE10hipError_tPvRmT0_T1_jT2_SS_T4_T3_P12ihipStream_tbEUlT_E_NS1_11comp_targetILNS1_3genE8ELNS1_11target_archE1030ELNS1_3gpuE2ELNS1_3repE0EEENS1_30default_config_static_selectorELNS0_4arch9wavefront6targetE0EEEvSR_
		.amdhsa_group_segment_fixed_size 16
		.amdhsa_private_segment_fixed_size 0
		.amdhsa_kernarg_size 48
		.amdhsa_user_sgpr_count 6
		.amdhsa_user_sgpr_private_segment_buffer 1
		.amdhsa_user_sgpr_dispatch_ptr 0
		.amdhsa_user_sgpr_queue_ptr 0
		.amdhsa_user_sgpr_kernarg_segment_ptr 1
		.amdhsa_user_sgpr_dispatch_id 0
		.amdhsa_user_sgpr_flat_scratch_init 0
		.amdhsa_user_sgpr_private_segment_size 0
		.amdhsa_wavefront_size32 1
		.amdhsa_uses_dynamic_stack 0
		.amdhsa_system_sgpr_private_segment_wavefront_offset 0
		.amdhsa_system_sgpr_workgroup_id_x 1
		.amdhsa_system_sgpr_workgroup_id_y 0
		.amdhsa_system_sgpr_workgroup_id_z 0
		.amdhsa_system_sgpr_workgroup_info 0
		.amdhsa_system_vgpr_workitem_id 0
		.amdhsa_next_free_vgpr 16
		.amdhsa_next_free_sgpr 25
		.amdhsa_reserve_vcc 1
		.amdhsa_reserve_flat_scratch 0
		.amdhsa_float_round_mode_32 0
		.amdhsa_float_round_mode_16_64 0
		.amdhsa_float_denorm_mode_32 3
		.amdhsa_float_denorm_mode_16_64 3
		.amdhsa_dx10_clamp 1
		.amdhsa_ieee_mode 1
		.amdhsa_fp16_overflow 0
		.amdhsa_workgroup_processor_mode 1
		.amdhsa_memory_ordered 1
		.amdhsa_forward_progress 1
		.amdhsa_shared_vgpr_count 0
		.amdhsa_exception_fp_ieee_invalid_op 0
		.amdhsa_exception_fp_denorm_src 0
		.amdhsa_exception_fp_ieee_div_zero 0
		.amdhsa_exception_fp_ieee_overflow 0
		.amdhsa_exception_fp_ieee_underflow 0
		.amdhsa_exception_fp_ieee_inexact 0
		.amdhsa_exception_int_div_zero 0
	.end_amdhsa_kernel
	.section	.text._ZN7rocprim17ROCPRIM_400000_NS6detail17trampoline_kernelINS0_14default_configENS1_32segmented_reduce_config_selectorIN3c108BFloat16EEEZNS1_21segmented_reduce_implIS3_PKS6_PS6_PKlS6_N6hipcub16HIPCUB_304000_NS6detail27convert_result_type_wrapperISA_SB_N2at6native12_GLOBAL__N_19CustomMaxEEEEE10hipError_tPvRmT0_T1_jT2_SS_T4_T3_P12ihipStream_tbEUlT_E_NS1_11comp_targetILNS1_3genE8ELNS1_11target_archE1030ELNS1_3gpuE2ELNS1_3repE0EEENS1_30default_config_static_selectorELNS0_4arch9wavefront6targetE0EEEvSR_,"axG",@progbits,_ZN7rocprim17ROCPRIM_400000_NS6detail17trampoline_kernelINS0_14default_configENS1_32segmented_reduce_config_selectorIN3c108BFloat16EEEZNS1_21segmented_reduce_implIS3_PKS6_PS6_PKlS6_N6hipcub16HIPCUB_304000_NS6detail27convert_result_type_wrapperISA_SB_N2at6native12_GLOBAL__N_19CustomMaxEEEEE10hipError_tPvRmT0_T1_jT2_SS_T4_T3_P12ihipStream_tbEUlT_E_NS1_11comp_targetILNS1_3genE8ELNS1_11target_archE1030ELNS1_3gpuE2ELNS1_3repE0EEENS1_30default_config_static_selectorELNS0_4arch9wavefront6targetE0EEEvSR_,comdat
.Lfunc_end254:
	.size	_ZN7rocprim17ROCPRIM_400000_NS6detail17trampoline_kernelINS0_14default_configENS1_32segmented_reduce_config_selectorIN3c108BFloat16EEEZNS1_21segmented_reduce_implIS3_PKS6_PS6_PKlS6_N6hipcub16HIPCUB_304000_NS6detail27convert_result_type_wrapperISA_SB_N2at6native12_GLOBAL__N_19CustomMaxEEEEE10hipError_tPvRmT0_T1_jT2_SS_T4_T3_P12ihipStream_tbEUlT_E_NS1_11comp_targetILNS1_3genE8ELNS1_11target_archE1030ELNS1_3gpuE2ELNS1_3repE0EEENS1_30default_config_static_selectorELNS0_4arch9wavefront6targetE0EEEvSR_, .Lfunc_end254-_ZN7rocprim17ROCPRIM_400000_NS6detail17trampoline_kernelINS0_14default_configENS1_32segmented_reduce_config_selectorIN3c108BFloat16EEEZNS1_21segmented_reduce_implIS3_PKS6_PS6_PKlS6_N6hipcub16HIPCUB_304000_NS6detail27convert_result_type_wrapperISA_SB_N2at6native12_GLOBAL__N_19CustomMaxEEEEE10hipError_tPvRmT0_T1_jT2_SS_T4_T3_P12ihipStream_tbEUlT_E_NS1_11comp_targetILNS1_3genE8ELNS1_11target_archE1030ELNS1_3gpuE2ELNS1_3repE0EEENS1_30default_config_static_selectorELNS0_4arch9wavefront6targetE0EEEvSR_
                                        ; -- End function
	.set _ZN7rocprim17ROCPRIM_400000_NS6detail17trampoline_kernelINS0_14default_configENS1_32segmented_reduce_config_selectorIN3c108BFloat16EEEZNS1_21segmented_reduce_implIS3_PKS6_PS6_PKlS6_N6hipcub16HIPCUB_304000_NS6detail27convert_result_type_wrapperISA_SB_N2at6native12_GLOBAL__N_19CustomMaxEEEEE10hipError_tPvRmT0_T1_jT2_SS_T4_T3_P12ihipStream_tbEUlT_E_NS1_11comp_targetILNS1_3genE8ELNS1_11target_archE1030ELNS1_3gpuE2ELNS1_3repE0EEENS1_30default_config_static_selectorELNS0_4arch9wavefront6targetE0EEEvSR_.num_vgpr, 16
	.set _ZN7rocprim17ROCPRIM_400000_NS6detail17trampoline_kernelINS0_14default_configENS1_32segmented_reduce_config_selectorIN3c108BFloat16EEEZNS1_21segmented_reduce_implIS3_PKS6_PS6_PKlS6_N6hipcub16HIPCUB_304000_NS6detail27convert_result_type_wrapperISA_SB_N2at6native12_GLOBAL__N_19CustomMaxEEEEE10hipError_tPvRmT0_T1_jT2_SS_T4_T3_P12ihipStream_tbEUlT_E_NS1_11comp_targetILNS1_3genE8ELNS1_11target_archE1030ELNS1_3gpuE2ELNS1_3repE0EEENS1_30default_config_static_selectorELNS0_4arch9wavefront6targetE0EEEvSR_.num_agpr, 0
	.set _ZN7rocprim17ROCPRIM_400000_NS6detail17trampoline_kernelINS0_14default_configENS1_32segmented_reduce_config_selectorIN3c108BFloat16EEEZNS1_21segmented_reduce_implIS3_PKS6_PS6_PKlS6_N6hipcub16HIPCUB_304000_NS6detail27convert_result_type_wrapperISA_SB_N2at6native12_GLOBAL__N_19CustomMaxEEEEE10hipError_tPvRmT0_T1_jT2_SS_T4_T3_P12ihipStream_tbEUlT_E_NS1_11comp_targetILNS1_3genE8ELNS1_11target_archE1030ELNS1_3gpuE2ELNS1_3repE0EEENS1_30default_config_static_selectorELNS0_4arch9wavefront6targetE0EEEvSR_.numbered_sgpr, 25
	.set _ZN7rocprim17ROCPRIM_400000_NS6detail17trampoline_kernelINS0_14default_configENS1_32segmented_reduce_config_selectorIN3c108BFloat16EEEZNS1_21segmented_reduce_implIS3_PKS6_PS6_PKlS6_N6hipcub16HIPCUB_304000_NS6detail27convert_result_type_wrapperISA_SB_N2at6native12_GLOBAL__N_19CustomMaxEEEEE10hipError_tPvRmT0_T1_jT2_SS_T4_T3_P12ihipStream_tbEUlT_E_NS1_11comp_targetILNS1_3genE8ELNS1_11target_archE1030ELNS1_3gpuE2ELNS1_3repE0EEENS1_30default_config_static_selectorELNS0_4arch9wavefront6targetE0EEEvSR_.num_named_barrier, 0
	.set _ZN7rocprim17ROCPRIM_400000_NS6detail17trampoline_kernelINS0_14default_configENS1_32segmented_reduce_config_selectorIN3c108BFloat16EEEZNS1_21segmented_reduce_implIS3_PKS6_PS6_PKlS6_N6hipcub16HIPCUB_304000_NS6detail27convert_result_type_wrapperISA_SB_N2at6native12_GLOBAL__N_19CustomMaxEEEEE10hipError_tPvRmT0_T1_jT2_SS_T4_T3_P12ihipStream_tbEUlT_E_NS1_11comp_targetILNS1_3genE8ELNS1_11target_archE1030ELNS1_3gpuE2ELNS1_3repE0EEENS1_30default_config_static_selectorELNS0_4arch9wavefront6targetE0EEEvSR_.private_seg_size, 0
	.set _ZN7rocprim17ROCPRIM_400000_NS6detail17trampoline_kernelINS0_14default_configENS1_32segmented_reduce_config_selectorIN3c108BFloat16EEEZNS1_21segmented_reduce_implIS3_PKS6_PS6_PKlS6_N6hipcub16HIPCUB_304000_NS6detail27convert_result_type_wrapperISA_SB_N2at6native12_GLOBAL__N_19CustomMaxEEEEE10hipError_tPvRmT0_T1_jT2_SS_T4_T3_P12ihipStream_tbEUlT_E_NS1_11comp_targetILNS1_3genE8ELNS1_11target_archE1030ELNS1_3gpuE2ELNS1_3repE0EEENS1_30default_config_static_selectorELNS0_4arch9wavefront6targetE0EEEvSR_.uses_vcc, 1
	.set _ZN7rocprim17ROCPRIM_400000_NS6detail17trampoline_kernelINS0_14default_configENS1_32segmented_reduce_config_selectorIN3c108BFloat16EEEZNS1_21segmented_reduce_implIS3_PKS6_PS6_PKlS6_N6hipcub16HIPCUB_304000_NS6detail27convert_result_type_wrapperISA_SB_N2at6native12_GLOBAL__N_19CustomMaxEEEEE10hipError_tPvRmT0_T1_jT2_SS_T4_T3_P12ihipStream_tbEUlT_E_NS1_11comp_targetILNS1_3genE8ELNS1_11target_archE1030ELNS1_3gpuE2ELNS1_3repE0EEENS1_30default_config_static_selectorELNS0_4arch9wavefront6targetE0EEEvSR_.uses_flat_scratch, 0
	.set _ZN7rocprim17ROCPRIM_400000_NS6detail17trampoline_kernelINS0_14default_configENS1_32segmented_reduce_config_selectorIN3c108BFloat16EEEZNS1_21segmented_reduce_implIS3_PKS6_PS6_PKlS6_N6hipcub16HIPCUB_304000_NS6detail27convert_result_type_wrapperISA_SB_N2at6native12_GLOBAL__N_19CustomMaxEEEEE10hipError_tPvRmT0_T1_jT2_SS_T4_T3_P12ihipStream_tbEUlT_E_NS1_11comp_targetILNS1_3genE8ELNS1_11target_archE1030ELNS1_3gpuE2ELNS1_3repE0EEENS1_30default_config_static_selectorELNS0_4arch9wavefront6targetE0EEEvSR_.has_dyn_sized_stack, 0
	.set _ZN7rocprim17ROCPRIM_400000_NS6detail17trampoline_kernelINS0_14default_configENS1_32segmented_reduce_config_selectorIN3c108BFloat16EEEZNS1_21segmented_reduce_implIS3_PKS6_PS6_PKlS6_N6hipcub16HIPCUB_304000_NS6detail27convert_result_type_wrapperISA_SB_N2at6native12_GLOBAL__N_19CustomMaxEEEEE10hipError_tPvRmT0_T1_jT2_SS_T4_T3_P12ihipStream_tbEUlT_E_NS1_11comp_targetILNS1_3genE8ELNS1_11target_archE1030ELNS1_3gpuE2ELNS1_3repE0EEENS1_30default_config_static_selectorELNS0_4arch9wavefront6targetE0EEEvSR_.has_recursion, 0
	.set _ZN7rocprim17ROCPRIM_400000_NS6detail17trampoline_kernelINS0_14default_configENS1_32segmented_reduce_config_selectorIN3c108BFloat16EEEZNS1_21segmented_reduce_implIS3_PKS6_PS6_PKlS6_N6hipcub16HIPCUB_304000_NS6detail27convert_result_type_wrapperISA_SB_N2at6native12_GLOBAL__N_19CustomMaxEEEEE10hipError_tPvRmT0_T1_jT2_SS_T4_T3_P12ihipStream_tbEUlT_E_NS1_11comp_targetILNS1_3genE8ELNS1_11target_archE1030ELNS1_3gpuE2ELNS1_3repE0EEENS1_30default_config_static_selectorELNS0_4arch9wavefront6targetE0EEEvSR_.has_indirect_call, 0
	.section	.AMDGPU.csdata,"",@progbits
; Kernel info:
; codeLenInByte = 5304
; TotalNumSgprs: 27
; NumVgprs: 16
; ScratchSize: 0
; MemoryBound: 0
; FloatMode: 240
; IeeeMode: 1
; LDSByteSize: 16 bytes/workgroup (compile time only)
; SGPRBlocks: 0
; VGPRBlocks: 1
; NumSGPRsForWavesPerEU: 27
; NumVGPRsForWavesPerEU: 16
; Occupancy: 16
; WaveLimiterHint : 1
; COMPUTE_PGM_RSRC2:SCRATCH_EN: 0
; COMPUTE_PGM_RSRC2:USER_SGPR: 6
; COMPUTE_PGM_RSRC2:TRAP_HANDLER: 0
; COMPUTE_PGM_RSRC2:TGID_X_EN: 1
; COMPUTE_PGM_RSRC2:TGID_Y_EN: 0
; COMPUTE_PGM_RSRC2:TGID_Z_EN: 0
; COMPUTE_PGM_RSRC2:TIDIG_COMP_CNT: 0
	.section	.text._ZN7rocprim17ROCPRIM_400000_NS6detail17trampoline_kernelINS0_14default_configENS1_32segmented_reduce_config_selectorIN3c108BFloat16EEEZNS1_21segmented_reduce_implIS3_PKS6_PS6_PKlS6_N6hipcub16HIPCUB_304000_NS6detail27convert_result_type_wrapperISA_SB_N2at6native12_GLOBAL__N_19CustomSumEEEEE10hipError_tPvRmT0_T1_jT2_SS_T4_T3_P12ihipStream_tbEUlT_E_NS1_11comp_targetILNS1_3genE0ELNS1_11target_archE4294967295ELNS1_3gpuE0ELNS1_3repE0EEENS1_30default_config_static_selectorELNS0_4arch9wavefront6targetE0EEEvSR_,"axG",@progbits,_ZN7rocprim17ROCPRIM_400000_NS6detail17trampoline_kernelINS0_14default_configENS1_32segmented_reduce_config_selectorIN3c108BFloat16EEEZNS1_21segmented_reduce_implIS3_PKS6_PS6_PKlS6_N6hipcub16HIPCUB_304000_NS6detail27convert_result_type_wrapperISA_SB_N2at6native12_GLOBAL__N_19CustomSumEEEEE10hipError_tPvRmT0_T1_jT2_SS_T4_T3_P12ihipStream_tbEUlT_E_NS1_11comp_targetILNS1_3genE0ELNS1_11target_archE4294967295ELNS1_3gpuE0ELNS1_3repE0EEENS1_30default_config_static_selectorELNS0_4arch9wavefront6targetE0EEEvSR_,comdat
	.globl	_ZN7rocprim17ROCPRIM_400000_NS6detail17trampoline_kernelINS0_14default_configENS1_32segmented_reduce_config_selectorIN3c108BFloat16EEEZNS1_21segmented_reduce_implIS3_PKS6_PS6_PKlS6_N6hipcub16HIPCUB_304000_NS6detail27convert_result_type_wrapperISA_SB_N2at6native12_GLOBAL__N_19CustomSumEEEEE10hipError_tPvRmT0_T1_jT2_SS_T4_T3_P12ihipStream_tbEUlT_E_NS1_11comp_targetILNS1_3genE0ELNS1_11target_archE4294967295ELNS1_3gpuE0ELNS1_3repE0EEENS1_30default_config_static_selectorELNS0_4arch9wavefront6targetE0EEEvSR_ ; -- Begin function _ZN7rocprim17ROCPRIM_400000_NS6detail17trampoline_kernelINS0_14default_configENS1_32segmented_reduce_config_selectorIN3c108BFloat16EEEZNS1_21segmented_reduce_implIS3_PKS6_PS6_PKlS6_N6hipcub16HIPCUB_304000_NS6detail27convert_result_type_wrapperISA_SB_N2at6native12_GLOBAL__N_19CustomSumEEEEE10hipError_tPvRmT0_T1_jT2_SS_T4_T3_P12ihipStream_tbEUlT_E_NS1_11comp_targetILNS1_3genE0ELNS1_11target_archE4294967295ELNS1_3gpuE0ELNS1_3repE0EEENS1_30default_config_static_selectorELNS0_4arch9wavefront6targetE0EEEvSR_
	.p2align	8
	.type	_ZN7rocprim17ROCPRIM_400000_NS6detail17trampoline_kernelINS0_14default_configENS1_32segmented_reduce_config_selectorIN3c108BFloat16EEEZNS1_21segmented_reduce_implIS3_PKS6_PS6_PKlS6_N6hipcub16HIPCUB_304000_NS6detail27convert_result_type_wrapperISA_SB_N2at6native12_GLOBAL__N_19CustomSumEEEEE10hipError_tPvRmT0_T1_jT2_SS_T4_T3_P12ihipStream_tbEUlT_E_NS1_11comp_targetILNS1_3genE0ELNS1_11target_archE4294967295ELNS1_3gpuE0ELNS1_3repE0EEENS1_30default_config_static_selectorELNS0_4arch9wavefront6targetE0EEEvSR_,@function
_ZN7rocprim17ROCPRIM_400000_NS6detail17trampoline_kernelINS0_14default_configENS1_32segmented_reduce_config_selectorIN3c108BFloat16EEEZNS1_21segmented_reduce_implIS3_PKS6_PS6_PKlS6_N6hipcub16HIPCUB_304000_NS6detail27convert_result_type_wrapperISA_SB_N2at6native12_GLOBAL__N_19CustomSumEEEEE10hipError_tPvRmT0_T1_jT2_SS_T4_T3_P12ihipStream_tbEUlT_E_NS1_11comp_targetILNS1_3genE0ELNS1_11target_archE4294967295ELNS1_3gpuE0ELNS1_3repE0EEENS1_30default_config_static_selectorELNS0_4arch9wavefront6targetE0EEEvSR_: ; @_ZN7rocprim17ROCPRIM_400000_NS6detail17trampoline_kernelINS0_14default_configENS1_32segmented_reduce_config_selectorIN3c108BFloat16EEEZNS1_21segmented_reduce_implIS3_PKS6_PS6_PKlS6_N6hipcub16HIPCUB_304000_NS6detail27convert_result_type_wrapperISA_SB_N2at6native12_GLOBAL__N_19CustomSumEEEEE10hipError_tPvRmT0_T1_jT2_SS_T4_T3_P12ihipStream_tbEUlT_E_NS1_11comp_targetILNS1_3genE0ELNS1_11target_archE4294967295ELNS1_3gpuE0ELNS1_3repE0EEENS1_30default_config_static_selectorELNS0_4arch9wavefront6targetE0EEEvSR_
; %bb.0:
	.section	.rodata,"a",@progbits
	.p2align	6, 0x0
	.amdhsa_kernel _ZN7rocprim17ROCPRIM_400000_NS6detail17trampoline_kernelINS0_14default_configENS1_32segmented_reduce_config_selectorIN3c108BFloat16EEEZNS1_21segmented_reduce_implIS3_PKS6_PS6_PKlS6_N6hipcub16HIPCUB_304000_NS6detail27convert_result_type_wrapperISA_SB_N2at6native12_GLOBAL__N_19CustomSumEEEEE10hipError_tPvRmT0_T1_jT2_SS_T4_T3_P12ihipStream_tbEUlT_E_NS1_11comp_targetILNS1_3genE0ELNS1_11target_archE4294967295ELNS1_3gpuE0ELNS1_3repE0EEENS1_30default_config_static_selectorELNS0_4arch9wavefront6targetE0EEEvSR_
		.amdhsa_group_segment_fixed_size 0
		.amdhsa_private_segment_fixed_size 0
		.amdhsa_kernarg_size 48
		.amdhsa_user_sgpr_count 6
		.amdhsa_user_sgpr_private_segment_buffer 1
		.amdhsa_user_sgpr_dispatch_ptr 0
		.amdhsa_user_sgpr_queue_ptr 0
		.amdhsa_user_sgpr_kernarg_segment_ptr 1
		.amdhsa_user_sgpr_dispatch_id 0
		.amdhsa_user_sgpr_flat_scratch_init 0
		.amdhsa_user_sgpr_private_segment_size 0
		.amdhsa_wavefront_size32 1
		.amdhsa_uses_dynamic_stack 0
		.amdhsa_system_sgpr_private_segment_wavefront_offset 0
		.amdhsa_system_sgpr_workgroup_id_x 1
		.amdhsa_system_sgpr_workgroup_id_y 0
		.amdhsa_system_sgpr_workgroup_id_z 0
		.amdhsa_system_sgpr_workgroup_info 0
		.amdhsa_system_vgpr_workitem_id 0
		.amdhsa_next_free_vgpr 1
		.amdhsa_next_free_sgpr 1
		.amdhsa_reserve_vcc 0
		.amdhsa_reserve_flat_scratch 0
		.amdhsa_float_round_mode_32 0
		.amdhsa_float_round_mode_16_64 0
		.amdhsa_float_denorm_mode_32 3
		.amdhsa_float_denorm_mode_16_64 3
		.amdhsa_dx10_clamp 1
		.amdhsa_ieee_mode 1
		.amdhsa_fp16_overflow 0
		.amdhsa_workgroup_processor_mode 1
		.amdhsa_memory_ordered 1
		.amdhsa_forward_progress 1
		.amdhsa_shared_vgpr_count 0
		.amdhsa_exception_fp_ieee_invalid_op 0
		.amdhsa_exception_fp_denorm_src 0
		.amdhsa_exception_fp_ieee_div_zero 0
		.amdhsa_exception_fp_ieee_overflow 0
		.amdhsa_exception_fp_ieee_underflow 0
		.amdhsa_exception_fp_ieee_inexact 0
		.amdhsa_exception_int_div_zero 0
	.end_amdhsa_kernel
	.section	.text._ZN7rocprim17ROCPRIM_400000_NS6detail17trampoline_kernelINS0_14default_configENS1_32segmented_reduce_config_selectorIN3c108BFloat16EEEZNS1_21segmented_reduce_implIS3_PKS6_PS6_PKlS6_N6hipcub16HIPCUB_304000_NS6detail27convert_result_type_wrapperISA_SB_N2at6native12_GLOBAL__N_19CustomSumEEEEE10hipError_tPvRmT0_T1_jT2_SS_T4_T3_P12ihipStream_tbEUlT_E_NS1_11comp_targetILNS1_3genE0ELNS1_11target_archE4294967295ELNS1_3gpuE0ELNS1_3repE0EEENS1_30default_config_static_selectorELNS0_4arch9wavefront6targetE0EEEvSR_,"axG",@progbits,_ZN7rocprim17ROCPRIM_400000_NS6detail17trampoline_kernelINS0_14default_configENS1_32segmented_reduce_config_selectorIN3c108BFloat16EEEZNS1_21segmented_reduce_implIS3_PKS6_PS6_PKlS6_N6hipcub16HIPCUB_304000_NS6detail27convert_result_type_wrapperISA_SB_N2at6native12_GLOBAL__N_19CustomSumEEEEE10hipError_tPvRmT0_T1_jT2_SS_T4_T3_P12ihipStream_tbEUlT_E_NS1_11comp_targetILNS1_3genE0ELNS1_11target_archE4294967295ELNS1_3gpuE0ELNS1_3repE0EEENS1_30default_config_static_selectorELNS0_4arch9wavefront6targetE0EEEvSR_,comdat
.Lfunc_end255:
	.size	_ZN7rocprim17ROCPRIM_400000_NS6detail17trampoline_kernelINS0_14default_configENS1_32segmented_reduce_config_selectorIN3c108BFloat16EEEZNS1_21segmented_reduce_implIS3_PKS6_PS6_PKlS6_N6hipcub16HIPCUB_304000_NS6detail27convert_result_type_wrapperISA_SB_N2at6native12_GLOBAL__N_19CustomSumEEEEE10hipError_tPvRmT0_T1_jT2_SS_T4_T3_P12ihipStream_tbEUlT_E_NS1_11comp_targetILNS1_3genE0ELNS1_11target_archE4294967295ELNS1_3gpuE0ELNS1_3repE0EEENS1_30default_config_static_selectorELNS0_4arch9wavefront6targetE0EEEvSR_, .Lfunc_end255-_ZN7rocprim17ROCPRIM_400000_NS6detail17trampoline_kernelINS0_14default_configENS1_32segmented_reduce_config_selectorIN3c108BFloat16EEEZNS1_21segmented_reduce_implIS3_PKS6_PS6_PKlS6_N6hipcub16HIPCUB_304000_NS6detail27convert_result_type_wrapperISA_SB_N2at6native12_GLOBAL__N_19CustomSumEEEEE10hipError_tPvRmT0_T1_jT2_SS_T4_T3_P12ihipStream_tbEUlT_E_NS1_11comp_targetILNS1_3genE0ELNS1_11target_archE4294967295ELNS1_3gpuE0ELNS1_3repE0EEENS1_30default_config_static_selectorELNS0_4arch9wavefront6targetE0EEEvSR_
                                        ; -- End function
	.set _ZN7rocprim17ROCPRIM_400000_NS6detail17trampoline_kernelINS0_14default_configENS1_32segmented_reduce_config_selectorIN3c108BFloat16EEEZNS1_21segmented_reduce_implIS3_PKS6_PS6_PKlS6_N6hipcub16HIPCUB_304000_NS6detail27convert_result_type_wrapperISA_SB_N2at6native12_GLOBAL__N_19CustomSumEEEEE10hipError_tPvRmT0_T1_jT2_SS_T4_T3_P12ihipStream_tbEUlT_E_NS1_11comp_targetILNS1_3genE0ELNS1_11target_archE4294967295ELNS1_3gpuE0ELNS1_3repE0EEENS1_30default_config_static_selectorELNS0_4arch9wavefront6targetE0EEEvSR_.num_vgpr, 0
	.set _ZN7rocprim17ROCPRIM_400000_NS6detail17trampoline_kernelINS0_14default_configENS1_32segmented_reduce_config_selectorIN3c108BFloat16EEEZNS1_21segmented_reduce_implIS3_PKS6_PS6_PKlS6_N6hipcub16HIPCUB_304000_NS6detail27convert_result_type_wrapperISA_SB_N2at6native12_GLOBAL__N_19CustomSumEEEEE10hipError_tPvRmT0_T1_jT2_SS_T4_T3_P12ihipStream_tbEUlT_E_NS1_11comp_targetILNS1_3genE0ELNS1_11target_archE4294967295ELNS1_3gpuE0ELNS1_3repE0EEENS1_30default_config_static_selectorELNS0_4arch9wavefront6targetE0EEEvSR_.num_agpr, 0
	.set _ZN7rocprim17ROCPRIM_400000_NS6detail17trampoline_kernelINS0_14default_configENS1_32segmented_reduce_config_selectorIN3c108BFloat16EEEZNS1_21segmented_reduce_implIS3_PKS6_PS6_PKlS6_N6hipcub16HIPCUB_304000_NS6detail27convert_result_type_wrapperISA_SB_N2at6native12_GLOBAL__N_19CustomSumEEEEE10hipError_tPvRmT0_T1_jT2_SS_T4_T3_P12ihipStream_tbEUlT_E_NS1_11comp_targetILNS1_3genE0ELNS1_11target_archE4294967295ELNS1_3gpuE0ELNS1_3repE0EEENS1_30default_config_static_selectorELNS0_4arch9wavefront6targetE0EEEvSR_.numbered_sgpr, 0
	.set _ZN7rocprim17ROCPRIM_400000_NS6detail17trampoline_kernelINS0_14default_configENS1_32segmented_reduce_config_selectorIN3c108BFloat16EEEZNS1_21segmented_reduce_implIS3_PKS6_PS6_PKlS6_N6hipcub16HIPCUB_304000_NS6detail27convert_result_type_wrapperISA_SB_N2at6native12_GLOBAL__N_19CustomSumEEEEE10hipError_tPvRmT0_T1_jT2_SS_T4_T3_P12ihipStream_tbEUlT_E_NS1_11comp_targetILNS1_3genE0ELNS1_11target_archE4294967295ELNS1_3gpuE0ELNS1_3repE0EEENS1_30default_config_static_selectorELNS0_4arch9wavefront6targetE0EEEvSR_.num_named_barrier, 0
	.set _ZN7rocprim17ROCPRIM_400000_NS6detail17trampoline_kernelINS0_14default_configENS1_32segmented_reduce_config_selectorIN3c108BFloat16EEEZNS1_21segmented_reduce_implIS3_PKS6_PS6_PKlS6_N6hipcub16HIPCUB_304000_NS6detail27convert_result_type_wrapperISA_SB_N2at6native12_GLOBAL__N_19CustomSumEEEEE10hipError_tPvRmT0_T1_jT2_SS_T4_T3_P12ihipStream_tbEUlT_E_NS1_11comp_targetILNS1_3genE0ELNS1_11target_archE4294967295ELNS1_3gpuE0ELNS1_3repE0EEENS1_30default_config_static_selectorELNS0_4arch9wavefront6targetE0EEEvSR_.private_seg_size, 0
	.set _ZN7rocprim17ROCPRIM_400000_NS6detail17trampoline_kernelINS0_14default_configENS1_32segmented_reduce_config_selectorIN3c108BFloat16EEEZNS1_21segmented_reduce_implIS3_PKS6_PS6_PKlS6_N6hipcub16HIPCUB_304000_NS6detail27convert_result_type_wrapperISA_SB_N2at6native12_GLOBAL__N_19CustomSumEEEEE10hipError_tPvRmT0_T1_jT2_SS_T4_T3_P12ihipStream_tbEUlT_E_NS1_11comp_targetILNS1_3genE0ELNS1_11target_archE4294967295ELNS1_3gpuE0ELNS1_3repE0EEENS1_30default_config_static_selectorELNS0_4arch9wavefront6targetE0EEEvSR_.uses_vcc, 0
	.set _ZN7rocprim17ROCPRIM_400000_NS6detail17trampoline_kernelINS0_14default_configENS1_32segmented_reduce_config_selectorIN3c108BFloat16EEEZNS1_21segmented_reduce_implIS3_PKS6_PS6_PKlS6_N6hipcub16HIPCUB_304000_NS6detail27convert_result_type_wrapperISA_SB_N2at6native12_GLOBAL__N_19CustomSumEEEEE10hipError_tPvRmT0_T1_jT2_SS_T4_T3_P12ihipStream_tbEUlT_E_NS1_11comp_targetILNS1_3genE0ELNS1_11target_archE4294967295ELNS1_3gpuE0ELNS1_3repE0EEENS1_30default_config_static_selectorELNS0_4arch9wavefront6targetE0EEEvSR_.uses_flat_scratch, 0
	.set _ZN7rocprim17ROCPRIM_400000_NS6detail17trampoline_kernelINS0_14default_configENS1_32segmented_reduce_config_selectorIN3c108BFloat16EEEZNS1_21segmented_reduce_implIS3_PKS6_PS6_PKlS6_N6hipcub16HIPCUB_304000_NS6detail27convert_result_type_wrapperISA_SB_N2at6native12_GLOBAL__N_19CustomSumEEEEE10hipError_tPvRmT0_T1_jT2_SS_T4_T3_P12ihipStream_tbEUlT_E_NS1_11comp_targetILNS1_3genE0ELNS1_11target_archE4294967295ELNS1_3gpuE0ELNS1_3repE0EEENS1_30default_config_static_selectorELNS0_4arch9wavefront6targetE0EEEvSR_.has_dyn_sized_stack, 0
	.set _ZN7rocprim17ROCPRIM_400000_NS6detail17trampoline_kernelINS0_14default_configENS1_32segmented_reduce_config_selectorIN3c108BFloat16EEEZNS1_21segmented_reduce_implIS3_PKS6_PS6_PKlS6_N6hipcub16HIPCUB_304000_NS6detail27convert_result_type_wrapperISA_SB_N2at6native12_GLOBAL__N_19CustomSumEEEEE10hipError_tPvRmT0_T1_jT2_SS_T4_T3_P12ihipStream_tbEUlT_E_NS1_11comp_targetILNS1_3genE0ELNS1_11target_archE4294967295ELNS1_3gpuE0ELNS1_3repE0EEENS1_30default_config_static_selectorELNS0_4arch9wavefront6targetE0EEEvSR_.has_recursion, 0
	.set _ZN7rocprim17ROCPRIM_400000_NS6detail17trampoline_kernelINS0_14default_configENS1_32segmented_reduce_config_selectorIN3c108BFloat16EEEZNS1_21segmented_reduce_implIS3_PKS6_PS6_PKlS6_N6hipcub16HIPCUB_304000_NS6detail27convert_result_type_wrapperISA_SB_N2at6native12_GLOBAL__N_19CustomSumEEEEE10hipError_tPvRmT0_T1_jT2_SS_T4_T3_P12ihipStream_tbEUlT_E_NS1_11comp_targetILNS1_3genE0ELNS1_11target_archE4294967295ELNS1_3gpuE0ELNS1_3repE0EEENS1_30default_config_static_selectorELNS0_4arch9wavefront6targetE0EEEvSR_.has_indirect_call, 0
	.section	.AMDGPU.csdata,"",@progbits
; Kernel info:
; codeLenInByte = 0
; TotalNumSgprs: 0
; NumVgprs: 0
; ScratchSize: 0
; MemoryBound: 0
; FloatMode: 240
; IeeeMode: 1
; LDSByteSize: 0 bytes/workgroup (compile time only)
; SGPRBlocks: 0
; VGPRBlocks: 0
; NumSGPRsForWavesPerEU: 1
; NumVGPRsForWavesPerEU: 1
; Occupancy: 16
; WaveLimiterHint : 0
; COMPUTE_PGM_RSRC2:SCRATCH_EN: 0
; COMPUTE_PGM_RSRC2:USER_SGPR: 6
; COMPUTE_PGM_RSRC2:TRAP_HANDLER: 0
; COMPUTE_PGM_RSRC2:TGID_X_EN: 1
; COMPUTE_PGM_RSRC2:TGID_Y_EN: 0
; COMPUTE_PGM_RSRC2:TGID_Z_EN: 0
; COMPUTE_PGM_RSRC2:TIDIG_COMP_CNT: 0
	.section	.text._ZN7rocprim17ROCPRIM_400000_NS6detail17trampoline_kernelINS0_14default_configENS1_32segmented_reduce_config_selectorIN3c108BFloat16EEEZNS1_21segmented_reduce_implIS3_PKS6_PS6_PKlS6_N6hipcub16HIPCUB_304000_NS6detail27convert_result_type_wrapperISA_SB_N2at6native12_GLOBAL__N_19CustomSumEEEEE10hipError_tPvRmT0_T1_jT2_SS_T4_T3_P12ihipStream_tbEUlT_E_NS1_11comp_targetILNS1_3genE5ELNS1_11target_archE942ELNS1_3gpuE9ELNS1_3repE0EEENS1_30default_config_static_selectorELNS0_4arch9wavefront6targetE0EEEvSR_,"axG",@progbits,_ZN7rocprim17ROCPRIM_400000_NS6detail17trampoline_kernelINS0_14default_configENS1_32segmented_reduce_config_selectorIN3c108BFloat16EEEZNS1_21segmented_reduce_implIS3_PKS6_PS6_PKlS6_N6hipcub16HIPCUB_304000_NS6detail27convert_result_type_wrapperISA_SB_N2at6native12_GLOBAL__N_19CustomSumEEEEE10hipError_tPvRmT0_T1_jT2_SS_T4_T3_P12ihipStream_tbEUlT_E_NS1_11comp_targetILNS1_3genE5ELNS1_11target_archE942ELNS1_3gpuE9ELNS1_3repE0EEENS1_30default_config_static_selectorELNS0_4arch9wavefront6targetE0EEEvSR_,comdat
	.globl	_ZN7rocprim17ROCPRIM_400000_NS6detail17trampoline_kernelINS0_14default_configENS1_32segmented_reduce_config_selectorIN3c108BFloat16EEEZNS1_21segmented_reduce_implIS3_PKS6_PS6_PKlS6_N6hipcub16HIPCUB_304000_NS6detail27convert_result_type_wrapperISA_SB_N2at6native12_GLOBAL__N_19CustomSumEEEEE10hipError_tPvRmT0_T1_jT2_SS_T4_T3_P12ihipStream_tbEUlT_E_NS1_11comp_targetILNS1_3genE5ELNS1_11target_archE942ELNS1_3gpuE9ELNS1_3repE0EEENS1_30default_config_static_selectorELNS0_4arch9wavefront6targetE0EEEvSR_ ; -- Begin function _ZN7rocprim17ROCPRIM_400000_NS6detail17trampoline_kernelINS0_14default_configENS1_32segmented_reduce_config_selectorIN3c108BFloat16EEEZNS1_21segmented_reduce_implIS3_PKS6_PS6_PKlS6_N6hipcub16HIPCUB_304000_NS6detail27convert_result_type_wrapperISA_SB_N2at6native12_GLOBAL__N_19CustomSumEEEEE10hipError_tPvRmT0_T1_jT2_SS_T4_T3_P12ihipStream_tbEUlT_E_NS1_11comp_targetILNS1_3genE5ELNS1_11target_archE942ELNS1_3gpuE9ELNS1_3repE0EEENS1_30default_config_static_selectorELNS0_4arch9wavefront6targetE0EEEvSR_
	.p2align	8
	.type	_ZN7rocprim17ROCPRIM_400000_NS6detail17trampoline_kernelINS0_14default_configENS1_32segmented_reduce_config_selectorIN3c108BFloat16EEEZNS1_21segmented_reduce_implIS3_PKS6_PS6_PKlS6_N6hipcub16HIPCUB_304000_NS6detail27convert_result_type_wrapperISA_SB_N2at6native12_GLOBAL__N_19CustomSumEEEEE10hipError_tPvRmT0_T1_jT2_SS_T4_T3_P12ihipStream_tbEUlT_E_NS1_11comp_targetILNS1_3genE5ELNS1_11target_archE942ELNS1_3gpuE9ELNS1_3repE0EEENS1_30default_config_static_selectorELNS0_4arch9wavefront6targetE0EEEvSR_,@function
_ZN7rocprim17ROCPRIM_400000_NS6detail17trampoline_kernelINS0_14default_configENS1_32segmented_reduce_config_selectorIN3c108BFloat16EEEZNS1_21segmented_reduce_implIS3_PKS6_PS6_PKlS6_N6hipcub16HIPCUB_304000_NS6detail27convert_result_type_wrapperISA_SB_N2at6native12_GLOBAL__N_19CustomSumEEEEE10hipError_tPvRmT0_T1_jT2_SS_T4_T3_P12ihipStream_tbEUlT_E_NS1_11comp_targetILNS1_3genE5ELNS1_11target_archE942ELNS1_3gpuE9ELNS1_3repE0EEENS1_30default_config_static_selectorELNS0_4arch9wavefront6targetE0EEEvSR_: ; @_ZN7rocprim17ROCPRIM_400000_NS6detail17trampoline_kernelINS0_14default_configENS1_32segmented_reduce_config_selectorIN3c108BFloat16EEEZNS1_21segmented_reduce_implIS3_PKS6_PS6_PKlS6_N6hipcub16HIPCUB_304000_NS6detail27convert_result_type_wrapperISA_SB_N2at6native12_GLOBAL__N_19CustomSumEEEEE10hipError_tPvRmT0_T1_jT2_SS_T4_T3_P12ihipStream_tbEUlT_E_NS1_11comp_targetILNS1_3genE5ELNS1_11target_archE942ELNS1_3gpuE9ELNS1_3repE0EEENS1_30default_config_static_selectorELNS0_4arch9wavefront6targetE0EEEvSR_
; %bb.0:
	.section	.rodata,"a",@progbits
	.p2align	6, 0x0
	.amdhsa_kernel _ZN7rocprim17ROCPRIM_400000_NS6detail17trampoline_kernelINS0_14default_configENS1_32segmented_reduce_config_selectorIN3c108BFloat16EEEZNS1_21segmented_reduce_implIS3_PKS6_PS6_PKlS6_N6hipcub16HIPCUB_304000_NS6detail27convert_result_type_wrapperISA_SB_N2at6native12_GLOBAL__N_19CustomSumEEEEE10hipError_tPvRmT0_T1_jT2_SS_T4_T3_P12ihipStream_tbEUlT_E_NS1_11comp_targetILNS1_3genE5ELNS1_11target_archE942ELNS1_3gpuE9ELNS1_3repE0EEENS1_30default_config_static_selectorELNS0_4arch9wavefront6targetE0EEEvSR_
		.amdhsa_group_segment_fixed_size 0
		.amdhsa_private_segment_fixed_size 0
		.amdhsa_kernarg_size 48
		.amdhsa_user_sgpr_count 6
		.amdhsa_user_sgpr_private_segment_buffer 1
		.amdhsa_user_sgpr_dispatch_ptr 0
		.amdhsa_user_sgpr_queue_ptr 0
		.amdhsa_user_sgpr_kernarg_segment_ptr 1
		.amdhsa_user_sgpr_dispatch_id 0
		.amdhsa_user_sgpr_flat_scratch_init 0
		.amdhsa_user_sgpr_private_segment_size 0
		.amdhsa_wavefront_size32 1
		.amdhsa_uses_dynamic_stack 0
		.amdhsa_system_sgpr_private_segment_wavefront_offset 0
		.amdhsa_system_sgpr_workgroup_id_x 1
		.amdhsa_system_sgpr_workgroup_id_y 0
		.amdhsa_system_sgpr_workgroup_id_z 0
		.amdhsa_system_sgpr_workgroup_info 0
		.amdhsa_system_vgpr_workitem_id 0
		.amdhsa_next_free_vgpr 1
		.amdhsa_next_free_sgpr 1
		.amdhsa_reserve_vcc 0
		.amdhsa_reserve_flat_scratch 0
		.amdhsa_float_round_mode_32 0
		.amdhsa_float_round_mode_16_64 0
		.amdhsa_float_denorm_mode_32 3
		.amdhsa_float_denorm_mode_16_64 3
		.amdhsa_dx10_clamp 1
		.amdhsa_ieee_mode 1
		.amdhsa_fp16_overflow 0
		.amdhsa_workgroup_processor_mode 1
		.amdhsa_memory_ordered 1
		.amdhsa_forward_progress 1
		.amdhsa_shared_vgpr_count 0
		.amdhsa_exception_fp_ieee_invalid_op 0
		.amdhsa_exception_fp_denorm_src 0
		.amdhsa_exception_fp_ieee_div_zero 0
		.amdhsa_exception_fp_ieee_overflow 0
		.amdhsa_exception_fp_ieee_underflow 0
		.amdhsa_exception_fp_ieee_inexact 0
		.amdhsa_exception_int_div_zero 0
	.end_amdhsa_kernel
	.section	.text._ZN7rocprim17ROCPRIM_400000_NS6detail17trampoline_kernelINS0_14default_configENS1_32segmented_reduce_config_selectorIN3c108BFloat16EEEZNS1_21segmented_reduce_implIS3_PKS6_PS6_PKlS6_N6hipcub16HIPCUB_304000_NS6detail27convert_result_type_wrapperISA_SB_N2at6native12_GLOBAL__N_19CustomSumEEEEE10hipError_tPvRmT0_T1_jT2_SS_T4_T3_P12ihipStream_tbEUlT_E_NS1_11comp_targetILNS1_3genE5ELNS1_11target_archE942ELNS1_3gpuE9ELNS1_3repE0EEENS1_30default_config_static_selectorELNS0_4arch9wavefront6targetE0EEEvSR_,"axG",@progbits,_ZN7rocprim17ROCPRIM_400000_NS6detail17trampoline_kernelINS0_14default_configENS1_32segmented_reduce_config_selectorIN3c108BFloat16EEEZNS1_21segmented_reduce_implIS3_PKS6_PS6_PKlS6_N6hipcub16HIPCUB_304000_NS6detail27convert_result_type_wrapperISA_SB_N2at6native12_GLOBAL__N_19CustomSumEEEEE10hipError_tPvRmT0_T1_jT2_SS_T4_T3_P12ihipStream_tbEUlT_E_NS1_11comp_targetILNS1_3genE5ELNS1_11target_archE942ELNS1_3gpuE9ELNS1_3repE0EEENS1_30default_config_static_selectorELNS0_4arch9wavefront6targetE0EEEvSR_,comdat
.Lfunc_end256:
	.size	_ZN7rocprim17ROCPRIM_400000_NS6detail17trampoline_kernelINS0_14default_configENS1_32segmented_reduce_config_selectorIN3c108BFloat16EEEZNS1_21segmented_reduce_implIS3_PKS6_PS6_PKlS6_N6hipcub16HIPCUB_304000_NS6detail27convert_result_type_wrapperISA_SB_N2at6native12_GLOBAL__N_19CustomSumEEEEE10hipError_tPvRmT0_T1_jT2_SS_T4_T3_P12ihipStream_tbEUlT_E_NS1_11comp_targetILNS1_3genE5ELNS1_11target_archE942ELNS1_3gpuE9ELNS1_3repE0EEENS1_30default_config_static_selectorELNS0_4arch9wavefront6targetE0EEEvSR_, .Lfunc_end256-_ZN7rocprim17ROCPRIM_400000_NS6detail17trampoline_kernelINS0_14default_configENS1_32segmented_reduce_config_selectorIN3c108BFloat16EEEZNS1_21segmented_reduce_implIS3_PKS6_PS6_PKlS6_N6hipcub16HIPCUB_304000_NS6detail27convert_result_type_wrapperISA_SB_N2at6native12_GLOBAL__N_19CustomSumEEEEE10hipError_tPvRmT0_T1_jT2_SS_T4_T3_P12ihipStream_tbEUlT_E_NS1_11comp_targetILNS1_3genE5ELNS1_11target_archE942ELNS1_3gpuE9ELNS1_3repE0EEENS1_30default_config_static_selectorELNS0_4arch9wavefront6targetE0EEEvSR_
                                        ; -- End function
	.set _ZN7rocprim17ROCPRIM_400000_NS6detail17trampoline_kernelINS0_14default_configENS1_32segmented_reduce_config_selectorIN3c108BFloat16EEEZNS1_21segmented_reduce_implIS3_PKS6_PS6_PKlS6_N6hipcub16HIPCUB_304000_NS6detail27convert_result_type_wrapperISA_SB_N2at6native12_GLOBAL__N_19CustomSumEEEEE10hipError_tPvRmT0_T1_jT2_SS_T4_T3_P12ihipStream_tbEUlT_E_NS1_11comp_targetILNS1_3genE5ELNS1_11target_archE942ELNS1_3gpuE9ELNS1_3repE0EEENS1_30default_config_static_selectorELNS0_4arch9wavefront6targetE0EEEvSR_.num_vgpr, 0
	.set _ZN7rocprim17ROCPRIM_400000_NS6detail17trampoline_kernelINS0_14default_configENS1_32segmented_reduce_config_selectorIN3c108BFloat16EEEZNS1_21segmented_reduce_implIS3_PKS6_PS6_PKlS6_N6hipcub16HIPCUB_304000_NS6detail27convert_result_type_wrapperISA_SB_N2at6native12_GLOBAL__N_19CustomSumEEEEE10hipError_tPvRmT0_T1_jT2_SS_T4_T3_P12ihipStream_tbEUlT_E_NS1_11comp_targetILNS1_3genE5ELNS1_11target_archE942ELNS1_3gpuE9ELNS1_3repE0EEENS1_30default_config_static_selectorELNS0_4arch9wavefront6targetE0EEEvSR_.num_agpr, 0
	.set _ZN7rocprim17ROCPRIM_400000_NS6detail17trampoline_kernelINS0_14default_configENS1_32segmented_reduce_config_selectorIN3c108BFloat16EEEZNS1_21segmented_reduce_implIS3_PKS6_PS6_PKlS6_N6hipcub16HIPCUB_304000_NS6detail27convert_result_type_wrapperISA_SB_N2at6native12_GLOBAL__N_19CustomSumEEEEE10hipError_tPvRmT0_T1_jT2_SS_T4_T3_P12ihipStream_tbEUlT_E_NS1_11comp_targetILNS1_3genE5ELNS1_11target_archE942ELNS1_3gpuE9ELNS1_3repE0EEENS1_30default_config_static_selectorELNS0_4arch9wavefront6targetE0EEEvSR_.numbered_sgpr, 0
	.set _ZN7rocprim17ROCPRIM_400000_NS6detail17trampoline_kernelINS0_14default_configENS1_32segmented_reduce_config_selectorIN3c108BFloat16EEEZNS1_21segmented_reduce_implIS3_PKS6_PS6_PKlS6_N6hipcub16HIPCUB_304000_NS6detail27convert_result_type_wrapperISA_SB_N2at6native12_GLOBAL__N_19CustomSumEEEEE10hipError_tPvRmT0_T1_jT2_SS_T4_T3_P12ihipStream_tbEUlT_E_NS1_11comp_targetILNS1_3genE5ELNS1_11target_archE942ELNS1_3gpuE9ELNS1_3repE0EEENS1_30default_config_static_selectorELNS0_4arch9wavefront6targetE0EEEvSR_.num_named_barrier, 0
	.set _ZN7rocprim17ROCPRIM_400000_NS6detail17trampoline_kernelINS0_14default_configENS1_32segmented_reduce_config_selectorIN3c108BFloat16EEEZNS1_21segmented_reduce_implIS3_PKS6_PS6_PKlS6_N6hipcub16HIPCUB_304000_NS6detail27convert_result_type_wrapperISA_SB_N2at6native12_GLOBAL__N_19CustomSumEEEEE10hipError_tPvRmT0_T1_jT2_SS_T4_T3_P12ihipStream_tbEUlT_E_NS1_11comp_targetILNS1_3genE5ELNS1_11target_archE942ELNS1_3gpuE9ELNS1_3repE0EEENS1_30default_config_static_selectorELNS0_4arch9wavefront6targetE0EEEvSR_.private_seg_size, 0
	.set _ZN7rocprim17ROCPRIM_400000_NS6detail17trampoline_kernelINS0_14default_configENS1_32segmented_reduce_config_selectorIN3c108BFloat16EEEZNS1_21segmented_reduce_implIS3_PKS6_PS6_PKlS6_N6hipcub16HIPCUB_304000_NS6detail27convert_result_type_wrapperISA_SB_N2at6native12_GLOBAL__N_19CustomSumEEEEE10hipError_tPvRmT0_T1_jT2_SS_T4_T3_P12ihipStream_tbEUlT_E_NS1_11comp_targetILNS1_3genE5ELNS1_11target_archE942ELNS1_3gpuE9ELNS1_3repE0EEENS1_30default_config_static_selectorELNS0_4arch9wavefront6targetE0EEEvSR_.uses_vcc, 0
	.set _ZN7rocprim17ROCPRIM_400000_NS6detail17trampoline_kernelINS0_14default_configENS1_32segmented_reduce_config_selectorIN3c108BFloat16EEEZNS1_21segmented_reduce_implIS3_PKS6_PS6_PKlS6_N6hipcub16HIPCUB_304000_NS6detail27convert_result_type_wrapperISA_SB_N2at6native12_GLOBAL__N_19CustomSumEEEEE10hipError_tPvRmT0_T1_jT2_SS_T4_T3_P12ihipStream_tbEUlT_E_NS1_11comp_targetILNS1_3genE5ELNS1_11target_archE942ELNS1_3gpuE9ELNS1_3repE0EEENS1_30default_config_static_selectorELNS0_4arch9wavefront6targetE0EEEvSR_.uses_flat_scratch, 0
	.set _ZN7rocprim17ROCPRIM_400000_NS6detail17trampoline_kernelINS0_14default_configENS1_32segmented_reduce_config_selectorIN3c108BFloat16EEEZNS1_21segmented_reduce_implIS3_PKS6_PS6_PKlS6_N6hipcub16HIPCUB_304000_NS6detail27convert_result_type_wrapperISA_SB_N2at6native12_GLOBAL__N_19CustomSumEEEEE10hipError_tPvRmT0_T1_jT2_SS_T4_T3_P12ihipStream_tbEUlT_E_NS1_11comp_targetILNS1_3genE5ELNS1_11target_archE942ELNS1_3gpuE9ELNS1_3repE0EEENS1_30default_config_static_selectorELNS0_4arch9wavefront6targetE0EEEvSR_.has_dyn_sized_stack, 0
	.set _ZN7rocprim17ROCPRIM_400000_NS6detail17trampoline_kernelINS0_14default_configENS1_32segmented_reduce_config_selectorIN3c108BFloat16EEEZNS1_21segmented_reduce_implIS3_PKS6_PS6_PKlS6_N6hipcub16HIPCUB_304000_NS6detail27convert_result_type_wrapperISA_SB_N2at6native12_GLOBAL__N_19CustomSumEEEEE10hipError_tPvRmT0_T1_jT2_SS_T4_T3_P12ihipStream_tbEUlT_E_NS1_11comp_targetILNS1_3genE5ELNS1_11target_archE942ELNS1_3gpuE9ELNS1_3repE0EEENS1_30default_config_static_selectorELNS0_4arch9wavefront6targetE0EEEvSR_.has_recursion, 0
	.set _ZN7rocprim17ROCPRIM_400000_NS6detail17trampoline_kernelINS0_14default_configENS1_32segmented_reduce_config_selectorIN3c108BFloat16EEEZNS1_21segmented_reduce_implIS3_PKS6_PS6_PKlS6_N6hipcub16HIPCUB_304000_NS6detail27convert_result_type_wrapperISA_SB_N2at6native12_GLOBAL__N_19CustomSumEEEEE10hipError_tPvRmT0_T1_jT2_SS_T4_T3_P12ihipStream_tbEUlT_E_NS1_11comp_targetILNS1_3genE5ELNS1_11target_archE942ELNS1_3gpuE9ELNS1_3repE0EEENS1_30default_config_static_selectorELNS0_4arch9wavefront6targetE0EEEvSR_.has_indirect_call, 0
	.section	.AMDGPU.csdata,"",@progbits
; Kernel info:
; codeLenInByte = 0
; TotalNumSgprs: 0
; NumVgprs: 0
; ScratchSize: 0
; MemoryBound: 0
; FloatMode: 240
; IeeeMode: 1
; LDSByteSize: 0 bytes/workgroup (compile time only)
; SGPRBlocks: 0
; VGPRBlocks: 0
; NumSGPRsForWavesPerEU: 1
; NumVGPRsForWavesPerEU: 1
; Occupancy: 16
; WaveLimiterHint : 0
; COMPUTE_PGM_RSRC2:SCRATCH_EN: 0
; COMPUTE_PGM_RSRC2:USER_SGPR: 6
; COMPUTE_PGM_RSRC2:TRAP_HANDLER: 0
; COMPUTE_PGM_RSRC2:TGID_X_EN: 1
; COMPUTE_PGM_RSRC2:TGID_Y_EN: 0
; COMPUTE_PGM_RSRC2:TGID_Z_EN: 0
; COMPUTE_PGM_RSRC2:TIDIG_COMP_CNT: 0
	.section	.text._ZN7rocprim17ROCPRIM_400000_NS6detail17trampoline_kernelINS0_14default_configENS1_32segmented_reduce_config_selectorIN3c108BFloat16EEEZNS1_21segmented_reduce_implIS3_PKS6_PS6_PKlS6_N6hipcub16HIPCUB_304000_NS6detail27convert_result_type_wrapperISA_SB_N2at6native12_GLOBAL__N_19CustomSumEEEEE10hipError_tPvRmT0_T1_jT2_SS_T4_T3_P12ihipStream_tbEUlT_E_NS1_11comp_targetILNS1_3genE10ELNS1_11target_archE1201ELNS1_3gpuE5ELNS1_3repE0EEENS1_30default_config_static_selectorELNS0_4arch9wavefront6targetE0EEEvSR_,"axG",@progbits,_ZN7rocprim17ROCPRIM_400000_NS6detail17trampoline_kernelINS0_14default_configENS1_32segmented_reduce_config_selectorIN3c108BFloat16EEEZNS1_21segmented_reduce_implIS3_PKS6_PS6_PKlS6_N6hipcub16HIPCUB_304000_NS6detail27convert_result_type_wrapperISA_SB_N2at6native12_GLOBAL__N_19CustomSumEEEEE10hipError_tPvRmT0_T1_jT2_SS_T4_T3_P12ihipStream_tbEUlT_E_NS1_11comp_targetILNS1_3genE10ELNS1_11target_archE1201ELNS1_3gpuE5ELNS1_3repE0EEENS1_30default_config_static_selectorELNS0_4arch9wavefront6targetE0EEEvSR_,comdat
	.globl	_ZN7rocprim17ROCPRIM_400000_NS6detail17trampoline_kernelINS0_14default_configENS1_32segmented_reduce_config_selectorIN3c108BFloat16EEEZNS1_21segmented_reduce_implIS3_PKS6_PS6_PKlS6_N6hipcub16HIPCUB_304000_NS6detail27convert_result_type_wrapperISA_SB_N2at6native12_GLOBAL__N_19CustomSumEEEEE10hipError_tPvRmT0_T1_jT2_SS_T4_T3_P12ihipStream_tbEUlT_E_NS1_11comp_targetILNS1_3genE10ELNS1_11target_archE1201ELNS1_3gpuE5ELNS1_3repE0EEENS1_30default_config_static_selectorELNS0_4arch9wavefront6targetE0EEEvSR_ ; -- Begin function _ZN7rocprim17ROCPRIM_400000_NS6detail17trampoline_kernelINS0_14default_configENS1_32segmented_reduce_config_selectorIN3c108BFloat16EEEZNS1_21segmented_reduce_implIS3_PKS6_PS6_PKlS6_N6hipcub16HIPCUB_304000_NS6detail27convert_result_type_wrapperISA_SB_N2at6native12_GLOBAL__N_19CustomSumEEEEE10hipError_tPvRmT0_T1_jT2_SS_T4_T3_P12ihipStream_tbEUlT_E_NS1_11comp_targetILNS1_3genE10ELNS1_11target_archE1201ELNS1_3gpuE5ELNS1_3repE0EEENS1_30default_config_static_selectorELNS0_4arch9wavefront6targetE0EEEvSR_
	.p2align	8
	.type	_ZN7rocprim17ROCPRIM_400000_NS6detail17trampoline_kernelINS0_14default_configENS1_32segmented_reduce_config_selectorIN3c108BFloat16EEEZNS1_21segmented_reduce_implIS3_PKS6_PS6_PKlS6_N6hipcub16HIPCUB_304000_NS6detail27convert_result_type_wrapperISA_SB_N2at6native12_GLOBAL__N_19CustomSumEEEEE10hipError_tPvRmT0_T1_jT2_SS_T4_T3_P12ihipStream_tbEUlT_E_NS1_11comp_targetILNS1_3genE10ELNS1_11target_archE1201ELNS1_3gpuE5ELNS1_3repE0EEENS1_30default_config_static_selectorELNS0_4arch9wavefront6targetE0EEEvSR_,@function
_ZN7rocprim17ROCPRIM_400000_NS6detail17trampoline_kernelINS0_14default_configENS1_32segmented_reduce_config_selectorIN3c108BFloat16EEEZNS1_21segmented_reduce_implIS3_PKS6_PS6_PKlS6_N6hipcub16HIPCUB_304000_NS6detail27convert_result_type_wrapperISA_SB_N2at6native12_GLOBAL__N_19CustomSumEEEEE10hipError_tPvRmT0_T1_jT2_SS_T4_T3_P12ihipStream_tbEUlT_E_NS1_11comp_targetILNS1_3genE10ELNS1_11target_archE1201ELNS1_3gpuE5ELNS1_3repE0EEENS1_30default_config_static_selectorELNS0_4arch9wavefront6targetE0EEEvSR_: ; @_ZN7rocprim17ROCPRIM_400000_NS6detail17trampoline_kernelINS0_14default_configENS1_32segmented_reduce_config_selectorIN3c108BFloat16EEEZNS1_21segmented_reduce_implIS3_PKS6_PS6_PKlS6_N6hipcub16HIPCUB_304000_NS6detail27convert_result_type_wrapperISA_SB_N2at6native12_GLOBAL__N_19CustomSumEEEEE10hipError_tPvRmT0_T1_jT2_SS_T4_T3_P12ihipStream_tbEUlT_E_NS1_11comp_targetILNS1_3genE10ELNS1_11target_archE1201ELNS1_3gpuE5ELNS1_3repE0EEENS1_30default_config_static_selectorELNS0_4arch9wavefront6targetE0EEEvSR_
; %bb.0:
	.section	.rodata,"a",@progbits
	.p2align	6, 0x0
	.amdhsa_kernel _ZN7rocprim17ROCPRIM_400000_NS6detail17trampoline_kernelINS0_14default_configENS1_32segmented_reduce_config_selectorIN3c108BFloat16EEEZNS1_21segmented_reduce_implIS3_PKS6_PS6_PKlS6_N6hipcub16HIPCUB_304000_NS6detail27convert_result_type_wrapperISA_SB_N2at6native12_GLOBAL__N_19CustomSumEEEEE10hipError_tPvRmT0_T1_jT2_SS_T4_T3_P12ihipStream_tbEUlT_E_NS1_11comp_targetILNS1_3genE10ELNS1_11target_archE1201ELNS1_3gpuE5ELNS1_3repE0EEENS1_30default_config_static_selectorELNS0_4arch9wavefront6targetE0EEEvSR_
		.amdhsa_group_segment_fixed_size 0
		.amdhsa_private_segment_fixed_size 0
		.amdhsa_kernarg_size 48
		.amdhsa_user_sgpr_count 6
		.amdhsa_user_sgpr_private_segment_buffer 1
		.amdhsa_user_sgpr_dispatch_ptr 0
		.amdhsa_user_sgpr_queue_ptr 0
		.amdhsa_user_sgpr_kernarg_segment_ptr 1
		.amdhsa_user_sgpr_dispatch_id 0
		.amdhsa_user_sgpr_flat_scratch_init 0
		.amdhsa_user_sgpr_private_segment_size 0
		.amdhsa_wavefront_size32 1
		.amdhsa_uses_dynamic_stack 0
		.amdhsa_system_sgpr_private_segment_wavefront_offset 0
		.amdhsa_system_sgpr_workgroup_id_x 1
		.amdhsa_system_sgpr_workgroup_id_y 0
		.amdhsa_system_sgpr_workgroup_id_z 0
		.amdhsa_system_sgpr_workgroup_info 0
		.amdhsa_system_vgpr_workitem_id 0
		.amdhsa_next_free_vgpr 1
		.amdhsa_next_free_sgpr 1
		.amdhsa_reserve_vcc 0
		.amdhsa_reserve_flat_scratch 0
		.amdhsa_float_round_mode_32 0
		.amdhsa_float_round_mode_16_64 0
		.amdhsa_float_denorm_mode_32 3
		.amdhsa_float_denorm_mode_16_64 3
		.amdhsa_dx10_clamp 1
		.amdhsa_ieee_mode 1
		.amdhsa_fp16_overflow 0
		.amdhsa_workgroup_processor_mode 1
		.amdhsa_memory_ordered 1
		.amdhsa_forward_progress 1
		.amdhsa_shared_vgpr_count 0
		.amdhsa_exception_fp_ieee_invalid_op 0
		.amdhsa_exception_fp_denorm_src 0
		.amdhsa_exception_fp_ieee_div_zero 0
		.amdhsa_exception_fp_ieee_overflow 0
		.amdhsa_exception_fp_ieee_underflow 0
		.amdhsa_exception_fp_ieee_inexact 0
		.amdhsa_exception_int_div_zero 0
	.end_amdhsa_kernel
	.section	.text._ZN7rocprim17ROCPRIM_400000_NS6detail17trampoline_kernelINS0_14default_configENS1_32segmented_reduce_config_selectorIN3c108BFloat16EEEZNS1_21segmented_reduce_implIS3_PKS6_PS6_PKlS6_N6hipcub16HIPCUB_304000_NS6detail27convert_result_type_wrapperISA_SB_N2at6native12_GLOBAL__N_19CustomSumEEEEE10hipError_tPvRmT0_T1_jT2_SS_T4_T3_P12ihipStream_tbEUlT_E_NS1_11comp_targetILNS1_3genE10ELNS1_11target_archE1201ELNS1_3gpuE5ELNS1_3repE0EEENS1_30default_config_static_selectorELNS0_4arch9wavefront6targetE0EEEvSR_,"axG",@progbits,_ZN7rocprim17ROCPRIM_400000_NS6detail17trampoline_kernelINS0_14default_configENS1_32segmented_reduce_config_selectorIN3c108BFloat16EEEZNS1_21segmented_reduce_implIS3_PKS6_PS6_PKlS6_N6hipcub16HIPCUB_304000_NS6detail27convert_result_type_wrapperISA_SB_N2at6native12_GLOBAL__N_19CustomSumEEEEE10hipError_tPvRmT0_T1_jT2_SS_T4_T3_P12ihipStream_tbEUlT_E_NS1_11comp_targetILNS1_3genE10ELNS1_11target_archE1201ELNS1_3gpuE5ELNS1_3repE0EEENS1_30default_config_static_selectorELNS0_4arch9wavefront6targetE0EEEvSR_,comdat
.Lfunc_end257:
	.size	_ZN7rocprim17ROCPRIM_400000_NS6detail17trampoline_kernelINS0_14default_configENS1_32segmented_reduce_config_selectorIN3c108BFloat16EEEZNS1_21segmented_reduce_implIS3_PKS6_PS6_PKlS6_N6hipcub16HIPCUB_304000_NS6detail27convert_result_type_wrapperISA_SB_N2at6native12_GLOBAL__N_19CustomSumEEEEE10hipError_tPvRmT0_T1_jT2_SS_T4_T3_P12ihipStream_tbEUlT_E_NS1_11comp_targetILNS1_3genE10ELNS1_11target_archE1201ELNS1_3gpuE5ELNS1_3repE0EEENS1_30default_config_static_selectorELNS0_4arch9wavefront6targetE0EEEvSR_, .Lfunc_end257-_ZN7rocprim17ROCPRIM_400000_NS6detail17trampoline_kernelINS0_14default_configENS1_32segmented_reduce_config_selectorIN3c108BFloat16EEEZNS1_21segmented_reduce_implIS3_PKS6_PS6_PKlS6_N6hipcub16HIPCUB_304000_NS6detail27convert_result_type_wrapperISA_SB_N2at6native12_GLOBAL__N_19CustomSumEEEEE10hipError_tPvRmT0_T1_jT2_SS_T4_T3_P12ihipStream_tbEUlT_E_NS1_11comp_targetILNS1_3genE10ELNS1_11target_archE1201ELNS1_3gpuE5ELNS1_3repE0EEENS1_30default_config_static_selectorELNS0_4arch9wavefront6targetE0EEEvSR_
                                        ; -- End function
	.set _ZN7rocprim17ROCPRIM_400000_NS6detail17trampoline_kernelINS0_14default_configENS1_32segmented_reduce_config_selectorIN3c108BFloat16EEEZNS1_21segmented_reduce_implIS3_PKS6_PS6_PKlS6_N6hipcub16HIPCUB_304000_NS6detail27convert_result_type_wrapperISA_SB_N2at6native12_GLOBAL__N_19CustomSumEEEEE10hipError_tPvRmT0_T1_jT2_SS_T4_T3_P12ihipStream_tbEUlT_E_NS1_11comp_targetILNS1_3genE10ELNS1_11target_archE1201ELNS1_3gpuE5ELNS1_3repE0EEENS1_30default_config_static_selectorELNS0_4arch9wavefront6targetE0EEEvSR_.num_vgpr, 0
	.set _ZN7rocprim17ROCPRIM_400000_NS6detail17trampoline_kernelINS0_14default_configENS1_32segmented_reduce_config_selectorIN3c108BFloat16EEEZNS1_21segmented_reduce_implIS3_PKS6_PS6_PKlS6_N6hipcub16HIPCUB_304000_NS6detail27convert_result_type_wrapperISA_SB_N2at6native12_GLOBAL__N_19CustomSumEEEEE10hipError_tPvRmT0_T1_jT2_SS_T4_T3_P12ihipStream_tbEUlT_E_NS1_11comp_targetILNS1_3genE10ELNS1_11target_archE1201ELNS1_3gpuE5ELNS1_3repE0EEENS1_30default_config_static_selectorELNS0_4arch9wavefront6targetE0EEEvSR_.num_agpr, 0
	.set _ZN7rocprim17ROCPRIM_400000_NS6detail17trampoline_kernelINS0_14default_configENS1_32segmented_reduce_config_selectorIN3c108BFloat16EEEZNS1_21segmented_reduce_implIS3_PKS6_PS6_PKlS6_N6hipcub16HIPCUB_304000_NS6detail27convert_result_type_wrapperISA_SB_N2at6native12_GLOBAL__N_19CustomSumEEEEE10hipError_tPvRmT0_T1_jT2_SS_T4_T3_P12ihipStream_tbEUlT_E_NS1_11comp_targetILNS1_3genE10ELNS1_11target_archE1201ELNS1_3gpuE5ELNS1_3repE0EEENS1_30default_config_static_selectorELNS0_4arch9wavefront6targetE0EEEvSR_.numbered_sgpr, 0
	.set _ZN7rocprim17ROCPRIM_400000_NS6detail17trampoline_kernelINS0_14default_configENS1_32segmented_reduce_config_selectorIN3c108BFloat16EEEZNS1_21segmented_reduce_implIS3_PKS6_PS6_PKlS6_N6hipcub16HIPCUB_304000_NS6detail27convert_result_type_wrapperISA_SB_N2at6native12_GLOBAL__N_19CustomSumEEEEE10hipError_tPvRmT0_T1_jT2_SS_T4_T3_P12ihipStream_tbEUlT_E_NS1_11comp_targetILNS1_3genE10ELNS1_11target_archE1201ELNS1_3gpuE5ELNS1_3repE0EEENS1_30default_config_static_selectorELNS0_4arch9wavefront6targetE0EEEvSR_.num_named_barrier, 0
	.set _ZN7rocprim17ROCPRIM_400000_NS6detail17trampoline_kernelINS0_14default_configENS1_32segmented_reduce_config_selectorIN3c108BFloat16EEEZNS1_21segmented_reduce_implIS3_PKS6_PS6_PKlS6_N6hipcub16HIPCUB_304000_NS6detail27convert_result_type_wrapperISA_SB_N2at6native12_GLOBAL__N_19CustomSumEEEEE10hipError_tPvRmT0_T1_jT2_SS_T4_T3_P12ihipStream_tbEUlT_E_NS1_11comp_targetILNS1_3genE10ELNS1_11target_archE1201ELNS1_3gpuE5ELNS1_3repE0EEENS1_30default_config_static_selectorELNS0_4arch9wavefront6targetE0EEEvSR_.private_seg_size, 0
	.set _ZN7rocprim17ROCPRIM_400000_NS6detail17trampoline_kernelINS0_14default_configENS1_32segmented_reduce_config_selectorIN3c108BFloat16EEEZNS1_21segmented_reduce_implIS3_PKS6_PS6_PKlS6_N6hipcub16HIPCUB_304000_NS6detail27convert_result_type_wrapperISA_SB_N2at6native12_GLOBAL__N_19CustomSumEEEEE10hipError_tPvRmT0_T1_jT2_SS_T4_T3_P12ihipStream_tbEUlT_E_NS1_11comp_targetILNS1_3genE10ELNS1_11target_archE1201ELNS1_3gpuE5ELNS1_3repE0EEENS1_30default_config_static_selectorELNS0_4arch9wavefront6targetE0EEEvSR_.uses_vcc, 0
	.set _ZN7rocprim17ROCPRIM_400000_NS6detail17trampoline_kernelINS0_14default_configENS1_32segmented_reduce_config_selectorIN3c108BFloat16EEEZNS1_21segmented_reduce_implIS3_PKS6_PS6_PKlS6_N6hipcub16HIPCUB_304000_NS6detail27convert_result_type_wrapperISA_SB_N2at6native12_GLOBAL__N_19CustomSumEEEEE10hipError_tPvRmT0_T1_jT2_SS_T4_T3_P12ihipStream_tbEUlT_E_NS1_11comp_targetILNS1_3genE10ELNS1_11target_archE1201ELNS1_3gpuE5ELNS1_3repE0EEENS1_30default_config_static_selectorELNS0_4arch9wavefront6targetE0EEEvSR_.uses_flat_scratch, 0
	.set _ZN7rocprim17ROCPRIM_400000_NS6detail17trampoline_kernelINS0_14default_configENS1_32segmented_reduce_config_selectorIN3c108BFloat16EEEZNS1_21segmented_reduce_implIS3_PKS6_PS6_PKlS6_N6hipcub16HIPCUB_304000_NS6detail27convert_result_type_wrapperISA_SB_N2at6native12_GLOBAL__N_19CustomSumEEEEE10hipError_tPvRmT0_T1_jT2_SS_T4_T3_P12ihipStream_tbEUlT_E_NS1_11comp_targetILNS1_3genE10ELNS1_11target_archE1201ELNS1_3gpuE5ELNS1_3repE0EEENS1_30default_config_static_selectorELNS0_4arch9wavefront6targetE0EEEvSR_.has_dyn_sized_stack, 0
	.set _ZN7rocprim17ROCPRIM_400000_NS6detail17trampoline_kernelINS0_14default_configENS1_32segmented_reduce_config_selectorIN3c108BFloat16EEEZNS1_21segmented_reduce_implIS3_PKS6_PS6_PKlS6_N6hipcub16HIPCUB_304000_NS6detail27convert_result_type_wrapperISA_SB_N2at6native12_GLOBAL__N_19CustomSumEEEEE10hipError_tPvRmT0_T1_jT2_SS_T4_T3_P12ihipStream_tbEUlT_E_NS1_11comp_targetILNS1_3genE10ELNS1_11target_archE1201ELNS1_3gpuE5ELNS1_3repE0EEENS1_30default_config_static_selectorELNS0_4arch9wavefront6targetE0EEEvSR_.has_recursion, 0
	.set _ZN7rocprim17ROCPRIM_400000_NS6detail17trampoline_kernelINS0_14default_configENS1_32segmented_reduce_config_selectorIN3c108BFloat16EEEZNS1_21segmented_reduce_implIS3_PKS6_PS6_PKlS6_N6hipcub16HIPCUB_304000_NS6detail27convert_result_type_wrapperISA_SB_N2at6native12_GLOBAL__N_19CustomSumEEEEE10hipError_tPvRmT0_T1_jT2_SS_T4_T3_P12ihipStream_tbEUlT_E_NS1_11comp_targetILNS1_3genE10ELNS1_11target_archE1201ELNS1_3gpuE5ELNS1_3repE0EEENS1_30default_config_static_selectorELNS0_4arch9wavefront6targetE0EEEvSR_.has_indirect_call, 0
	.section	.AMDGPU.csdata,"",@progbits
; Kernel info:
; codeLenInByte = 0
; TotalNumSgprs: 0
; NumVgprs: 0
; ScratchSize: 0
; MemoryBound: 0
; FloatMode: 240
; IeeeMode: 1
; LDSByteSize: 0 bytes/workgroup (compile time only)
; SGPRBlocks: 0
; VGPRBlocks: 0
; NumSGPRsForWavesPerEU: 1
; NumVGPRsForWavesPerEU: 1
; Occupancy: 16
; WaveLimiterHint : 0
; COMPUTE_PGM_RSRC2:SCRATCH_EN: 0
; COMPUTE_PGM_RSRC2:USER_SGPR: 6
; COMPUTE_PGM_RSRC2:TRAP_HANDLER: 0
; COMPUTE_PGM_RSRC2:TGID_X_EN: 1
; COMPUTE_PGM_RSRC2:TGID_Y_EN: 0
; COMPUTE_PGM_RSRC2:TGID_Z_EN: 0
; COMPUTE_PGM_RSRC2:TIDIG_COMP_CNT: 0
	.section	.text._ZN7rocprim17ROCPRIM_400000_NS6detail17trampoline_kernelINS0_14default_configENS1_32segmented_reduce_config_selectorIN3c108BFloat16EEEZNS1_21segmented_reduce_implIS3_PKS6_PS6_PKlS6_N6hipcub16HIPCUB_304000_NS6detail27convert_result_type_wrapperISA_SB_N2at6native12_GLOBAL__N_19CustomSumEEEEE10hipError_tPvRmT0_T1_jT2_SS_T4_T3_P12ihipStream_tbEUlT_E_NS1_11comp_targetILNS1_3genE4ELNS1_11target_archE910ELNS1_3gpuE8ELNS1_3repE0EEENS1_30default_config_static_selectorELNS0_4arch9wavefront6targetE0EEEvSR_,"axG",@progbits,_ZN7rocprim17ROCPRIM_400000_NS6detail17trampoline_kernelINS0_14default_configENS1_32segmented_reduce_config_selectorIN3c108BFloat16EEEZNS1_21segmented_reduce_implIS3_PKS6_PS6_PKlS6_N6hipcub16HIPCUB_304000_NS6detail27convert_result_type_wrapperISA_SB_N2at6native12_GLOBAL__N_19CustomSumEEEEE10hipError_tPvRmT0_T1_jT2_SS_T4_T3_P12ihipStream_tbEUlT_E_NS1_11comp_targetILNS1_3genE4ELNS1_11target_archE910ELNS1_3gpuE8ELNS1_3repE0EEENS1_30default_config_static_selectorELNS0_4arch9wavefront6targetE0EEEvSR_,comdat
	.globl	_ZN7rocprim17ROCPRIM_400000_NS6detail17trampoline_kernelINS0_14default_configENS1_32segmented_reduce_config_selectorIN3c108BFloat16EEEZNS1_21segmented_reduce_implIS3_PKS6_PS6_PKlS6_N6hipcub16HIPCUB_304000_NS6detail27convert_result_type_wrapperISA_SB_N2at6native12_GLOBAL__N_19CustomSumEEEEE10hipError_tPvRmT0_T1_jT2_SS_T4_T3_P12ihipStream_tbEUlT_E_NS1_11comp_targetILNS1_3genE4ELNS1_11target_archE910ELNS1_3gpuE8ELNS1_3repE0EEENS1_30default_config_static_selectorELNS0_4arch9wavefront6targetE0EEEvSR_ ; -- Begin function _ZN7rocprim17ROCPRIM_400000_NS6detail17trampoline_kernelINS0_14default_configENS1_32segmented_reduce_config_selectorIN3c108BFloat16EEEZNS1_21segmented_reduce_implIS3_PKS6_PS6_PKlS6_N6hipcub16HIPCUB_304000_NS6detail27convert_result_type_wrapperISA_SB_N2at6native12_GLOBAL__N_19CustomSumEEEEE10hipError_tPvRmT0_T1_jT2_SS_T4_T3_P12ihipStream_tbEUlT_E_NS1_11comp_targetILNS1_3genE4ELNS1_11target_archE910ELNS1_3gpuE8ELNS1_3repE0EEENS1_30default_config_static_selectorELNS0_4arch9wavefront6targetE0EEEvSR_
	.p2align	8
	.type	_ZN7rocprim17ROCPRIM_400000_NS6detail17trampoline_kernelINS0_14default_configENS1_32segmented_reduce_config_selectorIN3c108BFloat16EEEZNS1_21segmented_reduce_implIS3_PKS6_PS6_PKlS6_N6hipcub16HIPCUB_304000_NS6detail27convert_result_type_wrapperISA_SB_N2at6native12_GLOBAL__N_19CustomSumEEEEE10hipError_tPvRmT0_T1_jT2_SS_T4_T3_P12ihipStream_tbEUlT_E_NS1_11comp_targetILNS1_3genE4ELNS1_11target_archE910ELNS1_3gpuE8ELNS1_3repE0EEENS1_30default_config_static_selectorELNS0_4arch9wavefront6targetE0EEEvSR_,@function
_ZN7rocprim17ROCPRIM_400000_NS6detail17trampoline_kernelINS0_14default_configENS1_32segmented_reduce_config_selectorIN3c108BFloat16EEEZNS1_21segmented_reduce_implIS3_PKS6_PS6_PKlS6_N6hipcub16HIPCUB_304000_NS6detail27convert_result_type_wrapperISA_SB_N2at6native12_GLOBAL__N_19CustomSumEEEEE10hipError_tPvRmT0_T1_jT2_SS_T4_T3_P12ihipStream_tbEUlT_E_NS1_11comp_targetILNS1_3genE4ELNS1_11target_archE910ELNS1_3gpuE8ELNS1_3repE0EEENS1_30default_config_static_selectorELNS0_4arch9wavefront6targetE0EEEvSR_: ; @_ZN7rocprim17ROCPRIM_400000_NS6detail17trampoline_kernelINS0_14default_configENS1_32segmented_reduce_config_selectorIN3c108BFloat16EEEZNS1_21segmented_reduce_implIS3_PKS6_PS6_PKlS6_N6hipcub16HIPCUB_304000_NS6detail27convert_result_type_wrapperISA_SB_N2at6native12_GLOBAL__N_19CustomSumEEEEE10hipError_tPvRmT0_T1_jT2_SS_T4_T3_P12ihipStream_tbEUlT_E_NS1_11comp_targetILNS1_3genE4ELNS1_11target_archE910ELNS1_3gpuE8ELNS1_3repE0EEENS1_30default_config_static_selectorELNS0_4arch9wavefront6targetE0EEEvSR_
; %bb.0:
	.section	.rodata,"a",@progbits
	.p2align	6, 0x0
	.amdhsa_kernel _ZN7rocprim17ROCPRIM_400000_NS6detail17trampoline_kernelINS0_14default_configENS1_32segmented_reduce_config_selectorIN3c108BFloat16EEEZNS1_21segmented_reduce_implIS3_PKS6_PS6_PKlS6_N6hipcub16HIPCUB_304000_NS6detail27convert_result_type_wrapperISA_SB_N2at6native12_GLOBAL__N_19CustomSumEEEEE10hipError_tPvRmT0_T1_jT2_SS_T4_T3_P12ihipStream_tbEUlT_E_NS1_11comp_targetILNS1_3genE4ELNS1_11target_archE910ELNS1_3gpuE8ELNS1_3repE0EEENS1_30default_config_static_selectorELNS0_4arch9wavefront6targetE0EEEvSR_
		.amdhsa_group_segment_fixed_size 0
		.amdhsa_private_segment_fixed_size 0
		.amdhsa_kernarg_size 48
		.amdhsa_user_sgpr_count 6
		.amdhsa_user_sgpr_private_segment_buffer 1
		.amdhsa_user_sgpr_dispatch_ptr 0
		.amdhsa_user_sgpr_queue_ptr 0
		.amdhsa_user_sgpr_kernarg_segment_ptr 1
		.amdhsa_user_sgpr_dispatch_id 0
		.amdhsa_user_sgpr_flat_scratch_init 0
		.amdhsa_user_sgpr_private_segment_size 0
		.amdhsa_wavefront_size32 1
		.amdhsa_uses_dynamic_stack 0
		.amdhsa_system_sgpr_private_segment_wavefront_offset 0
		.amdhsa_system_sgpr_workgroup_id_x 1
		.amdhsa_system_sgpr_workgroup_id_y 0
		.amdhsa_system_sgpr_workgroup_id_z 0
		.amdhsa_system_sgpr_workgroup_info 0
		.amdhsa_system_vgpr_workitem_id 0
		.amdhsa_next_free_vgpr 1
		.amdhsa_next_free_sgpr 1
		.amdhsa_reserve_vcc 0
		.amdhsa_reserve_flat_scratch 0
		.amdhsa_float_round_mode_32 0
		.amdhsa_float_round_mode_16_64 0
		.amdhsa_float_denorm_mode_32 3
		.amdhsa_float_denorm_mode_16_64 3
		.amdhsa_dx10_clamp 1
		.amdhsa_ieee_mode 1
		.amdhsa_fp16_overflow 0
		.amdhsa_workgroup_processor_mode 1
		.amdhsa_memory_ordered 1
		.amdhsa_forward_progress 1
		.amdhsa_shared_vgpr_count 0
		.amdhsa_exception_fp_ieee_invalid_op 0
		.amdhsa_exception_fp_denorm_src 0
		.amdhsa_exception_fp_ieee_div_zero 0
		.amdhsa_exception_fp_ieee_overflow 0
		.amdhsa_exception_fp_ieee_underflow 0
		.amdhsa_exception_fp_ieee_inexact 0
		.amdhsa_exception_int_div_zero 0
	.end_amdhsa_kernel
	.section	.text._ZN7rocprim17ROCPRIM_400000_NS6detail17trampoline_kernelINS0_14default_configENS1_32segmented_reduce_config_selectorIN3c108BFloat16EEEZNS1_21segmented_reduce_implIS3_PKS6_PS6_PKlS6_N6hipcub16HIPCUB_304000_NS6detail27convert_result_type_wrapperISA_SB_N2at6native12_GLOBAL__N_19CustomSumEEEEE10hipError_tPvRmT0_T1_jT2_SS_T4_T3_P12ihipStream_tbEUlT_E_NS1_11comp_targetILNS1_3genE4ELNS1_11target_archE910ELNS1_3gpuE8ELNS1_3repE0EEENS1_30default_config_static_selectorELNS0_4arch9wavefront6targetE0EEEvSR_,"axG",@progbits,_ZN7rocprim17ROCPRIM_400000_NS6detail17trampoline_kernelINS0_14default_configENS1_32segmented_reduce_config_selectorIN3c108BFloat16EEEZNS1_21segmented_reduce_implIS3_PKS6_PS6_PKlS6_N6hipcub16HIPCUB_304000_NS6detail27convert_result_type_wrapperISA_SB_N2at6native12_GLOBAL__N_19CustomSumEEEEE10hipError_tPvRmT0_T1_jT2_SS_T4_T3_P12ihipStream_tbEUlT_E_NS1_11comp_targetILNS1_3genE4ELNS1_11target_archE910ELNS1_3gpuE8ELNS1_3repE0EEENS1_30default_config_static_selectorELNS0_4arch9wavefront6targetE0EEEvSR_,comdat
.Lfunc_end258:
	.size	_ZN7rocprim17ROCPRIM_400000_NS6detail17trampoline_kernelINS0_14default_configENS1_32segmented_reduce_config_selectorIN3c108BFloat16EEEZNS1_21segmented_reduce_implIS3_PKS6_PS6_PKlS6_N6hipcub16HIPCUB_304000_NS6detail27convert_result_type_wrapperISA_SB_N2at6native12_GLOBAL__N_19CustomSumEEEEE10hipError_tPvRmT0_T1_jT2_SS_T4_T3_P12ihipStream_tbEUlT_E_NS1_11comp_targetILNS1_3genE4ELNS1_11target_archE910ELNS1_3gpuE8ELNS1_3repE0EEENS1_30default_config_static_selectorELNS0_4arch9wavefront6targetE0EEEvSR_, .Lfunc_end258-_ZN7rocprim17ROCPRIM_400000_NS6detail17trampoline_kernelINS0_14default_configENS1_32segmented_reduce_config_selectorIN3c108BFloat16EEEZNS1_21segmented_reduce_implIS3_PKS6_PS6_PKlS6_N6hipcub16HIPCUB_304000_NS6detail27convert_result_type_wrapperISA_SB_N2at6native12_GLOBAL__N_19CustomSumEEEEE10hipError_tPvRmT0_T1_jT2_SS_T4_T3_P12ihipStream_tbEUlT_E_NS1_11comp_targetILNS1_3genE4ELNS1_11target_archE910ELNS1_3gpuE8ELNS1_3repE0EEENS1_30default_config_static_selectorELNS0_4arch9wavefront6targetE0EEEvSR_
                                        ; -- End function
	.set _ZN7rocprim17ROCPRIM_400000_NS6detail17trampoline_kernelINS0_14default_configENS1_32segmented_reduce_config_selectorIN3c108BFloat16EEEZNS1_21segmented_reduce_implIS3_PKS6_PS6_PKlS6_N6hipcub16HIPCUB_304000_NS6detail27convert_result_type_wrapperISA_SB_N2at6native12_GLOBAL__N_19CustomSumEEEEE10hipError_tPvRmT0_T1_jT2_SS_T4_T3_P12ihipStream_tbEUlT_E_NS1_11comp_targetILNS1_3genE4ELNS1_11target_archE910ELNS1_3gpuE8ELNS1_3repE0EEENS1_30default_config_static_selectorELNS0_4arch9wavefront6targetE0EEEvSR_.num_vgpr, 0
	.set _ZN7rocprim17ROCPRIM_400000_NS6detail17trampoline_kernelINS0_14default_configENS1_32segmented_reduce_config_selectorIN3c108BFloat16EEEZNS1_21segmented_reduce_implIS3_PKS6_PS6_PKlS6_N6hipcub16HIPCUB_304000_NS6detail27convert_result_type_wrapperISA_SB_N2at6native12_GLOBAL__N_19CustomSumEEEEE10hipError_tPvRmT0_T1_jT2_SS_T4_T3_P12ihipStream_tbEUlT_E_NS1_11comp_targetILNS1_3genE4ELNS1_11target_archE910ELNS1_3gpuE8ELNS1_3repE0EEENS1_30default_config_static_selectorELNS0_4arch9wavefront6targetE0EEEvSR_.num_agpr, 0
	.set _ZN7rocprim17ROCPRIM_400000_NS6detail17trampoline_kernelINS0_14default_configENS1_32segmented_reduce_config_selectorIN3c108BFloat16EEEZNS1_21segmented_reduce_implIS3_PKS6_PS6_PKlS6_N6hipcub16HIPCUB_304000_NS6detail27convert_result_type_wrapperISA_SB_N2at6native12_GLOBAL__N_19CustomSumEEEEE10hipError_tPvRmT0_T1_jT2_SS_T4_T3_P12ihipStream_tbEUlT_E_NS1_11comp_targetILNS1_3genE4ELNS1_11target_archE910ELNS1_3gpuE8ELNS1_3repE0EEENS1_30default_config_static_selectorELNS0_4arch9wavefront6targetE0EEEvSR_.numbered_sgpr, 0
	.set _ZN7rocprim17ROCPRIM_400000_NS6detail17trampoline_kernelINS0_14default_configENS1_32segmented_reduce_config_selectorIN3c108BFloat16EEEZNS1_21segmented_reduce_implIS3_PKS6_PS6_PKlS6_N6hipcub16HIPCUB_304000_NS6detail27convert_result_type_wrapperISA_SB_N2at6native12_GLOBAL__N_19CustomSumEEEEE10hipError_tPvRmT0_T1_jT2_SS_T4_T3_P12ihipStream_tbEUlT_E_NS1_11comp_targetILNS1_3genE4ELNS1_11target_archE910ELNS1_3gpuE8ELNS1_3repE0EEENS1_30default_config_static_selectorELNS0_4arch9wavefront6targetE0EEEvSR_.num_named_barrier, 0
	.set _ZN7rocprim17ROCPRIM_400000_NS6detail17trampoline_kernelINS0_14default_configENS1_32segmented_reduce_config_selectorIN3c108BFloat16EEEZNS1_21segmented_reduce_implIS3_PKS6_PS6_PKlS6_N6hipcub16HIPCUB_304000_NS6detail27convert_result_type_wrapperISA_SB_N2at6native12_GLOBAL__N_19CustomSumEEEEE10hipError_tPvRmT0_T1_jT2_SS_T4_T3_P12ihipStream_tbEUlT_E_NS1_11comp_targetILNS1_3genE4ELNS1_11target_archE910ELNS1_3gpuE8ELNS1_3repE0EEENS1_30default_config_static_selectorELNS0_4arch9wavefront6targetE0EEEvSR_.private_seg_size, 0
	.set _ZN7rocprim17ROCPRIM_400000_NS6detail17trampoline_kernelINS0_14default_configENS1_32segmented_reduce_config_selectorIN3c108BFloat16EEEZNS1_21segmented_reduce_implIS3_PKS6_PS6_PKlS6_N6hipcub16HIPCUB_304000_NS6detail27convert_result_type_wrapperISA_SB_N2at6native12_GLOBAL__N_19CustomSumEEEEE10hipError_tPvRmT0_T1_jT2_SS_T4_T3_P12ihipStream_tbEUlT_E_NS1_11comp_targetILNS1_3genE4ELNS1_11target_archE910ELNS1_3gpuE8ELNS1_3repE0EEENS1_30default_config_static_selectorELNS0_4arch9wavefront6targetE0EEEvSR_.uses_vcc, 0
	.set _ZN7rocprim17ROCPRIM_400000_NS6detail17trampoline_kernelINS0_14default_configENS1_32segmented_reduce_config_selectorIN3c108BFloat16EEEZNS1_21segmented_reduce_implIS3_PKS6_PS6_PKlS6_N6hipcub16HIPCUB_304000_NS6detail27convert_result_type_wrapperISA_SB_N2at6native12_GLOBAL__N_19CustomSumEEEEE10hipError_tPvRmT0_T1_jT2_SS_T4_T3_P12ihipStream_tbEUlT_E_NS1_11comp_targetILNS1_3genE4ELNS1_11target_archE910ELNS1_3gpuE8ELNS1_3repE0EEENS1_30default_config_static_selectorELNS0_4arch9wavefront6targetE0EEEvSR_.uses_flat_scratch, 0
	.set _ZN7rocprim17ROCPRIM_400000_NS6detail17trampoline_kernelINS0_14default_configENS1_32segmented_reduce_config_selectorIN3c108BFloat16EEEZNS1_21segmented_reduce_implIS3_PKS6_PS6_PKlS6_N6hipcub16HIPCUB_304000_NS6detail27convert_result_type_wrapperISA_SB_N2at6native12_GLOBAL__N_19CustomSumEEEEE10hipError_tPvRmT0_T1_jT2_SS_T4_T3_P12ihipStream_tbEUlT_E_NS1_11comp_targetILNS1_3genE4ELNS1_11target_archE910ELNS1_3gpuE8ELNS1_3repE0EEENS1_30default_config_static_selectorELNS0_4arch9wavefront6targetE0EEEvSR_.has_dyn_sized_stack, 0
	.set _ZN7rocprim17ROCPRIM_400000_NS6detail17trampoline_kernelINS0_14default_configENS1_32segmented_reduce_config_selectorIN3c108BFloat16EEEZNS1_21segmented_reduce_implIS3_PKS6_PS6_PKlS6_N6hipcub16HIPCUB_304000_NS6detail27convert_result_type_wrapperISA_SB_N2at6native12_GLOBAL__N_19CustomSumEEEEE10hipError_tPvRmT0_T1_jT2_SS_T4_T3_P12ihipStream_tbEUlT_E_NS1_11comp_targetILNS1_3genE4ELNS1_11target_archE910ELNS1_3gpuE8ELNS1_3repE0EEENS1_30default_config_static_selectorELNS0_4arch9wavefront6targetE0EEEvSR_.has_recursion, 0
	.set _ZN7rocprim17ROCPRIM_400000_NS6detail17trampoline_kernelINS0_14default_configENS1_32segmented_reduce_config_selectorIN3c108BFloat16EEEZNS1_21segmented_reduce_implIS3_PKS6_PS6_PKlS6_N6hipcub16HIPCUB_304000_NS6detail27convert_result_type_wrapperISA_SB_N2at6native12_GLOBAL__N_19CustomSumEEEEE10hipError_tPvRmT0_T1_jT2_SS_T4_T3_P12ihipStream_tbEUlT_E_NS1_11comp_targetILNS1_3genE4ELNS1_11target_archE910ELNS1_3gpuE8ELNS1_3repE0EEENS1_30default_config_static_selectorELNS0_4arch9wavefront6targetE0EEEvSR_.has_indirect_call, 0
	.section	.AMDGPU.csdata,"",@progbits
; Kernel info:
; codeLenInByte = 0
; TotalNumSgprs: 0
; NumVgprs: 0
; ScratchSize: 0
; MemoryBound: 0
; FloatMode: 240
; IeeeMode: 1
; LDSByteSize: 0 bytes/workgroup (compile time only)
; SGPRBlocks: 0
; VGPRBlocks: 0
; NumSGPRsForWavesPerEU: 1
; NumVGPRsForWavesPerEU: 1
; Occupancy: 16
; WaveLimiterHint : 0
; COMPUTE_PGM_RSRC2:SCRATCH_EN: 0
; COMPUTE_PGM_RSRC2:USER_SGPR: 6
; COMPUTE_PGM_RSRC2:TRAP_HANDLER: 0
; COMPUTE_PGM_RSRC2:TGID_X_EN: 1
; COMPUTE_PGM_RSRC2:TGID_Y_EN: 0
; COMPUTE_PGM_RSRC2:TGID_Z_EN: 0
; COMPUTE_PGM_RSRC2:TIDIG_COMP_CNT: 0
	.section	.text._ZN7rocprim17ROCPRIM_400000_NS6detail17trampoline_kernelINS0_14default_configENS1_32segmented_reduce_config_selectorIN3c108BFloat16EEEZNS1_21segmented_reduce_implIS3_PKS6_PS6_PKlS6_N6hipcub16HIPCUB_304000_NS6detail27convert_result_type_wrapperISA_SB_N2at6native12_GLOBAL__N_19CustomSumEEEEE10hipError_tPvRmT0_T1_jT2_SS_T4_T3_P12ihipStream_tbEUlT_E_NS1_11comp_targetILNS1_3genE3ELNS1_11target_archE908ELNS1_3gpuE7ELNS1_3repE0EEENS1_30default_config_static_selectorELNS0_4arch9wavefront6targetE0EEEvSR_,"axG",@progbits,_ZN7rocprim17ROCPRIM_400000_NS6detail17trampoline_kernelINS0_14default_configENS1_32segmented_reduce_config_selectorIN3c108BFloat16EEEZNS1_21segmented_reduce_implIS3_PKS6_PS6_PKlS6_N6hipcub16HIPCUB_304000_NS6detail27convert_result_type_wrapperISA_SB_N2at6native12_GLOBAL__N_19CustomSumEEEEE10hipError_tPvRmT0_T1_jT2_SS_T4_T3_P12ihipStream_tbEUlT_E_NS1_11comp_targetILNS1_3genE3ELNS1_11target_archE908ELNS1_3gpuE7ELNS1_3repE0EEENS1_30default_config_static_selectorELNS0_4arch9wavefront6targetE0EEEvSR_,comdat
	.globl	_ZN7rocprim17ROCPRIM_400000_NS6detail17trampoline_kernelINS0_14default_configENS1_32segmented_reduce_config_selectorIN3c108BFloat16EEEZNS1_21segmented_reduce_implIS3_PKS6_PS6_PKlS6_N6hipcub16HIPCUB_304000_NS6detail27convert_result_type_wrapperISA_SB_N2at6native12_GLOBAL__N_19CustomSumEEEEE10hipError_tPvRmT0_T1_jT2_SS_T4_T3_P12ihipStream_tbEUlT_E_NS1_11comp_targetILNS1_3genE3ELNS1_11target_archE908ELNS1_3gpuE7ELNS1_3repE0EEENS1_30default_config_static_selectorELNS0_4arch9wavefront6targetE0EEEvSR_ ; -- Begin function _ZN7rocprim17ROCPRIM_400000_NS6detail17trampoline_kernelINS0_14default_configENS1_32segmented_reduce_config_selectorIN3c108BFloat16EEEZNS1_21segmented_reduce_implIS3_PKS6_PS6_PKlS6_N6hipcub16HIPCUB_304000_NS6detail27convert_result_type_wrapperISA_SB_N2at6native12_GLOBAL__N_19CustomSumEEEEE10hipError_tPvRmT0_T1_jT2_SS_T4_T3_P12ihipStream_tbEUlT_E_NS1_11comp_targetILNS1_3genE3ELNS1_11target_archE908ELNS1_3gpuE7ELNS1_3repE0EEENS1_30default_config_static_selectorELNS0_4arch9wavefront6targetE0EEEvSR_
	.p2align	8
	.type	_ZN7rocprim17ROCPRIM_400000_NS6detail17trampoline_kernelINS0_14default_configENS1_32segmented_reduce_config_selectorIN3c108BFloat16EEEZNS1_21segmented_reduce_implIS3_PKS6_PS6_PKlS6_N6hipcub16HIPCUB_304000_NS6detail27convert_result_type_wrapperISA_SB_N2at6native12_GLOBAL__N_19CustomSumEEEEE10hipError_tPvRmT0_T1_jT2_SS_T4_T3_P12ihipStream_tbEUlT_E_NS1_11comp_targetILNS1_3genE3ELNS1_11target_archE908ELNS1_3gpuE7ELNS1_3repE0EEENS1_30default_config_static_selectorELNS0_4arch9wavefront6targetE0EEEvSR_,@function
_ZN7rocprim17ROCPRIM_400000_NS6detail17trampoline_kernelINS0_14default_configENS1_32segmented_reduce_config_selectorIN3c108BFloat16EEEZNS1_21segmented_reduce_implIS3_PKS6_PS6_PKlS6_N6hipcub16HIPCUB_304000_NS6detail27convert_result_type_wrapperISA_SB_N2at6native12_GLOBAL__N_19CustomSumEEEEE10hipError_tPvRmT0_T1_jT2_SS_T4_T3_P12ihipStream_tbEUlT_E_NS1_11comp_targetILNS1_3genE3ELNS1_11target_archE908ELNS1_3gpuE7ELNS1_3repE0EEENS1_30default_config_static_selectorELNS0_4arch9wavefront6targetE0EEEvSR_: ; @_ZN7rocprim17ROCPRIM_400000_NS6detail17trampoline_kernelINS0_14default_configENS1_32segmented_reduce_config_selectorIN3c108BFloat16EEEZNS1_21segmented_reduce_implIS3_PKS6_PS6_PKlS6_N6hipcub16HIPCUB_304000_NS6detail27convert_result_type_wrapperISA_SB_N2at6native12_GLOBAL__N_19CustomSumEEEEE10hipError_tPvRmT0_T1_jT2_SS_T4_T3_P12ihipStream_tbEUlT_E_NS1_11comp_targetILNS1_3genE3ELNS1_11target_archE908ELNS1_3gpuE7ELNS1_3repE0EEENS1_30default_config_static_selectorELNS0_4arch9wavefront6targetE0EEEvSR_
; %bb.0:
	.section	.rodata,"a",@progbits
	.p2align	6, 0x0
	.amdhsa_kernel _ZN7rocprim17ROCPRIM_400000_NS6detail17trampoline_kernelINS0_14default_configENS1_32segmented_reduce_config_selectorIN3c108BFloat16EEEZNS1_21segmented_reduce_implIS3_PKS6_PS6_PKlS6_N6hipcub16HIPCUB_304000_NS6detail27convert_result_type_wrapperISA_SB_N2at6native12_GLOBAL__N_19CustomSumEEEEE10hipError_tPvRmT0_T1_jT2_SS_T4_T3_P12ihipStream_tbEUlT_E_NS1_11comp_targetILNS1_3genE3ELNS1_11target_archE908ELNS1_3gpuE7ELNS1_3repE0EEENS1_30default_config_static_selectorELNS0_4arch9wavefront6targetE0EEEvSR_
		.amdhsa_group_segment_fixed_size 0
		.amdhsa_private_segment_fixed_size 0
		.amdhsa_kernarg_size 48
		.amdhsa_user_sgpr_count 6
		.amdhsa_user_sgpr_private_segment_buffer 1
		.amdhsa_user_sgpr_dispatch_ptr 0
		.amdhsa_user_sgpr_queue_ptr 0
		.amdhsa_user_sgpr_kernarg_segment_ptr 1
		.amdhsa_user_sgpr_dispatch_id 0
		.amdhsa_user_sgpr_flat_scratch_init 0
		.amdhsa_user_sgpr_private_segment_size 0
		.amdhsa_wavefront_size32 1
		.amdhsa_uses_dynamic_stack 0
		.amdhsa_system_sgpr_private_segment_wavefront_offset 0
		.amdhsa_system_sgpr_workgroup_id_x 1
		.amdhsa_system_sgpr_workgroup_id_y 0
		.amdhsa_system_sgpr_workgroup_id_z 0
		.amdhsa_system_sgpr_workgroup_info 0
		.amdhsa_system_vgpr_workitem_id 0
		.amdhsa_next_free_vgpr 1
		.amdhsa_next_free_sgpr 1
		.amdhsa_reserve_vcc 0
		.amdhsa_reserve_flat_scratch 0
		.amdhsa_float_round_mode_32 0
		.amdhsa_float_round_mode_16_64 0
		.amdhsa_float_denorm_mode_32 3
		.amdhsa_float_denorm_mode_16_64 3
		.amdhsa_dx10_clamp 1
		.amdhsa_ieee_mode 1
		.amdhsa_fp16_overflow 0
		.amdhsa_workgroup_processor_mode 1
		.amdhsa_memory_ordered 1
		.amdhsa_forward_progress 1
		.amdhsa_shared_vgpr_count 0
		.amdhsa_exception_fp_ieee_invalid_op 0
		.amdhsa_exception_fp_denorm_src 0
		.amdhsa_exception_fp_ieee_div_zero 0
		.amdhsa_exception_fp_ieee_overflow 0
		.amdhsa_exception_fp_ieee_underflow 0
		.amdhsa_exception_fp_ieee_inexact 0
		.amdhsa_exception_int_div_zero 0
	.end_amdhsa_kernel
	.section	.text._ZN7rocprim17ROCPRIM_400000_NS6detail17trampoline_kernelINS0_14default_configENS1_32segmented_reduce_config_selectorIN3c108BFloat16EEEZNS1_21segmented_reduce_implIS3_PKS6_PS6_PKlS6_N6hipcub16HIPCUB_304000_NS6detail27convert_result_type_wrapperISA_SB_N2at6native12_GLOBAL__N_19CustomSumEEEEE10hipError_tPvRmT0_T1_jT2_SS_T4_T3_P12ihipStream_tbEUlT_E_NS1_11comp_targetILNS1_3genE3ELNS1_11target_archE908ELNS1_3gpuE7ELNS1_3repE0EEENS1_30default_config_static_selectorELNS0_4arch9wavefront6targetE0EEEvSR_,"axG",@progbits,_ZN7rocprim17ROCPRIM_400000_NS6detail17trampoline_kernelINS0_14default_configENS1_32segmented_reduce_config_selectorIN3c108BFloat16EEEZNS1_21segmented_reduce_implIS3_PKS6_PS6_PKlS6_N6hipcub16HIPCUB_304000_NS6detail27convert_result_type_wrapperISA_SB_N2at6native12_GLOBAL__N_19CustomSumEEEEE10hipError_tPvRmT0_T1_jT2_SS_T4_T3_P12ihipStream_tbEUlT_E_NS1_11comp_targetILNS1_3genE3ELNS1_11target_archE908ELNS1_3gpuE7ELNS1_3repE0EEENS1_30default_config_static_selectorELNS0_4arch9wavefront6targetE0EEEvSR_,comdat
.Lfunc_end259:
	.size	_ZN7rocprim17ROCPRIM_400000_NS6detail17trampoline_kernelINS0_14default_configENS1_32segmented_reduce_config_selectorIN3c108BFloat16EEEZNS1_21segmented_reduce_implIS3_PKS6_PS6_PKlS6_N6hipcub16HIPCUB_304000_NS6detail27convert_result_type_wrapperISA_SB_N2at6native12_GLOBAL__N_19CustomSumEEEEE10hipError_tPvRmT0_T1_jT2_SS_T4_T3_P12ihipStream_tbEUlT_E_NS1_11comp_targetILNS1_3genE3ELNS1_11target_archE908ELNS1_3gpuE7ELNS1_3repE0EEENS1_30default_config_static_selectorELNS0_4arch9wavefront6targetE0EEEvSR_, .Lfunc_end259-_ZN7rocprim17ROCPRIM_400000_NS6detail17trampoline_kernelINS0_14default_configENS1_32segmented_reduce_config_selectorIN3c108BFloat16EEEZNS1_21segmented_reduce_implIS3_PKS6_PS6_PKlS6_N6hipcub16HIPCUB_304000_NS6detail27convert_result_type_wrapperISA_SB_N2at6native12_GLOBAL__N_19CustomSumEEEEE10hipError_tPvRmT0_T1_jT2_SS_T4_T3_P12ihipStream_tbEUlT_E_NS1_11comp_targetILNS1_3genE3ELNS1_11target_archE908ELNS1_3gpuE7ELNS1_3repE0EEENS1_30default_config_static_selectorELNS0_4arch9wavefront6targetE0EEEvSR_
                                        ; -- End function
	.set _ZN7rocprim17ROCPRIM_400000_NS6detail17trampoline_kernelINS0_14default_configENS1_32segmented_reduce_config_selectorIN3c108BFloat16EEEZNS1_21segmented_reduce_implIS3_PKS6_PS6_PKlS6_N6hipcub16HIPCUB_304000_NS6detail27convert_result_type_wrapperISA_SB_N2at6native12_GLOBAL__N_19CustomSumEEEEE10hipError_tPvRmT0_T1_jT2_SS_T4_T3_P12ihipStream_tbEUlT_E_NS1_11comp_targetILNS1_3genE3ELNS1_11target_archE908ELNS1_3gpuE7ELNS1_3repE0EEENS1_30default_config_static_selectorELNS0_4arch9wavefront6targetE0EEEvSR_.num_vgpr, 0
	.set _ZN7rocprim17ROCPRIM_400000_NS6detail17trampoline_kernelINS0_14default_configENS1_32segmented_reduce_config_selectorIN3c108BFloat16EEEZNS1_21segmented_reduce_implIS3_PKS6_PS6_PKlS6_N6hipcub16HIPCUB_304000_NS6detail27convert_result_type_wrapperISA_SB_N2at6native12_GLOBAL__N_19CustomSumEEEEE10hipError_tPvRmT0_T1_jT2_SS_T4_T3_P12ihipStream_tbEUlT_E_NS1_11comp_targetILNS1_3genE3ELNS1_11target_archE908ELNS1_3gpuE7ELNS1_3repE0EEENS1_30default_config_static_selectorELNS0_4arch9wavefront6targetE0EEEvSR_.num_agpr, 0
	.set _ZN7rocprim17ROCPRIM_400000_NS6detail17trampoline_kernelINS0_14default_configENS1_32segmented_reduce_config_selectorIN3c108BFloat16EEEZNS1_21segmented_reduce_implIS3_PKS6_PS6_PKlS6_N6hipcub16HIPCUB_304000_NS6detail27convert_result_type_wrapperISA_SB_N2at6native12_GLOBAL__N_19CustomSumEEEEE10hipError_tPvRmT0_T1_jT2_SS_T4_T3_P12ihipStream_tbEUlT_E_NS1_11comp_targetILNS1_3genE3ELNS1_11target_archE908ELNS1_3gpuE7ELNS1_3repE0EEENS1_30default_config_static_selectorELNS0_4arch9wavefront6targetE0EEEvSR_.numbered_sgpr, 0
	.set _ZN7rocprim17ROCPRIM_400000_NS6detail17trampoline_kernelINS0_14default_configENS1_32segmented_reduce_config_selectorIN3c108BFloat16EEEZNS1_21segmented_reduce_implIS3_PKS6_PS6_PKlS6_N6hipcub16HIPCUB_304000_NS6detail27convert_result_type_wrapperISA_SB_N2at6native12_GLOBAL__N_19CustomSumEEEEE10hipError_tPvRmT0_T1_jT2_SS_T4_T3_P12ihipStream_tbEUlT_E_NS1_11comp_targetILNS1_3genE3ELNS1_11target_archE908ELNS1_3gpuE7ELNS1_3repE0EEENS1_30default_config_static_selectorELNS0_4arch9wavefront6targetE0EEEvSR_.num_named_barrier, 0
	.set _ZN7rocprim17ROCPRIM_400000_NS6detail17trampoline_kernelINS0_14default_configENS1_32segmented_reduce_config_selectorIN3c108BFloat16EEEZNS1_21segmented_reduce_implIS3_PKS6_PS6_PKlS6_N6hipcub16HIPCUB_304000_NS6detail27convert_result_type_wrapperISA_SB_N2at6native12_GLOBAL__N_19CustomSumEEEEE10hipError_tPvRmT0_T1_jT2_SS_T4_T3_P12ihipStream_tbEUlT_E_NS1_11comp_targetILNS1_3genE3ELNS1_11target_archE908ELNS1_3gpuE7ELNS1_3repE0EEENS1_30default_config_static_selectorELNS0_4arch9wavefront6targetE0EEEvSR_.private_seg_size, 0
	.set _ZN7rocprim17ROCPRIM_400000_NS6detail17trampoline_kernelINS0_14default_configENS1_32segmented_reduce_config_selectorIN3c108BFloat16EEEZNS1_21segmented_reduce_implIS3_PKS6_PS6_PKlS6_N6hipcub16HIPCUB_304000_NS6detail27convert_result_type_wrapperISA_SB_N2at6native12_GLOBAL__N_19CustomSumEEEEE10hipError_tPvRmT0_T1_jT2_SS_T4_T3_P12ihipStream_tbEUlT_E_NS1_11comp_targetILNS1_3genE3ELNS1_11target_archE908ELNS1_3gpuE7ELNS1_3repE0EEENS1_30default_config_static_selectorELNS0_4arch9wavefront6targetE0EEEvSR_.uses_vcc, 0
	.set _ZN7rocprim17ROCPRIM_400000_NS6detail17trampoline_kernelINS0_14default_configENS1_32segmented_reduce_config_selectorIN3c108BFloat16EEEZNS1_21segmented_reduce_implIS3_PKS6_PS6_PKlS6_N6hipcub16HIPCUB_304000_NS6detail27convert_result_type_wrapperISA_SB_N2at6native12_GLOBAL__N_19CustomSumEEEEE10hipError_tPvRmT0_T1_jT2_SS_T4_T3_P12ihipStream_tbEUlT_E_NS1_11comp_targetILNS1_3genE3ELNS1_11target_archE908ELNS1_3gpuE7ELNS1_3repE0EEENS1_30default_config_static_selectorELNS0_4arch9wavefront6targetE0EEEvSR_.uses_flat_scratch, 0
	.set _ZN7rocprim17ROCPRIM_400000_NS6detail17trampoline_kernelINS0_14default_configENS1_32segmented_reduce_config_selectorIN3c108BFloat16EEEZNS1_21segmented_reduce_implIS3_PKS6_PS6_PKlS6_N6hipcub16HIPCUB_304000_NS6detail27convert_result_type_wrapperISA_SB_N2at6native12_GLOBAL__N_19CustomSumEEEEE10hipError_tPvRmT0_T1_jT2_SS_T4_T3_P12ihipStream_tbEUlT_E_NS1_11comp_targetILNS1_3genE3ELNS1_11target_archE908ELNS1_3gpuE7ELNS1_3repE0EEENS1_30default_config_static_selectorELNS0_4arch9wavefront6targetE0EEEvSR_.has_dyn_sized_stack, 0
	.set _ZN7rocprim17ROCPRIM_400000_NS6detail17trampoline_kernelINS0_14default_configENS1_32segmented_reduce_config_selectorIN3c108BFloat16EEEZNS1_21segmented_reduce_implIS3_PKS6_PS6_PKlS6_N6hipcub16HIPCUB_304000_NS6detail27convert_result_type_wrapperISA_SB_N2at6native12_GLOBAL__N_19CustomSumEEEEE10hipError_tPvRmT0_T1_jT2_SS_T4_T3_P12ihipStream_tbEUlT_E_NS1_11comp_targetILNS1_3genE3ELNS1_11target_archE908ELNS1_3gpuE7ELNS1_3repE0EEENS1_30default_config_static_selectorELNS0_4arch9wavefront6targetE0EEEvSR_.has_recursion, 0
	.set _ZN7rocprim17ROCPRIM_400000_NS6detail17trampoline_kernelINS0_14default_configENS1_32segmented_reduce_config_selectorIN3c108BFloat16EEEZNS1_21segmented_reduce_implIS3_PKS6_PS6_PKlS6_N6hipcub16HIPCUB_304000_NS6detail27convert_result_type_wrapperISA_SB_N2at6native12_GLOBAL__N_19CustomSumEEEEE10hipError_tPvRmT0_T1_jT2_SS_T4_T3_P12ihipStream_tbEUlT_E_NS1_11comp_targetILNS1_3genE3ELNS1_11target_archE908ELNS1_3gpuE7ELNS1_3repE0EEENS1_30default_config_static_selectorELNS0_4arch9wavefront6targetE0EEEvSR_.has_indirect_call, 0
	.section	.AMDGPU.csdata,"",@progbits
; Kernel info:
; codeLenInByte = 0
; TotalNumSgprs: 0
; NumVgprs: 0
; ScratchSize: 0
; MemoryBound: 0
; FloatMode: 240
; IeeeMode: 1
; LDSByteSize: 0 bytes/workgroup (compile time only)
; SGPRBlocks: 0
; VGPRBlocks: 0
; NumSGPRsForWavesPerEU: 1
; NumVGPRsForWavesPerEU: 1
; Occupancy: 16
; WaveLimiterHint : 0
; COMPUTE_PGM_RSRC2:SCRATCH_EN: 0
; COMPUTE_PGM_RSRC2:USER_SGPR: 6
; COMPUTE_PGM_RSRC2:TRAP_HANDLER: 0
; COMPUTE_PGM_RSRC2:TGID_X_EN: 1
; COMPUTE_PGM_RSRC2:TGID_Y_EN: 0
; COMPUTE_PGM_RSRC2:TGID_Z_EN: 0
; COMPUTE_PGM_RSRC2:TIDIG_COMP_CNT: 0
	.section	.text._ZN7rocprim17ROCPRIM_400000_NS6detail17trampoline_kernelINS0_14default_configENS1_32segmented_reduce_config_selectorIN3c108BFloat16EEEZNS1_21segmented_reduce_implIS3_PKS6_PS6_PKlS6_N6hipcub16HIPCUB_304000_NS6detail27convert_result_type_wrapperISA_SB_N2at6native12_GLOBAL__N_19CustomSumEEEEE10hipError_tPvRmT0_T1_jT2_SS_T4_T3_P12ihipStream_tbEUlT_E_NS1_11comp_targetILNS1_3genE2ELNS1_11target_archE906ELNS1_3gpuE6ELNS1_3repE0EEENS1_30default_config_static_selectorELNS0_4arch9wavefront6targetE0EEEvSR_,"axG",@progbits,_ZN7rocprim17ROCPRIM_400000_NS6detail17trampoline_kernelINS0_14default_configENS1_32segmented_reduce_config_selectorIN3c108BFloat16EEEZNS1_21segmented_reduce_implIS3_PKS6_PS6_PKlS6_N6hipcub16HIPCUB_304000_NS6detail27convert_result_type_wrapperISA_SB_N2at6native12_GLOBAL__N_19CustomSumEEEEE10hipError_tPvRmT0_T1_jT2_SS_T4_T3_P12ihipStream_tbEUlT_E_NS1_11comp_targetILNS1_3genE2ELNS1_11target_archE906ELNS1_3gpuE6ELNS1_3repE0EEENS1_30default_config_static_selectorELNS0_4arch9wavefront6targetE0EEEvSR_,comdat
	.globl	_ZN7rocprim17ROCPRIM_400000_NS6detail17trampoline_kernelINS0_14default_configENS1_32segmented_reduce_config_selectorIN3c108BFloat16EEEZNS1_21segmented_reduce_implIS3_PKS6_PS6_PKlS6_N6hipcub16HIPCUB_304000_NS6detail27convert_result_type_wrapperISA_SB_N2at6native12_GLOBAL__N_19CustomSumEEEEE10hipError_tPvRmT0_T1_jT2_SS_T4_T3_P12ihipStream_tbEUlT_E_NS1_11comp_targetILNS1_3genE2ELNS1_11target_archE906ELNS1_3gpuE6ELNS1_3repE0EEENS1_30default_config_static_selectorELNS0_4arch9wavefront6targetE0EEEvSR_ ; -- Begin function _ZN7rocprim17ROCPRIM_400000_NS6detail17trampoline_kernelINS0_14default_configENS1_32segmented_reduce_config_selectorIN3c108BFloat16EEEZNS1_21segmented_reduce_implIS3_PKS6_PS6_PKlS6_N6hipcub16HIPCUB_304000_NS6detail27convert_result_type_wrapperISA_SB_N2at6native12_GLOBAL__N_19CustomSumEEEEE10hipError_tPvRmT0_T1_jT2_SS_T4_T3_P12ihipStream_tbEUlT_E_NS1_11comp_targetILNS1_3genE2ELNS1_11target_archE906ELNS1_3gpuE6ELNS1_3repE0EEENS1_30default_config_static_selectorELNS0_4arch9wavefront6targetE0EEEvSR_
	.p2align	8
	.type	_ZN7rocprim17ROCPRIM_400000_NS6detail17trampoline_kernelINS0_14default_configENS1_32segmented_reduce_config_selectorIN3c108BFloat16EEEZNS1_21segmented_reduce_implIS3_PKS6_PS6_PKlS6_N6hipcub16HIPCUB_304000_NS6detail27convert_result_type_wrapperISA_SB_N2at6native12_GLOBAL__N_19CustomSumEEEEE10hipError_tPvRmT0_T1_jT2_SS_T4_T3_P12ihipStream_tbEUlT_E_NS1_11comp_targetILNS1_3genE2ELNS1_11target_archE906ELNS1_3gpuE6ELNS1_3repE0EEENS1_30default_config_static_selectorELNS0_4arch9wavefront6targetE0EEEvSR_,@function
_ZN7rocprim17ROCPRIM_400000_NS6detail17trampoline_kernelINS0_14default_configENS1_32segmented_reduce_config_selectorIN3c108BFloat16EEEZNS1_21segmented_reduce_implIS3_PKS6_PS6_PKlS6_N6hipcub16HIPCUB_304000_NS6detail27convert_result_type_wrapperISA_SB_N2at6native12_GLOBAL__N_19CustomSumEEEEE10hipError_tPvRmT0_T1_jT2_SS_T4_T3_P12ihipStream_tbEUlT_E_NS1_11comp_targetILNS1_3genE2ELNS1_11target_archE906ELNS1_3gpuE6ELNS1_3repE0EEENS1_30default_config_static_selectorELNS0_4arch9wavefront6targetE0EEEvSR_: ; @_ZN7rocprim17ROCPRIM_400000_NS6detail17trampoline_kernelINS0_14default_configENS1_32segmented_reduce_config_selectorIN3c108BFloat16EEEZNS1_21segmented_reduce_implIS3_PKS6_PS6_PKlS6_N6hipcub16HIPCUB_304000_NS6detail27convert_result_type_wrapperISA_SB_N2at6native12_GLOBAL__N_19CustomSumEEEEE10hipError_tPvRmT0_T1_jT2_SS_T4_T3_P12ihipStream_tbEUlT_E_NS1_11comp_targetILNS1_3genE2ELNS1_11target_archE906ELNS1_3gpuE6ELNS1_3repE0EEENS1_30default_config_static_selectorELNS0_4arch9wavefront6targetE0EEEvSR_
; %bb.0:
	.section	.rodata,"a",@progbits
	.p2align	6, 0x0
	.amdhsa_kernel _ZN7rocprim17ROCPRIM_400000_NS6detail17trampoline_kernelINS0_14default_configENS1_32segmented_reduce_config_selectorIN3c108BFloat16EEEZNS1_21segmented_reduce_implIS3_PKS6_PS6_PKlS6_N6hipcub16HIPCUB_304000_NS6detail27convert_result_type_wrapperISA_SB_N2at6native12_GLOBAL__N_19CustomSumEEEEE10hipError_tPvRmT0_T1_jT2_SS_T4_T3_P12ihipStream_tbEUlT_E_NS1_11comp_targetILNS1_3genE2ELNS1_11target_archE906ELNS1_3gpuE6ELNS1_3repE0EEENS1_30default_config_static_selectorELNS0_4arch9wavefront6targetE0EEEvSR_
		.amdhsa_group_segment_fixed_size 0
		.amdhsa_private_segment_fixed_size 0
		.amdhsa_kernarg_size 48
		.amdhsa_user_sgpr_count 6
		.amdhsa_user_sgpr_private_segment_buffer 1
		.amdhsa_user_sgpr_dispatch_ptr 0
		.amdhsa_user_sgpr_queue_ptr 0
		.amdhsa_user_sgpr_kernarg_segment_ptr 1
		.amdhsa_user_sgpr_dispatch_id 0
		.amdhsa_user_sgpr_flat_scratch_init 0
		.amdhsa_user_sgpr_private_segment_size 0
		.amdhsa_wavefront_size32 1
		.amdhsa_uses_dynamic_stack 0
		.amdhsa_system_sgpr_private_segment_wavefront_offset 0
		.amdhsa_system_sgpr_workgroup_id_x 1
		.amdhsa_system_sgpr_workgroup_id_y 0
		.amdhsa_system_sgpr_workgroup_id_z 0
		.amdhsa_system_sgpr_workgroup_info 0
		.amdhsa_system_vgpr_workitem_id 0
		.amdhsa_next_free_vgpr 1
		.amdhsa_next_free_sgpr 1
		.amdhsa_reserve_vcc 0
		.amdhsa_reserve_flat_scratch 0
		.amdhsa_float_round_mode_32 0
		.amdhsa_float_round_mode_16_64 0
		.amdhsa_float_denorm_mode_32 3
		.amdhsa_float_denorm_mode_16_64 3
		.amdhsa_dx10_clamp 1
		.amdhsa_ieee_mode 1
		.amdhsa_fp16_overflow 0
		.amdhsa_workgroup_processor_mode 1
		.amdhsa_memory_ordered 1
		.amdhsa_forward_progress 1
		.amdhsa_shared_vgpr_count 0
		.amdhsa_exception_fp_ieee_invalid_op 0
		.amdhsa_exception_fp_denorm_src 0
		.amdhsa_exception_fp_ieee_div_zero 0
		.amdhsa_exception_fp_ieee_overflow 0
		.amdhsa_exception_fp_ieee_underflow 0
		.amdhsa_exception_fp_ieee_inexact 0
		.amdhsa_exception_int_div_zero 0
	.end_amdhsa_kernel
	.section	.text._ZN7rocprim17ROCPRIM_400000_NS6detail17trampoline_kernelINS0_14default_configENS1_32segmented_reduce_config_selectorIN3c108BFloat16EEEZNS1_21segmented_reduce_implIS3_PKS6_PS6_PKlS6_N6hipcub16HIPCUB_304000_NS6detail27convert_result_type_wrapperISA_SB_N2at6native12_GLOBAL__N_19CustomSumEEEEE10hipError_tPvRmT0_T1_jT2_SS_T4_T3_P12ihipStream_tbEUlT_E_NS1_11comp_targetILNS1_3genE2ELNS1_11target_archE906ELNS1_3gpuE6ELNS1_3repE0EEENS1_30default_config_static_selectorELNS0_4arch9wavefront6targetE0EEEvSR_,"axG",@progbits,_ZN7rocprim17ROCPRIM_400000_NS6detail17trampoline_kernelINS0_14default_configENS1_32segmented_reduce_config_selectorIN3c108BFloat16EEEZNS1_21segmented_reduce_implIS3_PKS6_PS6_PKlS6_N6hipcub16HIPCUB_304000_NS6detail27convert_result_type_wrapperISA_SB_N2at6native12_GLOBAL__N_19CustomSumEEEEE10hipError_tPvRmT0_T1_jT2_SS_T4_T3_P12ihipStream_tbEUlT_E_NS1_11comp_targetILNS1_3genE2ELNS1_11target_archE906ELNS1_3gpuE6ELNS1_3repE0EEENS1_30default_config_static_selectorELNS0_4arch9wavefront6targetE0EEEvSR_,comdat
.Lfunc_end260:
	.size	_ZN7rocprim17ROCPRIM_400000_NS6detail17trampoline_kernelINS0_14default_configENS1_32segmented_reduce_config_selectorIN3c108BFloat16EEEZNS1_21segmented_reduce_implIS3_PKS6_PS6_PKlS6_N6hipcub16HIPCUB_304000_NS6detail27convert_result_type_wrapperISA_SB_N2at6native12_GLOBAL__N_19CustomSumEEEEE10hipError_tPvRmT0_T1_jT2_SS_T4_T3_P12ihipStream_tbEUlT_E_NS1_11comp_targetILNS1_3genE2ELNS1_11target_archE906ELNS1_3gpuE6ELNS1_3repE0EEENS1_30default_config_static_selectorELNS0_4arch9wavefront6targetE0EEEvSR_, .Lfunc_end260-_ZN7rocprim17ROCPRIM_400000_NS6detail17trampoline_kernelINS0_14default_configENS1_32segmented_reduce_config_selectorIN3c108BFloat16EEEZNS1_21segmented_reduce_implIS3_PKS6_PS6_PKlS6_N6hipcub16HIPCUB_304000_NS6detail27convert_result_type_wrapperISA_SB_N2at6native12_GLOBAL__N_19CustomSumEEEEE10hipError_tPvRmT0_T1_jT2_SS_T4_T3_P12ihipStream_tbEUlT_E_NS1_11comp_targetILNS1_3genE2ELNS1_11target_archE906ELNS1_3gpuE6ELNS1_3repE0EEENS1_30default_config_static_selectorELNS0_4arch9wavefront6targetE0EEEvSR_
                                        ; -- End function
	.set _ZN7rocprim17ROCPRIM_400000_NS6detail17trampoline_kernelINS0_14default_configENS1_32segmented_reduce_config_selectorIN3c108BFloat16EEEZNS1_21segmented_reduce_implIS3_PKS6_PS6_PKlS6_N6hipcub16HIPCUB_304000_NS6detail27convert_result_type_wrapperISA_SB_N2at6native12_GLOBAL__N_19CustomSumEEEEE10hipError_tPvRmT0_T1_jT2_SS_T4_T3_P12ihipStream_tbEUlT_E_NS1_11comp_targetILNS1_3genE2ELNS1_11target_archE906ELNS1_3gpuE6ELNS1_3repE0EEENS1_30default_config_static_selectorELNS0_4arch9wavefront6targetE0EEEvSR_.num_vgpr, 0
	.set _ZN7rocprim17ROCPRIM_400000_NS6detail17trampoline_kernelINS0_14default_configENS1_32segmented_reduce_config_selectorIN3c108BFloat16EEEZNS1_21segmented_reduce_implIS3_PKS6_PS6_PKlS6_N6hipcub16HIPCUB_304000_NS6detail27convert_result_type_wrapperISA_SB_N2at6native12_GLOBAL__N_19CustomSumEEEEE10hipError_tPvRmT0_T1_jT2_SS_T4_T3_P12ihipStream_tbEUlT_E_NS1_11comp_targetILNS1_3genE2ELNS1_11target_archE906ELNS1_3gpuE6ELNS1_3repE0EEENS1_30default_config_static_selectorELNS0_4arch9wavefront6targetE0EEEvSR_.num_agpr, 0
	.set _ZN7rocprim17ROCPRIM_400000_NS6detail17trampoline_kernelINS0_14default_configENS1_32segmented_reduce_config_selectorIN3c108BFloat16EEEZNS1_21segmented_reduce_implIS3_PKS6_PS6_PKlS6_N6hipcub16HIPCUB_304000_NS6detail27convert_result_type_wrapperISA_SB_N2at6native12_GLOBAL__N_19CustomSumEEEEE10hipError_tPvRmT0_T1_jT2_SS_T4_T3_P12ihipStream_tbEUlT_E_NS1_11comp_targetILNS1_3genE2ELNS1_11target_archE906ELNS1_3gpuE6ELNS1_3repE0EEENS1_30default_config_static_selectorELNS0_4arch9wavefront6targetE0EEEvSR_.numbered_sgpr, 0
	.set _ZN7rocprim17ROCPRIM_400000_NS6detail17trampoline_kernelINS0_14default_configENS1_32segmented_reduce_config_selectorIN3c108BFloat16EEEZNS1_21segmented_reduce_implIS3_PKS6_PS6_PKlS6_N6hipcub16HIPCUB_304000_NS6detail27convert_result_type_wrapperISA_SB_N2at6native12_GLOBAL__N_19CustomSumEEEEE10hipError_tPvRmT0_T1_jT2_SS_T4_T3_P12ihipStream_tbEUlT_E_NS1_11comp_targetILNS1_3genE2ELNS1_11target_archE906ELNS1_3gpuE6ELNS1_3repE0EEENS1_30default_config_static_selectorELNS0_4arch9wavefront6targetE0EEEvSR_.num_named_barrier, 0
	.set _ZN7rocprim17ROCPRIM_400000_NS6detail17trampoline_kernelINS0_14default_configENS1_32segmented_reduce_config_selectorIN3c108BFloat16EEEZNS1_21segmented_reduce_implIS3_PKS6_PS6_PKlS6_N6hipcub16HIPCUB_304000_NS6detail27convert_result_type_wrapperISA_SB_N2at6native12_GLOBAL__N_19CustomSumEEEEE10hipError_tPvRmT0_T1_jT2_SS_T4_T3_P12ihipStream_tbEUlT_E_NS1_11comp_targetILNS1_3genE2ELNS1_11target_archE906ELNS1_3gpuE6ELNS1_3repE0EEENS1_30default_config_static_selectorELNS0_4arch9wavefront6targetE0EEEvSR_.private_seg_size, 0
	.set _ZN7rocprim17ROCPRIM_400000_NS6detail17trampoline_kernelINS0_14default_configENS1_32segmented_reduce_config_selectorIN3c108BFloat16EEEZNS1_21segmented_reduce_implIS3_PKS6_PS6_PKlS6_N6hipcub16HIPCUB_304000_NS6detail27convert_result_type_wrapperISA_SB_N2at6native12_GLOBAL__N_19CustomSumEEEEE10hipError_tPvRmT0_T1_jT2_SS_T4_T3_P12ihipStream_tbEUlT_E_NS1_11comp_targetILNS1_3genE2ELNS1_11target_archE906ELNS1_3gpuE6ELNS1_3repE0EEENS1_30default_config_static_selectorELNS0_4arch9wavefront6targetE0EEEvSR_.uses_vcc, 0
	.set _ZN7rocprim17ROCPRIM_400000_NS6detail17trampoline_kernelINS0_14default_configENS1_32segmented_reduce_config_selectorIN3c108BFloat16EEEZNS1_21segmented_reduce_implIS3_PKS6_PS6_PKlS6_N6hipcub16HIPCUB_304000_NS6detail27convert_result_type_wrapperISA_SB_N2at6native12_GLOBAL__N_19CustomSumEEEEE10hipError_tPvRmT0_T1_jT2_SS_T4_T3_P12ihipStream_tbEUlT_E_NS1_11comp_targetILNS1_3genE2ELNS1_11target_archE906ELNS1_3gpuE6ELNS1_3repE0EEENS1_30default_config_static_selectorELNS0_4arch9wavefront6targetE0EEEvSR_.uses_flat_scratch, 0
	.set _ZN7rocprim17ROCPRIM_400000_NS6detail17trampoline_kernelINS0_14default_configENS1_32segmented_reduce_config_selectorIN3c108BFloat16EEEZNS1_21segmented_reduce_implIS3_PKS6_PS6_PKlS6_N6hipcub16HIPCUB_304000_NS6detail27convert_result_type_wrapperISA_SB_N2at6native12_GLOBAL__N_19CustomSumEEEEE10hipError_tPvRmT0_T1_jT2_SS_T4_T3_P12ihipStream_tbEUlT_E_NS1_11comp_targetILNS1_3genE2ELNS1_11target_archE906ELNS1_3gpuE6ELNS1_3repE0EEENS1_30default_config_static_selectorELNS0_4arch9wavefront6targetE0EEEvSR_.has_dyn_sized_stack, 0
	.set _ZN7rocprim17ROCPRIM_400000_NS6detail17trampoline_kernelINS0_14default_configENS1_32segmented_reduce_config_selectorIN3c108BFloat16EEEZNS1_21segmented_reduce_implIS3_PKS6_PS6_PKlS6_N6hipcub16HIPCUB_304000_NS6detail27convert_result_type_wrapperISA_SB_N2at6native12_GLOBAL__N_19CustomSumEEEEE10hipError_tPvRmT0_T1_jT2_SS_T4_T3_P12ihipStream_tbEUlT_E_NS1_11comp_targetILNS1_3genE2ELNS1_11target_archE906ELNS1_3gpuE6ELNS1_3repE0EEENS1_30default_config_static_selectorELNS0_4arch9wavefront6targetE0EEEvSR_.has_recursion, 0
	.set _ZN7rocprim17ROCPRIM_400000_NS6detail17trampoline_kernelINS0_14default_configENS1_32segmented_reduce_config_selectorIN3c108BFloat16EEEZNS1_21segmented_reduce_implIS3_PKS6_PS6_PKlS6_N6hipcub16HIPCUB_304000_NS6detail27convert_result_type_wrapperISA_SB_N2at6native12_GLOBAL__N_19CustomSumEEEEE10hipError_tPvRmT0_T1_jT2_SS_T4_T3_P12ihipStream_tbEUlT_E_NS1_11comp_targetILNS1_3genE2ELNS1_11target_archE906ELNS1_3gpuE6ELNS1_3repE0EEENS1_30default_config_static_selectorELNS0_4arch9wavefront6targetE0EEEvSR_.has_indirect_call, 0
	.section	.AMDGPU.csdata,"",@progbits
; Kernel info:
; codeLenInByte = 0
; TotalNumSgprs: 0
; NumVgprs: 0
; ScratchSize: 0
; MemoryBound: 0
; FloatMode: 240
; IeeeMode: 1
; LDSByteSize: 0 bytes/workgroup (compile time only)
; SGPRBlocks: 0
; VGPRBlocks: 0
; NumSGPRsForWavesPerEU: 1
; NumVGPRsForWavesPerEU: 1
; Occupancy: 16
; WaveLimiterHint : 0
; COMPUTE_PGM_RSRC2:SCRATCH_EN: 0
; COMPUTE_PGM_RSRC2:USER_SGPR: 6
; COMPUTE_PGM_RSRC2:TRAP_HANDLER: 0
; COMPUTE_PGM_RSRC2:TGID_X_EN: 1
; COMPUTE_PGM_RSRC2:TGID_Y_EN: 0
; COMPUTE_PGM_RSRC2:TGID_Z_EN: 0
; COMPUTE_PGM_RSRC2:TIDIG_COMP_CNT: 0
	.section	.text._ZN7rocprim17ROCPRIM_400000_NS6detail17trampoline_kernelINS0_14default_configENS1_32segmented_reduce_config_selectorIN3c108BFloat16EEEZNS1_21segmented_reduce_implIS3_PKS6_PS6_PKlS6_N6hipcub16HIPCUB_304000_NS6detail27convert_result_type_wrapperISA_SB_N2at6native12_GLOBAL__N_19CustomSumEEEEE10hipError_tPvRmT0_T1_jT2_SS_T4_T3_P12ihipStream_tbEUlT_E_NS1_11comp_targetILNS1_3genE9ELNS1_11target_archE1100ELNS1_3gpuE3ELNS1_3repE0EEENS1_30default_config_static_selectorELNS0_4arch9wavefront6targetE0EEEvSR_,"axG",@progbits,_ZN7rocprim17ROCPRIM_400000_NS6detail17trampoline_kernelINS0_14default_configENS1_32segmented_reduce_config_selectorIN3c108BFloat16EEEZNS1_21segmented_reduce_implIS3_PKS6_PS6_PKlS6_N6hipcub16HIPCUB_304000_NS6detail27convert_result_type_wrapperISA_SB_N2at6native12_GLOBAL__N_19CustomSumEEEEE10hipError_tPvRmT0_T1_jT2_SS_T4_T3_P12ihipStream_tbEUlT_E_NS1_11comp_targetILNS1_3genE9ELNS1_11target_archE1100ELNS1_3gpuE3ELNS1_3repE0EEENS1_30default_config_static_selectorELNS0_4arch9wavefront6targetE0EEEvSR_,comdat
	.globl	_ZN7rocprim17ROCPRIM_400000_NS6detail17trampoline_kernelINS0_14default_configENS1_32segmented_reduce_config_selectorIN3c108BFloat16EEEZNS1_21segmented_reduce_implIS3_PKS6_PS6_PKlS6_N6hipcub16HIPCUB_304000_NS6detail27convert_result_type_wrapperISA_SB_N2at6native12_GLOBAL__N_19CustomSumEEEEE10hipError_tPvRmT0_T1_jT2_SS_T4_T3_P12ihipStream_tbEUlT_E_NS1_11comp_targetILNS1_3genE9ELNS1_11target_archE1100ELNS1_3gpuE3ELNS1_3repE0EEENS1_30default_config_static_selectorELNS0_4arch9wavefront6targetE0EEEvSR_ ; -- Begin function _ZN7rocprim17ROCPRIM_400000_NS6detail17trampoline_kernelINS0_14default_configENS1_32segmented_reduce_config_selectorIN3c108BFloat16EEEZNS1_21segmented_reduce_implIS3_PKS6_PS6_PKlS6_N6hipcub16HIPCUB_304000_NS6detail27convert_result_type_wrapperISA_SB_N2at6native12_GLOBAL__N_19CustomSumEEEEE10hipError_tPvRmT0_T1_jT2_SS_T4_T3_P12ihipStream_tbEUlT_E_NS1_11comp_targetILNS1_3genE9ELNS1_11target_archE1100ELNS1_3gpuE3ELNS1_3repE0EEENS1_30default_config_static_selectorELNS0_4arch9wavefront6targetE0EEEvSR_
	.p2align	8
	.type	_ZN7rocprim17ROCPRIM_400000_NS6detail17trampoline_kernelINS0_14default_configENS1_32segmented_reduce_config_selectorIN3c108BFloat16EEEZNS1_21segmented_reduce_implIS3_PKS6_PS6_PKlS6_N6hipcub16HIPCUB_304000_NS6detail27convert_result_type_wrapperISA_SB_N2at6native12_GLOBAL__N_19CustomSumEEEEE10hipError_tPvRmT0_T1_jT2_SS_T4_T3_P12ihipStream_tbEUlT_E_NS1_11comp_targetILNS1_3genE9ELNS1_11target_archE1100ELNS1_3gpuE3ELNS1_3repE0EEENS1_30default_config_static_selectorELNS0_4arch9wavefront6targetE0EEEvSR_,@function
_ZN7rocprim17ROCPRIM_400000_NS6detail17trampoline_kernelINS0_14default_configENS1_32segmented_reduce_config_selectorIN3c108BFloat16EEEZNS1_21segmented_reduce_implIS3_PKS6_PS6_PKlS6_N6hipcub16HIPCUB_304000_NS6detail27convert_result_type_wrapperISA_SB_N2at6native12_GLOBAL__N_19CustomSumEEEEE10hipError_tPvRmT0_T1_jT2_SS_T4_T3_P12ihipStream_tbEUlT_E_NS1_11comp_targetILNS1_3genE9ELNS1_11target_archE1100ELNS1_3gpuE3ELNS1_3repE0EEENS1_30default_config_static_selectorELNS0_4arch9wavefront6targetE0EEEvSR_: ; @_ZN7rocprim17ROCPRIM_400000_NS6detail17trampoline_kernelINS0_14default_configENS1_32segmented_reduce_config_selectorIN3c108BFloat16EEEZNS1_21segmented_reduce_implIS3_PKS6_PS6_PKlS6_N6hipcub16HIPCUB_304000_NS6detail27convert_result_type_wrapperISA_SB_N2at6native12_GLOBAL__N_19CustomSumEEEEE10hipError_tPvRmT0_T1_jT2_SS_T4_T3_P12ihipStream_tbEUlT_E_NS1_11comp_targetILNS1_3genE9ELNS1_11target_archE1100ELNS1_3gpuE3ELNS1_3repE0EEENS1_30default_config_static_selectorELNS0_4arch9wavefront6targetE0EEEvSR_
; %bb.0:
	.section	.rodata,"a",@progbits
	.p2align	6, 0x0
	.amdhsa_kernel _ZN7rocprim17ROCPRIM_400000_NS6detail17trampoline_kernelINS0_14default_configENS1_32segmented_reduce_config_selectorIN3c108BFloat16EEEZNS1_21segmented_reduce_implIS3_PKS6_PS6_PKlS6_N6hipcub16HIPCUB_304000_NS6detail27convert_result_type_wrapperISA_SB_N2at6native12_GLOBAL__N_19CustomSumEEEEE10hipError_tPvRmT0_T1_jT2_SS_T4_T3_P12ihipStream_tbEUlT_E_NS1_11comp_targetILNS1_3genE9ELNS1_11target_archE1100ELNS1_3gpuE3ELNS1_3repE0EEENS1_30default_config_static_selectorELNS0_4arch9wavefront6targetE0EEEvSR_
		.amdhsa_group_segment_fixed_size 0
		.amdhsa_private_segment_fixed_size 0
		.amdhsa_kernarg_size 48
		.amdhsa_user_sgpr_count 6
		.amdhsa_user_sgpr_private_segment_buffer 1
		.amdhsa_user_sgpr_dispatch_ptr 0
		.amdhsa_user_sgpr_queue_ptr 0
		.amdhsa_user_sgpr_kernarg_segment_ptr 1
		.amdhsa_user_sgpr_dispatch_id 0
		.amdhsa_user_sgpr_flat_scratch_init 0
		.amdhsa_user_sgpr_private_segment_size 0
		.amdhsa_wavefront_size32 1
		.amdhsa_uses_dynamic_stack 0
		.amdhsa_system_sgpr_private_segment_wavefront_offset 0
		.amdhsa_system_sgpr_workgroup_id_x 1
		.amdhsa_system_sgpr_workgroup_id_y 0
		.amdhsa_system_sgpr_workgroup_id_z 0
		.amdhsa_system_sgpr_workgroup_info 0
		.amdhsa_system_vgpr_workitem_id 0
		.amdhsa_next_free_vgpr 1
		.amdhsa_next_free_sgpr 1
		.amdhsa_reserve_vcc 0
		.amdhsa_reserve_flat_scratch 0
		.amdhsa_float_round_mode_32 0
		.amdhsa_float_round_mode_16_64 0
		.amdhsa_float_denorm_mode_32 3
		.amdhsa_float_denorm_mode_16_64 3
		.amdhsa_dx10_clamp 1
		.amdhsa_ieee_mode 1
		.amdhsa_fp16_overflow 0
		.amdhsa_workgroup_processor_mode 1
		.amdhsa_memory_ordered 1
		.amdhsa_forward_progress 1
		.amdhsa_shared_vgpr_count 0
		.amdhsa_exception_fp_ieee_invalid_op 0
		.amdhsa_exception_fp_denorm_src 0
		.amdhsa_exception_fp_ieee_div_zero 0
		.amdhsa_exception_fp_ieee_overflow 0
		.amdhsa_exception_fp_ieee_underflow 0
		.amdhsa_exception_fp_ieee_inexact 0
		.amdhsa_exception_int_div_zero 0
	.end_amdhsa_kernel
	.section	.text._ZN7rocprim17ROCPRIM_400000_NS6detail17trampoline_kernelINS0_14default_configENS1_32segmented_reduce_config_selectorIN3c108BFloat16EEEZNS1_21segmented_reduce_implIS3_PKS6_PS6_PKlS6_N6hipcub16HIPCUB_304000_NS6detail27convert_result_type_wrapperISA_SB_N2at6native12_GLOBAL__N_19CustomSumEEEEE10hipError_tPvRmT0_T1_jT2_SS_T4_T3_P12ihipStream_tbEUlT_E_NS1_11comp_targetILNS1_3genE9ELNS1_11target_archE1100ELNS1_3gpuE3ELNS1_3repE0EEENS1_30default_config_static_selectorELNS0_4arch9wavefront6targetE0EEEvSR_,"axG",@progbits,_ZN7rocprim17ROCPRIM_400000_NS6detail17trampoline_kernelINS0_14default_configENS1_32segmented_reduce_config_selectorIN3c108BFloat16EEEZNS1_21segmented_reduce_implIS3_PKS6_PS6_PKlS6_N6hipcub16HIPCUB_304000_NS6detail27convert_result_type_wrapperISA_SB_N2at6native12_GLOBAL__N_19CustomSumEEEEE10hipError_tPvRmT0_T1_jT2_SS_T4_T3_P12ihipStream_tbEUlT_E_NS1_11comp_targetILNS1_3genE9ELNS1_11target_archE1100ELNS1_3gpuE3ELNS1_3repE0EEENS1_30default_config_static_selectorELNS0_4arch9wavefront6targetE0EEEvSR_,comdat
.Lfunc_end261:
	.size	_ZN7rocprim17ROCPRIM_400000_NS6detail17trampoline_kernelINS0_14default_configENS1_32segmented_reduce_config_selectorIN3c108BFloat16EEEZNS1_21segmented_reduce_implIS3_PKS6_PS6_PKlS6_N6hipcub16HIPCUB_304000_NS6detail27convert_result_type_wrapperISA_SB_N2at6native12_GLOBAL__N_19CustomSumEEEEE10hipError_tPvRmT0_T1_jT2_SS_T4_T3_P12ihipStream_tbEUlT_E_NS1_11comp_targetILNS1_3genE9ELNS1_11target_archE1100ELNS1_3gpuE3ELNS1_3repE0EEENS1_30default_config_static_selectorELNS0_4arch9wavefront6targetE0EEEvSR_, .Lfunc_end261-_ZN7rocprim17ROCPRIM_400000_NS6detail17trampoline_kernelINS0_14default_configENS1_32segmented_reduce_config_selectorIN3c108BFloat16EEEZNS1_21segmented_reduce_implIS3_PKS6_PS6_PKlS6_N6hipcub16HIPCUB_304000_NS6detail27convert_result_type_wrapperISA_SB_N2at6native12_GLOBAL__N_19CustomSumEEEEE10hipError_tPvRmT0_T1_jT2_SS_T4_T3_P12ihipStream_tbEUlT_E_NS1_11comp_targetILNS1_3genE9ELNS1_11target_archE1100ELNS1_3gpuE3ELNS1_3repE0EEENS1_30default_config_static_selectorELNS0_4arch9wavefront6targetE0EEEvSR_
                                        ; -- End function
	.set _ZN7rocprim17ROCPRIM_400000_NS6detail17trampoline_kernelINS0_14default_configENS1_32segmented_reduce_config_selectorIN3c108BFloat16EEEZNS1_21segmented_reduce_implIS3_PKS6_PS6_PKlS6_N6hipcub16HIPCUB_304000_NS6detail27convert_result_type_wrapperISA_SB_N2at6native12_GLOBAL__N_19CustomSumEEEEE10hipError_tPvRmT0_T1_jT2_SS_T4_T3_P12ihipStream_tbEUlT_E_NS1_11comp_targetILNS1_3genE9ELNS1_11target_archE1100ELNS1_3gpuE3ELNS1_3repE0EEENS1_30default_config_static_selectorELNS0_4arch9wavefront6targetE0EEEvSR_.num_vgpr, 0
	.set _ZN7rocprim17ROCPRIM_400000_NS6detail17trampoline_kernelINS0_14default_configENS1_32segmented_reduce_config_selectorIN3c108BFloat16EEEZNS1_21segmented_reduce_implIS3_PKS6_PS6_PKlS6_N6hipcub16HIPCUB_304000_NS6detail27convert_result_type_wrapperISA_SB_N2at6native12_GLOBAL__N_19CustomSumEEEEE10hipError_tPvRmT0_T1_jT2_SS_T4_T3_P12ihipStream_tbEUlT_E_NS1_11comp_targetILNS1_3genE9ELNS1_11target_archE1100ELNS1_3gpuE3ELNS1_3repE0EEENS1_30default_config_static_selectorELNS0_4arch9wavefront6targetE0EEEvSR_.num_agpr, 0
	.set _ZN7rocprim17ROCPRIM_400000_NS6detail17trampoline_kernelINS0_14default_configENS1_32segmented_reduce_config_selectorIN3c108BFloat16EEEZNS1_21segmented_reduce_implIS3_PKS6_PS6_PKlS6_N6hipcub16HIPCUB_304000_NS6detail27convert_result_type_wrapperISA_SB_N2at6native12_GLOBAL__N_19CustomSumEEEEE10hipError_tPvRmT0_T1_jT2_SS_T4_T3_P12ihipStream_tbEUlT_E_NS1_11comp_targetILNS1_3genE9ELNS1_11target_archE1100ELNS1_3gpuE3ELNS1_3repE0EEENS1_30default_config_static_selectorELNS0_4arch9wavefront6targetE0EEEvSR_.numbered_sgpr, 0
	.set _ZN7rocprim17ROCPRIM_400000_NS6detail17trampoline_kernelINS0_14default_configENS1_32segmented_reduce_config_selectorIN3c108BFloat16EEEZNS1_21segmented_reduce_implIS3_PKS6_PS6_PKlS6_N6hipcub16HIPCUB_304000_NS6detail27convert_result_type_wrapperISA_SB_N2at6native12_GLOBAL__N_19CustomSumEEEEE10hipError_tPvRmT0_T1_jT2_SS_T4_T3_P12ihipStream_tbEUlT_E_NS1_11comp_targetILNS1_3genE9ELNS1_11target_archE1100ELNS1_3gpuE3ELNS1_3repE0EEENS1_30default_config_static_selectorELNS0_4arch9wavefront6targetE0EEEvSR_.num_named_barrier, 0
	.set _ZN7rocprim17ROCPRIM_400000_NS6detail17trampoline_kernelINS0_14default_configENS1_32segmented_reduce_config_selectorIN3c108BFloat16EEEZNS1_21segmented_reduce_implIS3_PKS6_PS6_PKlS6_N6hipcub16HIPCUB_304000_NS6detail27convert_result_type_wrapperISA_SB_N2at6native12_GLOBAL__N_19CustomSumEEEEE10hipError_tPvRmT0_T1_jT2_SS_T4_T3_P12ihipStream_tbEUlT_E_NS1_11comp_targetILNS1_3genE9ELNS1_11target_archE1100ELNS1_3gpuE3ELNS1_3repE0EEENS1_30default_config_static_selectorELNS0_4arch9wavefront6targetE0EEEvSR_.private_seg_size, 0
	.set _ZN7rocprim17ROCPRIM_400000_NS6detail17trampoline_kernelINS0_14default_configENS1_32segmented_reduce_config_selectorIN3c108BFloat16EEEZNS1_21segmented_reduce_implIS3_PKS6_PS6_PKlS6_N6hipcub16HIPCUB_304000_NS6detail27convert_result_type_wrapperISA_SB_N2at6native12_GLOBAL__N_19CustomSumEEEEE10hipError_tPvRmT0_T1_jT2_SS_T4_T3_P12ihipStream_tbEUlT_E_NS1_11comp_targetILNS1_3genE9ELNS1_11target_archE1100ELNS1_3gpuE3ELNS1_3repE0EEENS1_30default_config_static_selectorELNS0_4arch9wavefront6targetE0EEEvSR_.uses_vcc, 0
	.set _ZN7rocprim17ROCPRIM_400000_NS6detail17trampoline_kernelINS0_14default_configENS1_32segmented_reduce_config_selectorIN3c108BFloat16EEEZNS1_21segmented_reduce_implIS3_PKS6_PS6_PKlS6_N6hipcub16HIPCUB_304000_NS6detail27convert_result_type_wrapperISA_SB_N2at6native12_GLOBAL__N_19CustomSumEEEEE10hipError_tPvRmT0_T1_jT2_SS_T4_T3_P12ihipStream_tbEUlT_E_NS1_11comp_targetILNS1_3genE9ELNS1_11target_archE1100ELNS1_3gpuE3ELNS1_3repE0EEENS1_30default_config_static_selectorELNS0_4arch9wavefront6targetE0EEEvSR_.uses_flat_scratch, 0
	.set _ZN7rocprim17ROCPRIM_400000_NS6detail17trampoline_kernelINS0_14default_configENS1_32segmented_reduce_config_selectorIN3c108BFloat16EEEZNS1_21segmented_reduce_implIS3_PKS6_PS6_PKlS6_N6hipcub16HIPCUB_304000_NS6detail27convert_result_type_wrapperISA_SB_N2at6native12_GLOBAL__N_19CustomSumEEEEE10hipError_tPvRmT0_T1_jT2_SS_T4_T3_P12ihipStream_tbEUlT_E_NS1_11comp_targetILNS1_3genE9ELNS1_11target_archE1100ELNS1_3gpuE3ELNS1_3repE0EEENS1_30default_config_static_selectorELNS0_4arch9wavefront6targetE0EEEvSR_.has_dyn_sized_stack, 0
	.set _ZN7rocprim17ROCPRIM_400000_NS6detail17trampoline_kernelINS0_14default_configENS1_32segmented_reduce_config_selectorIN3c108BFloat16EEEZNS1_21segmented_reduce_implIS3_PKS6_PS6_PKlS6_N6hipcub16HIPCUB_304000_NS6detail27convert_result_type_wrapperISA_SB_N2at6native12_GLOBAL__N_19CustomSumEEEEE10hipError_tPvRmT0_T1_jT2_SS_T4_T3_P12ihipStream_tbEUlT_E_NS1_11comp_targetILNS1_3genE9ELNS1_11target_archE1100ELNS1_3gpuE3ELNS1_3repE0EEENS1_30default_config_static_selectorELNS0_4arch9wavefront6targetE0EEEvSR_.has_recursion, 0
	.set _ZN7rocprim17ROCPRIM_400000_NS6detail17trampoline_kernelINS0_14default_configENS1_32segmented_reduce_config_selectorIN3c108BFloat16EEEZNS1_21segmented_reduce_implIS3_PKS6_PS6_PKlS6_N6hipcub16HIPCUB_304000_NS6detail27convert_result_type_wrapperISA_SB_N2at6native12_GLOBAL__N_19CustomSumEEEEE10hipError_tPvRmT0_T1_jT2_SS_T4_T3_P12ihipStream_tbEUlT_E_NS1_11comp_targetILNS1_3genE9ELNS1_11target_archE1100ELNS1_3gpuE3ELNS1_3repE0EEENS1_30default_config_static_selectorELNS0_4arch9wavefront6targetE0EEEvSR_.has_indirect_call, 0
	.section	.AMDGPU.csdata,"",@progbits
; Kernel info:
; codeLenInByte = 0
; TotalNumSgprs: 0
; NumVgprs: 0
; ScratchSize: 0
; MemoryBound: 0
; FloatMode: 240
; IeeeMode: 1
; LDSByteSize: 0 bytes/workgroup (compile time only)
; SGPRBlocks: 0
; VGPRBlocks: 0
; NumSGPRsForWavesPerEU: 1
; NumVGPRsForWavesPerEU: 1
; Occupancy: 16
; WaveLimiterHint : 0
; COMPUTE_PGM_RSRC2:SCRATCH_EN: 0
; COMPUTE_PGM_RSRC2:USER_SGPR: 6
; COMPUTE_PGM_RSRC2:TRAP_HANDLER: 0
; COMPUTE_PGM_RSRC2:TGID_X_EN: 1
; COMPUTE_PGM_RSRC2:TGID_Y_EN: 0
; COMPUTE_PGM_RSRC2:TGID_Z_EN: 0
; COMPUTE_PGM_RSRC2:TIDIG_COMP_CNT: 0
	.section	.text._ZN7rocprim17ROCPRIM_400000_NS6detail17trampoline_kernelINS0_14default_configENS1_32segmented_reduce_config_selectorIN3c108BFloat16EEEZNS1_21segmented_reduce_implIS3_PKS6_PS6_PKlS6_N6hipcub16HIPCUB_304000_NS6detail27convert_result_type_wrapperISA_SB_N2at6native12_GLOBAL__N_19CustomSumEEEEE10hipError_tPvRmT0_T1_jT2_SS_T4_T3_P12ihipStream_tbEUlT_E_NS1_11comp_targetILNS1_3genE8ELNS1_11target_archE1030ELNS1_3gpuE2ELNS1_3repE0EEENS1_30default_config_static_selectorELNS0_4arch9wavefront6targetE0EEEvSR_,"axG",@progbits,_ZN7rocprim17ROCPRIM_400000_NS6detail17trampoline_kernelINS0_14default_configENS1_32segmented_reduce_config_selectorIN3c108BFloat16EEEZNS1_21segmented_reduce_implIS3_PKS6_PS6_PKlS6_N6hipcub16HIPCUB_304000_NS6detail27convert_result_type_wrapperISA_SB_N2at6native12_GLOBAL__N_19CustomSumEEEEE10hipError_tPvRmT0_T1_jT2_SS_T4_T3_P12ihipStream_tbEUlT_E_NS1_11comp_targetILNS1_3genE8ELNS1_11target_archE1030ELNS1_3gpuE2ELNS1_3repE0EEENS1_30default_config_static_selectorELNS0_4arch9wavefront6targetE0EEEvSR_,comdat
	.globl	_ZN7rocprim17ROCPRIM_400000_NS6detail17trampoline_kernelINS0_14default_configENS1_32segmented_reduce_config_selectorIN3c108BFloat16EEEZNS1_21segmented_reduce_implIS3_PKS6_PS6_PKlS6_N6hipcub16HIPCUB_304000_NS6detail27convert_result_type_wrapperISA_SB_N2at6native12_GLOBAL__N_19CustomSumEEEEE10hipError_tPvRmT0_T1_jT2_SS_T4_T3_P12ihipStream_tbEUlT_E_NS1_11comp_targetILNS1_3genE8ELNS1_11target_archE1030ELNS1_3gpuE2ELNS1_3repE0EEENS1_30default_config_static_selectorELNS0_4arch9wavefront6targetE0EEEvSR_ ; -- Begin function _ZN7rocprim17ROCPRIM_400000_NS6detail17trampoline_kernelINS0_14default_configENS1_32segmented_reduce_config_selectorIN3c108BFloat16EEEZNS1_21segmented_reduce_implIS3_PKS6_PS6_PKlS6_N6hipcub16HIPCUB_304000_NS6detail27convert_result_type_wrapperISA_SB_N2at6native12_GLOBAL__N_19CustomSumEEEEE10hipError_tPvRmT0_T1_jT2_SS_T4_T3_P12ihipStream_tbEUlT_E_NS1_11comp_targetILNS1_3genE8ELNS1_11target_archE1030ELNS1_3gpuE2ELNS1_3repE0EEENS1_30default_config_static_selectorELNS0_4arch9wavefront6targetE0EEEvSR_
	.p2align	8
	.type	_ZN7rocprim17ROCPRIM_400000_NS6detail17trampoline_kernelINS0_14default_configENS1_32segmented_reduce_config_selectorIN3c108BFloat16EEEZNS1_21segmented_reduce_implIS3_PKS6_PS6_PKlS6_N6hipcub16HIPCUB_304000_NS6detail27convert_result_type_wrapperISA_SB_N2at6native12_GLOBAL__N_19CustomSumEEEEE10hipError_tPvRmT0_T1_jT2_SS_T4_T3_P12ihipStream_tbEUlT_E_NS1_11comp_targetILNS1_3genE8ELNS1_11target_archE1030ELNS1_3gpuE2ELNS1_3repE0EEENS1_30default_config_static_selectorELNS0_4arch9wavefront6targetE0EEEvSR_,@function
_ZN7rocprim17ROCPRIM_400000_NS6detail17trampoline_kernelINS0_14default_configENS1_32segmented_reduce_config_selectorIN3c108BFloat16EEEZNS1_21segmented_reduce_implIS3_PKS6_PS6_PKlS6_N6hipcub16HIPCUB_304000_NS6detail27convert_result_type_wrapperISA_SB_N2at6native12_GLOBAL__N_19CustomSumEEEEE10hipError_tPvRmT0_T1_jT2_SS_T4_T3_P12ihipStream_tbEUlT_E_NS1_11comp_targetILNS1_3genE8ELNS1_11target_archE1030ELNS1_3gpuE2ELNS1_3repE0EEENS1_30default_config_static_selectorELNS0_4arch9wavefront6targetE0EEEvSR_: ; @_ZN7rocprim17ROCPRIM_400000_NS6detail17trampoline_kernelINS0_14default_configENS1_32segmented_reduce_config_selectorIN3c108BFloat16EEEZNS1_21segmented_reduce_implIS3_PKS6_PS6_PKlS6_N6hipcub16HIPCUB_304000_NS6detail27convert_result_type_wrapperISA_SB_N2at6native12_GLOBAL__N_19CustomSumEEEEE10hipError_tPvRmT0_T1_jT2_SS_T4_T3_P12ihipStream_tbEUlT_E_NS1_11comp_targetILNS1_3genE8ELNS1_11target_archE1030ELNS1_3gpuE2ELNS1_3repE0EEENS1_30default_config_static_selectorELNS0_4arch9wavefront6targetE0EEEvSR_
; %bb.0:
	s_clause 0x2
	s_load_dwordx8 s[12:19], s[4:5], 0x0
	s_load_dword s8, s[4:5], 0x28
	s_load_dwordx2 s[0:1], s[4:5], 0x20
	s_mov_b32 s7, 0
	s_waitcnt lgkmcnt(0)
	s_lshl_b64 s[2:3], s[16:17], 3
	s_lshr_b32 s22, s8, 16
	s_add_u32 s4, s18, s2
	s_addc_u32 s5, s19, s3
	s_add_u32 s8, s0, s2
	s_addc_u32 s9, s1, s3
	s_lshl_b64 s[0:1], s[6:7], 3
	s_add_u32 s2, s4, s0
	s_addc_u32 s3, s5, s1
	s_add_u32 s0, s8, s0
	s_addc_u32 s1, s9, s1
	s_load_dwordx2 s[18:19], s[2:3], 0x0
	s_load_dwordx2 s[10:11], s[0:1], 0x0
	s_mov_b32 s1, -1
	s_mov_b32 s9, s7
	s_waitcnt lgkmcnt(0)
	v_cmp_gt_i64_e64 s0, s[10:11], s[18:19]
	s_and_b32 vcc_lo, exec_lo, s0
	v_cmp_eq_u32_e64 s0, 0, v0
	s_cbranch_vccnz .LBB262_2
; %bb.1:
	s_mov_b32 s1, 0
	s_and_b32 s9, s0, exec_lo
.LBB262_2:
	s_andn2_b32 vcc_lo, exec_lo, s1
	s_cbranch_vccnz .LBB262_36
; %bb.3:
	s_add_u32 s2, s18, 0x800
	s_addc_u32 s3, s19, 0
	v_cmp_le_i64_e64 s0, s[2:3], s[10:11]
	s_and_b32 vcc_lo, exec_lo, s0
	s_cbranch_vccz .LBB262_37
; %bb.4:
	s_lshl_b64 s[0:1], s[18:19], 1
	v_lshlrev_b32_e32 v11, 1, v0
	s_add_u32 s4, s12, s0
	s_addc_u32 s5, s13, s1
	s_clause 0x3
	global_load_ushort v9, v11, s[4:5] offset:512
	global_load_ushort v10, v11, s[4:5]
	global_load_ushort v8, v11, s[4:5] offset:1024
	global_load_ushort v7, v11, s[4:5] offset:1536
	v_add_co_u32 v1, s4, s4, v11
	v_add_co_ci_u32_e64 v2, null, s5, 0, s4
	s_add_u32 s4, s18, 0x1000
	v_add_co_u32 v1, vcc_lo, 0x800, v1
	v_add_co_ci_u32_e64 v2, null, 0, v2, vcc_lo
	s_addc_u32 s5, s19, 0
	s_clause 0x3
	global_load_ushort v6, v[1:2], off
	global_load_ushort v5, v[1:2], off offset:512
	global_load_ushort v4, v[1:2], off offset:1024
	;; [unrolled: 1-line block ×3, first 2 shown]
	v_cmp_ge_i64_e64 s4, s[4:5], s[10:11]
	s_waitcnt vmcnt(7)
	v_lshlrev_b32_e32 v1, 16, v9
	s_waitcnt vmcnt(6)
	v_lshlrev_b32_e32 v2, 16, v10
	;; [unrolled: 2-line block ×3, first 2 shown]
	v_add_f32_e32 v1, v2, v1
	v_bfe_u32 v2, v1, 16, 1
	v_cmp_o_f32_e32 vcc_lo, v1, v1
	v_add3_u32 v2, v1, v2, 0x7fff
	v_and_b32_e32 v2, 0xffff0000, v2
	v_cndmask_b32_e32 v1, 0x7fc00000, v2, vcc_lo
	v_add_f32_e32 v1, v1, v12
	s_waitcnt vmcnt(4)
	v_lshlrev_b32_e32 v12, 16, v7
	v_bfe_u32 v2, v1, 16, 1
	v_cmp_o_f32_e32 vcc_lo, v1, v1
	v_add3_u32 v2, v1, v2, 0x7fff
	v_and_b32_e32 v2, 0xffff0000, v2
	v_cndmask_b32_e32 v1, 0x7fc00000, v2, vcc_lo
	v_add_f32_e32 v1, v1, v12
	s_waitcnt vmcnt(3)
	v_lshlrev_b32_e32 v12, 16, v6
	;; [unrolled: 8-line block ×5, first 2 shown]
	v_bfe_u32 v2, v1, 16, 1
	v_cmp_o_f32_e32 vcc_lo, v1, v1
	v_add3_u32 v2, v1, v2, 0x7fff
	v_and_b32_e32 v2, 0xffff0000, v2
	v_cndmask_b32_e32 v1, 0x7fc00000, v2, vcc_lo
	v_mov_b32_e32 v2, 0x7fc0
	v_add_f32_e32 v1, v1, v12
	v_bfe_u32 v12, v1, 16, 1
	v_cmp_o_f32_e32 vcc_lo, v1, v1
	v_add3_u32 v1, v1, v12, 0x7fff
	v_cndmask_b32_sdwa v12, v2, v1, vcc_lo dst_sel:DWORD dst_unused:UNUSED_PAD src0_sel:DWORD src1_sel:WORD_1
	s_and_b32 vcc_lo, exec_lo, s4
	s_cbranch_vccnz .LBB262_7
; %bb.5:
	s_add_u32 s0, s12, s0
	s_addc_u32 s1, s13, s1
	v_add_co_u32 v1, s0, s0, v11
	v_add_co_ci_u32_e64 v2, null, s1, 0, s0
	v_add_co_u32 v1, vcc_lo, 0x1000, v1
	v_add_co_ci_u32_e64 v2, null, 0, v2, vcc_lo
.LBB262_6:                              ; =>This Inner Loop Header: Depth=1
	s_clause 0x3
	global_load_ushort v10, v[1:2], off
	global_load_ushort v9, v[1:2], off offset:512
	global_load_ushort v8, v[1:2], off offset:1024
	;; [unrolled: 1-line block ×3, first 2 shown]
	v_add_co_u32 v13, vcc_lo, 0x800, v1
	v_add_co_ci_u32_e64 v14, null, 0, v2, vcc_lo
	v_lshlrev_b32_e32 v12, 16, v12
	s_mov_b64 s[0:1], s[2:3]
	s_clause 0x3
	global_load_ushort v6, v[13:14], off
	global_load_ushort v5, v[13:14], off offset:512
	global_load_ushort v4, v[13:14], off offset:1024
	;; [unrolled: 1-line block ×3, first 2 shown]
	s_add_u32 s2, s0, 0x800
	s_addc_u32 s3, s1, 0
	s_add_u32 s0, s0, 0x1000
	s_addc_u32 s1, s1, 0
	v_cmp_lt_i64_e64 s0, s[0:1], s[10:11]
	s_waitcnt vmcnt(7)
	v_lshlrev_b32_e32 v13, 16, v10
	s_waitcnt vmcnt(6)
	v_lshlrev_b32_e32 v14, 16, v9
	v_add_f32_e32 v12, v12, v13
	v_bfe_u32 v13, v12, 16, 1
	v_cmp_o_f32_e32 vcc_lo, v12, v12
	v_add3_u32 v13, v12, v13, 0x7fff
	v_and_b32_e32 v13, 0xffff0000, v13
	v_cndmask_b32_e32 v12, 0x7fc00000, v13, vcc_lo
	v_add_f32_e32 v12, v12, v14
	s_waitcnt vmcnt(5)
	v_lshlrev_b32_e32 v14, 16, v8
	v_bfe_u32 v13, v12, 16, 1
	v_cmp_o_f32_e32 vcc_lo, v12, v12
	v_add3_u32 v13, v12, v13, 0x7fff
	v_and_b32_e32 v13, 0xffff0000, v13
	v_cndmask_b32_e32 v12, 0x7fc00000, v13, vcc_lo
	v_add_f32_e32 v12, v12, v14
	s_waitcnt vmcnt(4)
	v_lshlrev_b32_e32 v14, 16, v7
	;; [unrolled: 8-line block ×6, first 2 shown]
	v_bfe_u32 v13, v12, 16, 1
	v_cmp_o_f32_e32 vcc_lo, v12, v12
	v_add3_u32 v13, v12, v13, 0x7fff
	v_and_b32_e32 v13, 0xffff0000, v13
	v_cndmask_b32_e32 v12, 0x7fc00000, v13, vcc_lo
	v_add_co_u32 v1, vcc_lo, 0x1000, v1
	v_add_co_ci_u32_e64 v2, null, 0, v2, vcc_lo
	v_add_f32_e32 v12, v12, v14
	s_and_b32 vcc_lo, exec_lo, s0
	v_bfe_u32 v13, v12, 16, 1
	v_cmp_o_f32_e64 s0, v12, v12
	v_add3_u32 v13, v12, v13, 0x7fff
	v_lshrrev_b32_e32 v13, 16, v13
	v_cndmask_b32_e64 v12, 0x7fc0, v13, s0
	s_cbranch_vccnz .LBB262_6
.LBB262_7:
	s_sub_i32 s0, s10, s2
	s_lshl_b64 s[2:3], s[2:3], 1
	v_cmp_gt_u32_e32 vcc_lo, s0, v0
	s_add_u32 s20, s12, s2
	s_addc_u32 s21, s13, s3
	s_and_saveexec_b32 s1, vcc_lo
	s_cbranch_execz .LBB262_9
; %bb.8:
	global_load_ushort v10, v11, s[20:21]
.LBB262_9:
	s_or_b32 exec_lo, exec_lo, s1
	v_or_b32_e32 v1, 0x100, v0
	v_cmp_gt_u32_e64 s8, s0, v1
	s_and_saveexec_b32 s1, s8
	s_cbranch_execz .LBB262_11
; %bb.10:
	global_load_ushort v9, v11, s[20:21] offset:512
.LBB262_11:
	s_or_b32 exec_lo, exec_lo, s1
	v_or_b32_e32 v1, 0x200, v0
	v_cmp_gt_u32_e64 s5, s0, v1
	s_and_saveexec_b32 s1, s5
	s_cbranch_execz .LBB262_13
; %bb.12:
	global_load_ushort v8, v11, s[20:21] offset:1024
.LBB262_13:
	;; [unrolled: 8-line block ×3, first 2 shown]
	s_or_b32 exec_lo, exec_lo, s1
	v_or_b32_e32 v1, 0x400, v0
	v_cmp_gt_u32_e64 s3, s0, v1
	s_and_saveexec_b32 s1, s3
	s_cbranch_execz .LBB262_17
; %bb.16:
	v_lshlrev_b32_e32 v1, 1, v1
	global_load_ushort v6, v1, s[20:21]
.LBB262_17:
	s_or_b32 exec_lo, exec_lo, s1
	v_or_b32_e32 v1, 0x500, v0
	v_cmp_gt_u32_e64 s2, s0, v1
	s_and_saveexec_b32 s1, s2
	s_cbranch_execz .LBB262_19
; %bb.18:
	v_lshlrev_b32_e32 v1, 1, v1
	global_load_ushort v5, v1, s[20:21]
.LBB262_19:
	;; [unrolled: 9-line block ×3, first 2 shown]
	s_or_b32 exec_lo, exec_lo, s23
	v_or_b32_e32 v1, 0x700, v0
	v_cmp_gt_u32_e64 s0, s0, v1
	s_and_saveexec_b32 s23, s0
	s_cbranch_execnz .LBB262_66
; %bb.22:
	s_or_b32 exec_lo, exec_lo, s23
	s_and_saveexec_b32 s20, vcc_lo
	s_cbranch_execnz .LBB262_67
.LBB262_23:
	s_or_b32 exec_lo, exec_lo, s20
	s_and_saveexec_b32 s20, s8
	s_cbranch_execnz .LBB262_68
.LBB262_24:
	s_or_b32 exec_lo, exec_lo, s20
	s_and_saveexec_b32 s8, s5
	s_cbranch_execnz .LBB262_69
.LBB262_25:
	s_or_b32 exec_lo, exec_lo, s8
	s_and_saveexec_b32 s5, s4
	s_cbranch_execnz .LBB262_70
.LBB262_26:
	s_or_b32 exec_lo, exec_lo, s5
	s_and_saveexec_b32 s4, s3
	s_cbranch_execnz .LBB262_71
.LBB262_27:
	s_or_b32 exec_lo, exec_lo, s4
	s_and_saveexec_b32 s3, s2
	s_cbranch_execnz .LBB262_72
.LBB262_28:
	s_or_b32 exec_lo, exec_lo, s3
	s_and_saveexec_b32 s2, s1
	s_cbranch_execnz .LBB262_73
.LBB262_29:
	s_or_b32 exec_lo, exec_lo, s2
	s_and_saveexec_b32 s1, s0
	s_cbranch_execz .LBB262_31
.LBB262_30:
	v_lshlrev_b32_e32 v1, 16, v12
	s_waitcnt vmcnt(0)
	v_lshlrev_b32_e32 v2, 16, v3
	v_add_f32_e32 v1, v2, v1
	v_bfe_u32 v2, v1, 16, 1
	v_cmp_o_f32_e32 vcc_lo, v1, v1
	v_add3_u32 v1, v1, v2, 0x7fff
	v_mov_b32_e32 v2, 0x7fc0
	v_cndmask_b32_sdwa v12, v2, v1, vcc_lo dst_sel:DWORD dst_unused:UNUSED_PAD src0_sel:DWORD src1_sel:WORD_1
.LBB262_31:
	s_or_b32 exec_lo, exec_lo, s1
	v_and_b32_e32 v1, 0xffff, v12
	v_lshlrev_b32_e32 v2, 16, v12
	s_waitcnt vmcnt(0)
	v_mov_b32_e32 v3, 0x7fc0
	s_mov_b32 s0, exec_lo
	v_mov_b32_dpp v1, v1 quad_perm:[1,0,3,2] row_mask:0xf bank_mask:0xf
	v_lshlrev_b32_e32 v1, 16, v1
	v_add_f32_e32 v1, v2, v1
	v_bfe_u32 v2, v1, 16, 1
	v_cmp_o_f32_e32 vcc_lo, v1, v1
	v_add3_u32 v2, v1, v2, 0x7fff
	v_lshrrev_b32_e32 v2, 16, v2
	v_cndmask_b32_e32 v1, 0x7fc0, v2, vcc_lo
	v_mov_b32_dpp v2, v1 quad_perm:[2,3,0,1] row_mask:0xf bank_mask:0xf
	v_lshlrev_b32_e32 v1, 16, v1
	v_lshlrev_b32_e32 v2, 16, v2
	v_add_f32_e32 v1, v2, v1
	v_bfe_u32 v2, v1, 16, 1
	v_cmp_o_f32_e32 vcc_lo, v1, v1
	v_add3_u32 v2, v1, v2, 0x7fff
	v_lshrrev_b32_e32 v2, 16, v2
	v_cndmask_b32_e32 v1, 0x7fc0, v2, vcc_lo
	v_mov_b32_dpp v2, v1 row_ror:4 row_mask:0xf bank_mask:0xf
	v_lshlrev_b32_e32 v1, 16, v1
	v_lshlrev_b32_e32 v2, 16, v2
	v_add_f32_e32 v1, v2, v1
	v_bfe_u32 v2, v1, 16, 1
	v_cmp_o_f32_e32 vcc_lo, v1, v1
	v_add3_u32 v2, v1, v2, 0x7fff
	v_lshrrev_b32_e32 v2, 16, v2
	v_cndmask_b32_e32 v1, 0x7fc0, v2, vcc_lo
	v_mov_b32_dpp v2, v1 row_ror:8 row_mask:0xf bank_mask:0xf
	v_lshlrev_b32_e32 v1, 16, v1
	v_lshlrev_b32_e32 v2, 16, v2
	v_add_f32_e32 v1, v2, v1
	v_bfe_u32 v2, v1, 16, 1
	v_cmp_o_f32_e32 vcc_lo, v1, v1
	v_add3_u32 v1, v1, v2, 0x7fff
	v_cndmask_b32_sdwa v1, v3, v1, vcc_lo dst_sel:DWORD dst_unused:UNUSED_PAD src0_sel:DWORD src1_sel:WORD_1
	ds_swizzle_b32 v2, v1 offset:swizzle(BROADCAST,32,15)
	v_lshlrev_b32_e32 v1, 16, v1
	s_waitcnt lgkmcnt(0)
	v_lshlrev_b32_e32 v2, 16, v2
	v_add_f32_e32 v1, v2, v1
	v_bfe_u32 v2, v1, 16, 1
	v_cmp_o_f32_e32 vcc_lo, v1, v1
	v_add3_u32 v1, v1, v2, 0x7fff
	v_mov_b32_e32 v2, 0
	v_cndmask_b32_sdwa v1, v3, v1, vcc_lo dst_sel:DWORD dst_unused:UNUSED_PAD src0_sel:DWORD src1_sel:WORD_1
	ds_bpermute_b32 v3, v2, v1 offset:124
	v_mbcnt_lo_u32_b32 v1, -1, 0
	v_cmpx_eq_u32_e32 0, v1
	s_xor_b32 s0, exec_lo, s0
	s_cbranch_execz .LBB262_33
; %bb.32:
	v_lshrrev_b32_e32 v2, 4, v0
	v_and_b32_e32 v2, 14, v2
	s_waitcnt lgkmcnt(0)
	ds_write_b16 v2, v3
.LBB262_33:
	s_or_b32 exec_lo, exec_lo, s0
	s_mov_b32 s0, exec_lo
	s_waitcnt lgkmcnt(0)
	s_barrier
	buffer_gl0_inv
	v_cmpx_gt_u32_e32 32, v0
	s_cbranch_execz .LBB262_35
; %bb.34:
	v_and_b32_e32 v2, 7, v1
	v_lshlrev_b32_e32 v3, 1, v2
	v_cmp_ne_u32_e32 vcc_lo, 7, v2
	ds_read_u16 v3, v3
	v_add_co_ci_u32_e64 v4, null, 0, v1, vcc_lo
	v_cmp_gt_u32_e32 vcc_lo, 6, v2
	v_lshlrev_b32_e32 v4, 2, v4
	v_cndmask_b32_e64 v2, 0, 2, vcc_lo
	v_add_lshl_u32 v2, v2, v1, 2
	v_lshlrev_b32_e32 v1, 2, v1
	v_or_b32_e32 v1, 16, v1
	s_waitcnt lgkmcnt(0)
	ds_bpermute_b32 v4, v4, v3
	v_lshlrev_b32_e32 v3, 16, v3
	s_waitcnt lgkmcnt(0)
	v_lshlrev_b32_e32 v4, 16, v4
	v_add_f32_e32 v3, v3, v4
	v_bfe_u32 v4, v3, 16, 1
	v_cmp_o_f32_e32 vcc_lo, v3, v3
	v_add3_u32 v4, v3, v4, 0x7fff
	v_lshrrev_b32_e32 v4, 16, v4
	v_cndmask_b32_e32 v3, 0x7fc0, v4, vcc_lo
	ds_bpermute_b32 v2, v2, v3
	v_lshlrev_b32_e32 v3, 16, v3
	s_waitcnt lgkmcnt(0)
	v_lshlrev_b32_e32 v2, 16, v2
	v_add_f32_e32 v2, v2, v3
	v_bfe_u32 v3, v2, 16, 1
	v_cmp_o_f32_e32 vcc_lo, v2, v2
	v_add3_u32 v2, v2, v3, 0x7fff
	v_mov_b32_e32 v3, 0x7fc0
	v_cndmask_b32_sdwa v2, v3, v2, vcc_lo dst_sel:DWORD dst_unused:UNUSED_PAD src0_sel:DWORD src1_sel:WORD_1
	ds_bpermute_b32 v1, v1, v2
	v_lshlrev_b32_e32 v2, 16, v2
	s_waitcnt lgkmcnt(0)
	v_lshlrev_b32_e32 v1, 16, v1
	v_add_f32_e32 v1, v1, v2
	v_bfe_u32 v2, v1, 16, 1
	v_cmp_o_f32_e32 vcc_lo, v1, v1
	v_add3_u32 v1, v1, v2, 0x7fff
	v_cndmask_b32_sdwa v3, v3, v1, vcc_lo dst_sel:DWORD dst_unused:UNUSED_PAD src0_sel:DWORD src1_sel:WORD_1
.LBB262_35:
	s_or_b32 exec_lo, exec_lo, s0
	s_branch .LBB262_80
.LBB262_36:
	v_mov_b32_e32 v1, s22
	s_and_saveexec_b32 s0, s9
	s_cbranch_execnz .LBB262_83
	s_branch .LBB262_84
.LBB262_37:
                                        ; implicit-def: $vgpr3
	s_cbranch_execz .LBB262_80
; %bb.38:
	s_sub_i32 s1, s10, s18
	s_mov_b32 s2, exec_lo
                                        ; implicit-def: $vgpr5
	v_cmpx_gt_u32_e64 s1, v0
	s_cbranch_execz .LBB262_44
; %bb.39:
	v_add_co_u32 v1, s0, s18, v0
	v_add_co_ci_u32_e64 v2, null, s19, 0, s0
	s_mov_b32 s3, exec_lo
	v_lshlrev_b64 v[3:4], 1, v[1:2]
	v_add_co_u32 v3, vcc_lo, s12, v3
	v_add_co_ci_u32_e64 v4, null, s13, v4, vcc_lo
	v_add_co_u32 v1, vcc_lo, 0x100, v1
	v_add_co_ci_u32_e64 v2, null, 0, v2, vcc_lo
	global_load_ushort v5, v[3:4], off
	v_cmpx_gt_i64_e64 s[10:11], v[1:2]
	s_cbranch_execz .LBB262_43
; %bb.40:
	v_add_co_u32 v3, vcc_lo, 0x200, v3
	v_add_co_ci_u32_e64 v4, null, 0, v4, vcc_lo
	s_mov_b32 s4, 0
	.p2align	6
.LBB262_41:                             ; =>This Inner Loop Header: Depth=1
	global_load_ushort v6, v[3:4], off
	s_waitcnt vmcnt(1)
	v_lshlrev_b32_e32 v5, 16, v5
	v_add_co_u32 v1, vcc_lo, 0x100, v1
	v_add_co_ci_u32_e64 v2, null, 0, v2, vcc_lo
	v_add_co_u32 v3, vcc_lo, 0x200, v3
	v_add_co_ci_u32_e64 v4, null, 0, v4, vcc_lo
	v_cmp_le_i64_e64 s0, s[10:11], v[1:2]
	s_or_b32 s4, s0, s4
	s_waitcnt vmcnt(0)
	v_lshlrev_b32_e32 v6, 16, v6
	v_add_f32_e32 v5, v5, v6
	v_bfe_u32 v6, v5, 16, 1
	v_cmp_o_f32_e32 vcc_lo, v5, v5
	v_add3_u32 v6, v5, v6, 0x7fff
	v_lshrrev_b32_e32 v6, 16, v6
	v_cndmask_b32_e32 v5, 0x7fc0, v6, vcc_lo
	s_andn2_b32 exec_lo, exec_lo, s4
	s_cbranch_execnz .LBB262_41
; %bb.42:
	s_or_b32 exec_lo, exec_lo, s4
.LBB262_43:
	s_or_b32 exec_lo, exec_lo, s3
.LBB262_44:
	s_or_b32 exec_lo, exec_lo, s2
	v_mbcnt_lo_u32_b32 v1, -1, 0
	s_waitcnt vmcnt(0)
	v_and_b32_e32 v2, 0xffff, v5
	s_cmpk_lt_u32 s1, 0x100
	s_cbranch_scc0 .LBB262_74
; %bb.45:
	v_cmp_ne_u32_e32 vcc_lo, 31, v1
	v_mov_b32_e32 v7, v2
	v_add_co_ci_u32_e64 v3, null, 0, v1, vcc_lo
	v_lshlrev_b32_e32 v3, 2, v3
	ds_bpermute_b32 v6, v3, v2
	v_and_b32_e32 v3, 0xe0, v0
	v_sub_nc_u32_e64 v4, s1, v3 clamp
	v_add_nc_u32_e32 v3, 1, v1
	v_cmp_lt_u32_e32 vcc_lo, v3, v4
	v_mov_b32_e32 v3, v5
	s_and_saveexec_b32 s0, vcc_lo
	s_cbranch_execz .LBB262_47
; %bb.46:
	v_lshlrev_b32_e32 v3, 16, v2
	s_waitcnt lgkmcnt(0)
	v_lshlrev_b32_e32 v6, 16, v6
	v_add_f32_e32 v3, v3, v6
	v_bfe_u32 v6, v3, 16, 1
	v_cmp_o_f32_e32 vcc_lo, v3, v3
	v_add3_u32 v3, v3, v6, 0x7fff
	v_mov_b32_e32 v6, 0x7fc0
	v_cndmask_b32_sdwa v3, v6, v3, vcc_lo dst_sel:DWORD dst_unused:UNUSED_PAD src0_sel:DWORD src1_sel:WORD_1
	v_and_b32_e32 v7, 0xffff, v3
.LBB262_47:
	s_or_b32 exec_lo, exec_lo, s0
	v_cmp_gt_u32_e32 vcc_lo, 30, v1
	v_add_nc_u32_e32 v8, 2, v1
	s_mov_b32 s0, exec_lo
	s_waitcnt lgkmcnt(0)
	v_cndmask_b32_e64 v6, 0, 2, vcc_lo
	v_add_lshl_u32 v6, v6, v1, 2
	ds_bpermute_b32 v6, v6, v7
	v_cmpx_lt_u32_e64 v8, v4
	s_cbranch_execz .LBB262_49
; %bb.48:
	v_lshlrev_b32_e32 v3, 16, v7
	s_waitcnt lgkmcnt(0)
	v_lshlrev_b32_e32 v6, 16, v6
	v_add_f32_e32 v3, v3, v6
	v_bfe_u32 v6, v3, 16, 1
	v_cmp_o_f32_e32 vcc_lo, v3, v3
	v_add3_u32 v3, v3, v6, 0x7fff
	v_mov_b32_e32 v6, 0x7fc0
	v_cndmask_b32_sdwa v3, v6, v3, vcc_lo dst_sel:DWORD dst_unused:UNUSED_PAD src0_sel:DWORD src1_sel:WORD_1
	v_and_b32_e32 v7, 0xffff, v3
.LBB262_49:
	s_or_b32 exec_lo, exec_lo, s0
	v_cmp_gt_u32_e32 vcc_lo, 28, v1
	v_add_nc_u32_e32 v8, 4, v1
	s_mov_b32 s0, exec_lo
	s_waitcnt lgkmcnt(0)
	v_cndmask_b32_e64 v6, 0, 4, vcc_lo
	v_add_lshl_u32 v6, v6, v1, 2
	ds_bpermute_b32 v6, v6, v7
	v_cmpx_lt_u32_e64 v8, v4
	;; [unrolled: 22-line block ×3, first 2 shown]
	s_cbranch_execz .LBB262_53
; %bb.52:
	v_lshlrev_b32_e32 v3, 16, v7
	s_waitcnt lgkmcnt(0)
	v_lshlrev_b32_e32 v6, 16, v6
	v_add_f32_e32 v3, v3, v6
	v_bfe_u32 v6, v3, 16, 1
	v_cmp_o_f32_e32 vcc_lo, v3, v3
	v_add3_u32 v3, v3, v6, 0x7fff
	v_mov_b32_e32 v6, 0x7fc0
	v_cndmask_b32_sdwa v3, v6, v3, vcc_lo dst_sel:DWORD dst_unused:UNUSED_PAD src0_sel:DWORD src1_sel:WORD_1
	v_and_b32_e32 v7, 0xffff, v3
.LBB262_53:
	s_or_b32 exec_lo, exec_lo, s0
	s_waitcnt lgkmcnt(0)
	v_lshlrev_b32_e32 v6, 2, v1
	v_add_nc_u32_e32 v9, 16, v1
	s_mov_b32 s0, exec_lo
	v_or_b32_e32 v8, 64, v6
	ds_bpermute_b32 v8, v8, v7
	v_cmpx_lt_u32_e64 v9, v4
	s_cbranch_execz .LBB262_55
; %bb.54:
	v_lshlrev_b32_e32 v3, 16, v7
	s_waitcnt lgkmcnt(0)
	v_lshlrev_b32_e32 v4, 16, v8
	v_add_f32_e32 v3, v3, v4
	v_bfe_u32 v4, v3, 16, 1
	v_cmp_o_f32_e32 vcc_lo, v3, v3
	v_add3_u32 v3, v3, v4, 0x7fff
	v_mov_b32_e32 v4, 0x7fc0
	v_cndmask_b32_sdwa v3, v4, v3, vcc_lo dst_sel:DWORD dst_unused:UNUSED_PAD src0_sel:DWORD src1_sel:WORD_1
.LBB262_55:
	s_or_b32 exec_lo, exec_lo, s0
	s_mov_b32 s0, exec_lo
	v_cmpx_eq_u32_e32 0, v1
; %bb.56:
	v_lshrrev_b32_e32 v4, 4, v0
	v_and_b32_e32 v4, 14, v4
	ds_write_b16 v4, v3
; %bb.57:
	s_or_b32 exec_lo, exec_lo, s0
	s_mov_b32 s0, exec_lo
	s_waitcnt lgkmcnt(0)
	s_barrier
	buffer_gl0_inv
	v_cmpx_gt_u32_e32 8, v0
	s_cbranch_execz .LBB262_65
; %bb.58:
	v_lshlrev_b32_e32 v3, 1, v1
	v_and_b32_e32 v4, 7, v1
	s_add_i32 s1, s1, 31
	s_mov_b32 s2, exec_lo
	s_lshr_b32 s1, s1, 5
	ds_read_u16 v3, v3
	v_cmp_ne_u32_e32 vcc_lo, 7, v4
	v_add_nc_u32_e32 v9, 1, v4
	v_add_co_ci_u32_e64 v7, null, 0, v1, vcc_lo
	v_lshlrev_b32_e32 v8, 2, v7
	s_waitcnt lgkmcnt(0)
	v_and_b32_e32 v7, 0xffff, v3
	ds_bpermute_b32 v8, v8, v7
	v_cmpx_gt_u32_e64 s1, v9
	s_cbranch_execz .LBB262_60
; %bb.59:
	v_lshlrev_b32_e32 v3, 16, v7
	s_waitcnt lgkmcnt(0)
	v_lshlrev_b32_e32 v7, 16, v8
	v_add_f32_e32 v3, v3, v7
	v_bfe_u32 v7, v3, 16, 1
	v_cmp_o_f32_e32 vcc_lo, v3, v3
	v_add3_u32 v3, v3, v7, 0x7fff
	v_mov_b32_e32 v7, 0x7fc0
	v_cndmask_b32_sdwa v3, v7, v3, vcc_lo dst_sel:DWORD dst_unused:UNUSED_PAD src0_sel:DWORD src1_sel:WORD_1
	v_and_b32_e32 v7, 0xffff, v3
.LBB262_60:
	s_or_b32 exec_lo, exec_lo, s2
	v_cmp_gt_u32_e32 vcc_lo, 6, v4
	v_add_nc_u32_e32 v9, 2, v4
	s_mov_b32 s2, exec_lo
	s_waitcnt lgkmcnt(0)
	v_cndmask_b32_e64 v8, 0, 2, vcc_lo
	v_add_lshl_u32 v8, v8, v1, 2
	ds_bpermute_b32 v8, v8, v7
	v_cmpx_gt_u32_e64 s1, v9
	s_cbranch_execz .LBB262_62
; %bb.61:
	v_lshlrev_b32_e32 v3, 16, v7
	s_waitcnt lgkmcnt(0)
	v_lshlrev_b32_e32 v7, 16, v8
	v_add_f32_e32 v3, v3, v7
	v_bfe_u32 v7, v3, 16, 1
	v_cmp_o_f32_e32 vcc_lo, v3, v3
	v_add3_u32 v3, v3, v7, 0x7fff
	v_mov_b32_e32 v7, 0x7fc0
	v_cndmask_b32_sdwa v3, v7, v3, vcc_lo dst_sel:DWORD dst_unused:UNUSED_PAD src0_sel:DWORD src1_sel:WORD_1
	v_and_b32_e32 v7, 0xffff, v3
.LBB262_62:
	s_or_b32 exec_lo, exec_lo, s2
	v_or_b32_e32 v6, 16, v6
	v_add_nc_u32_e32 v4, 4, v4
	ds_bpermute_b32 v6, v6, v7
	v_cmp_gt_u32_e32 vcc_lo, s1, v4
	s_and_saveexec_b32 s1, vcc_lo
	s_cbranch_execz .LBB262_64
; %bb.63:
	v_lshlrev_b32_e32 v3, 16, v7
	s_waitcnt lgkmcnt(0)
	v_lshlrev_b32_e32 v4, 16, v6
	v_add_f32_e32 v3, v3, v4
	v_bfe_u32 v4, v3, 16, 1
	v_cmp_o_f32_e32 vcc_lo, v3, v3
	v_add3_u32 v3, v3, v4, 0x7fff
	v_mov_b32_e32 v4, 0x7fc0
	v_cndmask_b32_sdwa v3, v4, v3, vcc_lo dst_sel:DWORD dst_unused:UNUSED_PAD src0_sel:DWORD src1_sel:WORD_1
.LBB262_64:
	s_or_b32 exec_lo, exec_lo, s1
.LBB262_65:
	s_or_b32 exec_lo, exec_lo, s0
	s_branch .LBB262_80
.LBB262_66:
	v_lshlrev_b32_e32 v1, 1, v1
	global_load_ushort v3, v1, s[20:21]
	s_or_b32 exec_lo, exec_lo, s23
	s_and_saveexec_b32 s20, vcc_lo
	s_cbranch_execz .LBB262_23
.LBB262_67:
	v_lshlrev_b32_e32 v1, 16, v12
	s_waitcnt vmcnt(0)
	v_lshlrev_b32_e32 v2, 16, v10
	v_add_f32_e32 v1, v1, v2
	v_bfe_u32 v2, v1, 16, 1
	v_cmp_o_f32_e32 vcc_lo, v1, v1
	v_add3_u32 v1, v1, v2, 0x7fff
	v_mov_b32_e32 v2, 0x7fc0
	v_cndmask_b32_sdwa v12, v2, v1, vcc_lo dst_sel:DWORD dst_unused:UNUSED_PAD src0_sel:DWORD src1_sel:WORD_1
	s_or_b32 exec_lo, exec_lo, s20
	s_and_saveexec_b32 s20, s8
	s_cbranch_execz .LBB262_24
.LBB262_68:
	v_lshlrev_b32_e32 v1, 16, v12
	s_waitcnt vmcnt(0)
	v_lshlrev_b32_e32 v2, 16, v9
	v_add_f32_e32 v1, v2, v1
	v_bfe_u32 v2, v1, 16, 1
	v_cmp_o_f32_e32 vcc_lo, v1, v1
	v_add3_u32 v1, v1, v2, 0x7fff
	v_mov_b32_e32 v2, 0x7fc0
	v_cndmask_b32_sdwa v12, v2, v1, vcc_lo dst_sel:DWORD dst_unused:UNUSED_PAD src0_sel:DWORD src1_sel:WORD_1
	s_or_b32 exec_lo, exec_lo, s20
	s_and_saveexec_b32 s8, s5
	s_cbranch_execz .LBB262_25
.LBB262_69:
	v_lshlrev_b32_e32 v1, 16, v12
	s_waitcnt vmcnt(0)
	v_lshlrev_b32_e32 v2, 16, v8
	v_add_f32_e32 v1, v2, v1
	v_bfe_u32 v2, v1, 16, 1
	v_cmp_o_f32_e32 vcc_lo, v1, v1
	v_add3_u32 v1, v1, v2, 0x7fff
	v_mov_b32_e32 v2, 0x7fc0
	v_cndmask_b32_sdwa v12, v2, v1, vcc_lo dst_sel:DWORD dst_unused:UNUSED_PAD src0_sel:DWORD src1_sel:WORD_1
	s_or_b32 exec_lo, exec_lo, s8
	s_and_saveexec_b32 s5, s4
	s_cbranch_execz .LBB262_26
.LBB262_70:
	v_lshlrev_b32_e32 v1, 16, v12
	s_waitcnt vmcnt(0)
	v_lshlrev_b32_e32 v2, 16, v7
	v_add_f32_e32 v1, v2, v1
	v_bfe_u32 v2, v1, 16, 1
	v_cmp_o_f32_e32 vcc_lo, v1, v1
	v_add3_u32 v1, v1, v2, 0x7fff
	v_mov_b32_e32 v2, 0x7fc0
	v_cndmask_b32_sdwa v12, v2, v1, vcc_lo dst_sel:DWORD dst_unused:UNUSED_PAD src0_sel:DWORD src1_sel:WORD_1
	s_or_b32 exec_lo, exec_lo, s5
	s_and_saveexec_b32 s4, s3
	s_cbranch_execz .LBB262_27
.LBB262_71:
	v_lshlrev_b32_e32 v1, 16, v12
	s_waitcnt vmcnt(0)
	v_lshlrev_b32_e32 v2, 16, v6
	v_add_f32_e32 v1, v2, v1
	v_bfe_u32 v2, v1, 16, 1
	v_cmp_o_f32_e32 vcc_lo, v1, v1
	v_add3_u32 v1, v1, v2, 0x7fff
	v_mov_b32_e32 v2, 0x7fc0
	v_cndmask_b32_sdwa v12, v2, v1, vcc_lo dst_sel:DWORD dst_unused:UNUSED_PAD src0_sel:DWORD src1_sel:WORD_1
	s_or_b32 exec_lo, exec_lo, s4
	s_and_saveexec_b32 s3, s2
	s_cbranch_execz .LBB262_28
.LBB262_72:
	v_lshlrev_b32_e32 v1, 16, v12
	s_waitcnt vmcnt(0)
	v_lshlrev_b32_e32 v2, 16, v5
	v_add_f32_e32 v1, v2, v1
	v_bfe_u32 v2, v1, 16, 1
	v_cmp_o_f32_e32 vcc_lo, v1, v1
	v_add3_u32 v1, v1, v2, 0x7fff
	v_mov_b32_e32 v2, 0x7fc0
	v_cndmask_b32_sdwa v12, v2, v1, vcc_lo dst_sel:DWORD dst_unused:UNUSED_PAD src0_sel:DWORD src1_sel:WORD_1
	s_or_b32 exec_lo, exec_lo, s3
	s_and_saveexec_b32 s2, s1
	s_cbranch_execz .LBB262_29
.LBB262_73:
	v_lshlrev_b32_e32 v1, 16, v12
	s_waitcnt vmcnt(0)
	v_lshlrev_b32_e32 v2, 16, v4
	v_add_f32_e32 v1, v2, v1
	v_bfe_u32 v2, v1, 16, 1
	v_cmp_o_f32_e32 vcc_lo, v1, v1
	v_add3_u32 v1, v1, v2, 0x7fff
	v_mov_b32_e32 v2, 0x7fc0
	v_cndmask_b32_sdwa v12, v2, v1, vcc_lo dst_sel:DWORD dst_unused:UNUSED_PAD src0_sel:DWORD src1_sel:WORD_1
	s_or_b32 exec_lo, exec_lo, s2
	s_and_saveexec_b32 s1, s0
	s_cbranch_execnz .LBB262_30
	s_branch .LBB262_31
.LBB262_74:
                                        ; implicit-def: $vgpr3
	s_cbranch_execz .LBB262_80
; %bb.75:
	v_mov_b32_dpp v2, v2 quad_perm:[1,0,3,2] row_mask:0xf bank_mask:0xf
	v_lshlrev_b32_e32 v3, 16, v5
	v_mov_b32_e32 v4, 0x7fc0
	s_mov_b32 s0, exec_lo
	v_lshlrev_b32_e32 v2, 16, v2
	v_add_f32_e32 v2, v3, v2
	v_bfe_u32 v3, v2, 16, 1
	v_cmp_o_f32_e32 vcc_lo, v2, v2
	v_add3_u32 v3, v2, v3, 0x7fff
	v_lshrrev_b32_e32 v3, 16, v3
	v_cndmask_b32_e32 v2, 0x7fc0, v3, vcc_lo
	v_mov_b32_dpp v3, v2 quad_perm:[2,3,0,1] row_mask:0xf bank_mask:0xf
	v_lshlrev_b32_e32 v2, 16, v2
	v_lshlrev_b32_e32 v3, 16, v3
	v_add_f32_e32 v2, v3, v2
	v_bfe_u32 v3, v2, 16, 1
	v_cmp_o_f32_e32 vcc_lo, v2, v2
	v_add3_u32 v3, v2, v3, 0x7fff
	v_lshrrev_b32_e32 v3, 16, v3
	v_cndmask_b32_e32 v2, 0x7fc0, v3, vcc_lo
	v_mov_b32_dpp v3, v2 row_ror:4 row_mask:0xf bank_mask:0xf
	v_lshlrev_b32_e32 v2, 16, v2
	v_lshlrev_b32_e32 v3, 16, v3
	v_add_f32_e32 v2, v3, v2
	v_bfe_u32 v3, v2, 16, 1
	v_cmp_o_f32_e32 vcc_lo, v2, v2
	v_add3_u32 v3, v2, v3, 0x7fff
	v_lshrrev_b32_e32 v3, 16, v3
	v_cndmask_b32_e32 v2, 0x7fc0, v3, vcc_lo
	v_mov_b32_dpp v3, v2 row_ror:8 row_mask:0xf bank_mask:0xf
	v_lshlrev_b32_e32 v2, 16, v2
	v_lshlrev_b32_e32 v3, 16, v3
	v_add_f32_e32 v2, v3, v2
	v_bfe_u32 v3, v2, 16, 1
	v_cmp_o_f32_e32 vcc_lo, v2, v2
	v_add3_u32 v2, v2, v3, 0x7fff
	v_cndmask_b32_sdwa v2, v4, v2, vcc_lo dst_sel:DWORD dst_unused:UNUSED_PAD src0_sel:DWORD src1_sel:WORD_1
	ds_swizzle_b32 v3, v2 offset:swizzle(BROADCAST,32,15)
	v_lshlrev_b32_e32 v2, 16, v2
	s_waitcnt lgkmcnt(0)
	v_lshlrev_b32_e32 v3, 16, v3
	v_add_f32_e32 v2, v3, v2
	v_bfe_u32 v3, v2, 16, 1
	v_cmp_o_f32_e32 vcc_lo, v2, v2
	v_add3_u32 v2, v2, v3, 0x7fff
	v_mov_b32_e32 v3, 0
	v_cndmask_b32_sdwa v2, v4, v2, vcc_lo dst_sel:DWORD dst_unused:UNUSED_PAD src0_sel:DWORD src1_sel:WORD_1
	ds_bpermute_b32 v3, v3, v2 offset:124
	v_cmpx_eq_u32_e32 0, v1
	s_cbranch_execz .LBB262_77
; %bb.76:
	v_lshrrev_b32_e32 v2, 4, v0
	v_and_b32_e32 v2, 14, v2
	s_waitcnt lgkmcnt(0)
	ds_write_b16 v2, v3
.LBB262_77:
	s_or_b32 exec_lo, exec_lo, s0
	s_mov_b32 s0, exec_lo
	s_waitcnt lgkmcnt(0)
	s_barrier
	buffer_gl0_inv
	v_cmpx_gt_u32_e32 32, v0
	s_cbranch_execz .LBB262_79
; %bb.78:
	v_and_b32_e32 v2, 7, v1
	v_lshlrev_b32_e32 v3, 1, v2
	v_cmp_ne_u32_e32 vcc_lo, 7, v2
	ds_read_u16 v3, v3
	v_add_co_ci_u32_e64 v4, null, 0, v1, vcc_lo
	v_cmp_gt_u32_e32 vcc_lo, 6, v2
	v_lshlrev_b32_e32 v4, 2, v4
	v_cndmask_b32_e64 v2, 0, 2, vcc_lo
	v_add_lshl_u32 v2, v2, v1, 2
	v_lshlrev_b32_e32 v1, 2, v1
	v_or_b32_e32 v1, 16, v1
	s_waitcnt lgkmcnt(0)
	ds_bpermute_b32 v4, v4, v3
	v_lshlrev_b32_e32 v3, 16, v3
	s_waitcnt lgkmcnt(0)
	v_lshlrev_b32_e32 v4, 16, v4
	v_add_f32_e32 v3, v3, v4
	v_bfe_u32 v4, v3, 16, 1
	v_cmp_o_f32_e32 vcc_lo, v3, v3
	v_add3_u32 v4, v3, v4, 0x7fff
	v_lshrrev_b32_e32 v4, 16, v4
	v_cndmask_b32_e32 v3, 0x7fc0, v4, vcc_lo
	ds_bpermute_b32 v2, v2, v3
	v_lshlrev_b32_e32 v3, 16, v3
	s_waitcnt lgkmcnt(0)
	v_lshlrev_b32_e32 v2, 16, v2
	v_add_f32_e32 v2, v2, v3
	v_bfe_u32 v3, v2, 16, 1
	v_cmp_o_f32_e32 vcc_lo, v2, v2
	v_add3_u32 v2, v2, v3, 0x7fff
	v_mov_b32_e32 v3, 0x7fc0
	v_cndmask_b32_sdwa v2, v3, v2, vcc_lo dst_sel:DWORD dst_unused:UNUSED_PAD src0_sel:DWORD src1_sel:WORD_1
	ds_bpermute_b32 v1, v1, v2
	v_lshlrev_b32_e32 v2, 16, v2
	s_waitcnt lgkmcnt(0)
	v_lshlrev_b32_e32 v1, 16, v1
	v_add_f32_e32 v1, v1, v2
	v_bfe_u32 v2, v1, 16, 1
	v_cmp_o_f32_e32 vcc_lo, v1, v1
	v_add3_u32 v1, v1, v2, 0x7fff
	v_cndmask_b32_sdwa v3, v3, v1, vcc_lo dst_sel:DWORD dst_unused:UNUSED_PAD src0_sel:DWORD src1_sel:WORD_1
.LBB262_79:
	s_or_b32 exec_lo, exec_lo, s0
.LBB262_80:
	s_mov_b32 s0, exec_lo
                                        ; implicit-def: $vgpr1
	v_cmpx_eq_u32_e32 0, v0
	s_cbranch_execz .LBB262_82
; %bb.81:
	v_lshlrev_b32_e32 v0, 16, v3
	s_lshl_b32 s1, s22, 16
	s_or_b32 s9, s9, exec_lo
	v_add_f32_e32 v0, s1, v0
	v_bfe_u32 v1, v0, 16, 1
	v_cmp_o_f32_e32 vcc_lo, v0, v0
	v_add3_u32 v0, v0, v1, 0x7fff
	v_mov_b32_e32 v1, 0x7fc0
	v_cndmask_b32_sdwa v1, v1, v0, vcc_lo dst_sel:DWORD dst_unused:UNUSED_PAD src0_sel:DWORD src1_sel:WORD_1
.LBB262_82:
	s_or_b32 exec_lo, exec_lo, s0
	s_and_saveexec_b32 s0, s9
	s_cbranch_execz .LBB262_84
.LBB262_83:
	s_lshl_b64 s[0:1], s[16:17], 1
	v_mov_b32_e32 v0, 0
	s_add_u32 s2, s14, s0
	s_addc_u32 s3, s15, s1
	s_lshl_b64 s[0:1], s[6:7], 1
	s_add_u32 s0, s2, s0
	s_addc_u32 s1, s3, s1
	global_store_short v0, v1, s[0:1]
.LBB262_84:
	s_endpgm
	.section	.rodata,"a",@progbits
	.p2align	6, 0x0
	.amdhsa_kernel _ZN7rocprim17ROCPRIM_400000_NS6detail17trampoline_kernelINS0_14default_configENS1_32segmented_reduce_config_selectorIN3c108BFloat16EEEZNS1_21segmented_reduce_implIS3_PKS6_PS6_PKlS6_N6hipcub16HIPCUB_304000_NS6detail27convert_result_type_wrapperISA_SB_N2at6native12_GLOBAL__N_19CustomSumEEEEE10hipError_tPvRmT0_T1_jT2_SS_T4_T3_P12ihipStream_tbEUlT_E_NS1_11comp_targetILNS1_3genE8ELNS1_11target_archE1030ELNS1_3gpuE2ELNS1_3repE0EEENS1_30default_config_static_selectorELNS0_4arch9wavefront6targetE0EEEvSR_
		.amdhsa_group_segment_fixed_size 16
		.amdhsa_private_segment_fixed_size 0
		.amdhsa_kernarg_size 48
		.amdhsa_user_sgpr_count 6
		.amdhsa_user_sgpr_private_segment_buffer 1
		.amdhsa_user_sgpr_dispatch_ptr 0
		.amdhsa_user_sgpr_queue_ptr 0
		.amdhsa_user_sgpr_kernarg_segment_ptr 1
		.amdhsa_user_sgpr_dispatch_id 0
		.amdhsa_user_sgpr_flat_scratch_init 0
		.amdhsa_user_sgpr_private_segment_size 0
		.amdhsa_wavefront_size32 1
		.amdhsa_uses_dynamic_stack 0
		.amdhsa_system_sgpr_private_segment_wavefront_offset 0
		.amdhsa_system_sgpr_workgroup_id_x 1
		.amdhsa_system_sgpr_workgroup_id_y 0
		.amdhsa_system_sgpr_workgroup_id_z 0
		.amdhsa_system_sgpr_workgroup_info 0
		.amdhsa_system_vgpr_workitem_id 0
		.amdhsa_next_free_vgpr 15
		.amdhsa_next_free_sgpr 24
		.amdhsa_reserve_vcc 1
		.amdhsa_reserve_flat_scratch 0
		.amdhsa_float_round_mode_32 0
		.amdhsa_float_round_mode_16_64 0
		.amdhsa_float_denorm_mode_32 3
		.amdhsa_float_denorm_mode_16_64 3
		.amdhsa_dx10_clamp 1
		.amdhsa_ieee_mode 1
		.amdhsa_fp16_overflow 0
		.amdhsa_workgroup_processor_mode 1
		.amdhsa_memory_ordered 1
		.amdhsa_forward_progress 1
		.amdhsa_shared_vgpr_count 0
		.amdhsa_exception_fp_ieee_invalid_op 0
		.amdhsa_exception_fp_denorm_src 0
		.amdhsa_exception_fp_ieee_div_zero 0
		.amdhsa_exception_fp_ieee_overflow 0
		.amdhsa_exception_fp_ieee_underflow 0
		.amdhsa_exception_fp_ieee_inexact 0
		.amdhsa_exception_int_div_zero 0
	.end_amdhsa_kernel
	.section	.text._ZN7rocprim17ROCPRIM_400000_NS6detail17trampoline_kernelINS0_14default_configENS1_32segmented_reduce_config_selectorIN3c108BFloat16EEEZNS1_21segmented_reduce_implIS3_PKS6_PS6_PKlS6_N6hipcub16HIPCUB_304000_NS6detail27convert_result_type_wrapperISA_SB_N2at6native12_GLOBAL__N_19CustomSumEEEEE10hipError_tPvRmT0_T1_jT2_SS_T4_T3_P12ihipStream_tbEUlT_E_NS1_11comp_targetILNS1_3genE8ELNS1_11target_archE1030ELNS1_3gpuE2ELNS1_3repE0EEENS1_30default_config_static_selectorELNS0_4arch9wavefront6targetE0EEEvSR_,"axG",@progbits,_ZN7rocprim17ROCPRIM_400000_NS6detail17trampoline_kernelINS0_14default_configENS1_32segmented_reduce_config_selectorIN3c108BFloat16EEEZNS1_21segmented_reduce_implIS3_PKS6_PS6_PKlS6_N6hipcub16HIPCUB_304000_NS6detail27convert_result_type_wrapperISA_SB_N2at6native12_GLOBAL__N_19CustomSumEEEEE10hipError_tPvRmT0_T1_jT2_SS_T4_T3_P12ihipStream_tbEUlT_E_NS1_11comp_targetILNS1_3genE8ELNS1_11target_archE1030ELNS1_3gpuE2ELNS1_3repE0EEENS1_30default_config_static_selectorELNS0_4arch9wavefront6targetE0EEEvSR_,comdat
.Lfunc_end262:
	.size	_ZN7rocprim17ROCPRIM_400000_NS6detail17trampoline_kernelINS0_14default_configENS1_32segmented_reduce_config_selectorIN3c108BFloat16EEEZNS1_21segmented_reduce_implIS3_PKS6_PS6_PKlS6_N6hipcub16HIPCUB_304000_NS6detail27convert_result_type_wrapperISA_SB_N2at6native12_GLOBAL__N_19CustomSumEEEEE10hipError_tPvRmT0_T1_jT2_SS_T4_T3_P12ihipStream_tbEUlT_E_NS1_11comp_targetILNS1_3genE8ELNS1_11target_archE1030ELNS1_3gpuE2ELNS1_3repE0EEENS1_30default_config_static_selectorELNS0_4arch9wavefront6targetE0EEEvSR_, .Lfunc_end262-_ZN7rocprim17ROCPRIM_400000_NS6detail17trampoline_kernelINS0_14default_configENS1_32segmented_reduce_config_selectorIN3c108BFloat16EEEZNS1_21segmented_reduce_implIS3_PKS6_PS6_PKlS6_N6hipcub16HIPCUB_304000_NS6detail27convert_result_type_wrapperISA_SB_N2at6native12_GLOBAL__N_19CustomSumEEEEE10hipError_tPvRmT0_T1_jT2_SS_T4_T3_P12ihipStream_tbEUlT_E_NS1_11comp_targetILNS1_3genE8ELNS1_11target_archE1030ELNS1_3gpuE2ELNS1_3repE0EEENS1_30default_config_static_selectorELNS0_4arch9wavefront6targetE0EEEvSR_
                                        ; -- End function
	.set _ZN7rocprim17ROCPRIM_400000_NS6detail17trampoline_kernelINS0_14default_configENS1_32segmented_reduce_config_selectorIN3c108BFloat16EEEZNS1_21segmented_reduce_implIS3_PKS6_PS6_PKlS6_N6hipcub16HIPCUB_304000_NS6detail27convert_result_type_wrapperISA_SB_N2at6native12_GLOBAL__N_19CustomSumEEEEE10hipError_tPvRmT0_T1_jT2_SS_T4_T3_P12ihipStream_tbEUlT_E_NS1_11comp_targetILNS1_3genE8ELNS1_11target_archE1030ELNS1_3gpuE2ELNS1_3repE0EEENS1_30default_config_static_selectorELNS0_4arch9wavefront6targetE0EEEvSR_.num_vgpr, 15
	.set _ZN7rocprim17ROCPRIM_400000_NS6detail17trampoline_kernelINS0_14default_configENS1_32segmented_reduce_config_selectorIN3c108BFloat16EEEZNS1_21segmented_reduce_implIS3_PKS6_PS6_PKlS6_N6hipcub16HIPCUB_304000_NS6detail27convert_result_type_wrapperISA_SB_N2at6native12_GLOBAL__N_19CustomSumEEEEE10hipError_tPvRmT0_T1_jT2_SS_T4_T3_P12ihipStream_tbEUlT_E_NS1_11comp_targetILNS1_3genE8ELNS1_11target_archE1030ELNS1_3gpuE2ELNS1_3repE0EEENS1_30default_config_static_selectorELNS0_4arch9wavefront6targetE0EEEvSR_.num_agpr, 0
	.set _ZN7rocprim17ROCPRIM_400000_NS6detail17trampoline_kernelINS0_14default_configENS1_32segmented_reduce_config_selectorIN3c108BFloat16EEEZNS1_21segmented_reduce_implIS3_PKS6_PS6_PKlS6_N6hipcub16HIPCUB_304000_NS6detail27convert_result_type_wrapperISA_SB_N2at6native12_GLOBAL__N_19CustomSumEEEEE10hipError_tPvRmT0_T1_jT2_SS_T4_T3_P12ihipStream_tbEUlT_E_NS1_11comp_targetILNS1_3genE8ELNS1_11target_archE1030ELNS1_3gpuE2ELNS1_3repE0EEENS1_30default_config_static_selectorELNS0_4arch9wavefront6targetE0EEEvSR_.numbered_sgpr, 24
	.set _ZN7rocprim17ROCPRIM_400000_NS6detail17trampoline_kernelINS0_14default_configENS1_32segmented_reduce_config_selectorIN3c108BFloat16EEEZNS1_21segmented_reduce_implIS3_PKS6_PS6_PKlS6_N6hipcub16HIPCUB_304000_NS6detail27convert_result_type_wrapperISA_SB_N2at6native12_GLOBAL__N_19CustomSumEEEEE10hipError_tPvRmT0_T1_jT2_SS_T4_T3_P12ihipStream_tbEUlT_E_NS1_11comp_targetILNS1_3genE8ELNS1_11target_archE1030ELNS1_3gpuE2ELNS1_3repE0EEENS1_30default_config_static_selectorELNS0_4arch9wavefront6targetE0EEEvSR_.num_named_barrier, 0
	.set _ZN7rocprim17ROCPRIM_400000_NS6detail17trampoline_kernelINS0_14default_configENS1_32segmented_reduce_config_selectorIN3c108BFloat16EEEZNS1_21segmented_reduce_implIS3_PKS6_PS6_PKlS6_N6hipcub16HIPCUB_304000_NS6detail27convert_result_type_wrapperISA_SB_N2at6native12_GLOBAL__N_19CustomSumEEEEE10hipError_tPvRmT0_T1_jT2_SS_T4_T3_P12ihipStream_tbEUlT_E_NS1_11comp_targetILNS1_3genE8ELNS1_11target_archE1030ELNS1_3gpuE2ELNS1_3repE0EEENS1_30default_config_static_selectorELNS0_4arch9wavefront6targetE0EEEvSR_.private_seg_size, 0
	.set _ZN7rocprim17ROCPRIM_400000_NS6detail17trampoline_kernelINS0_14default_configENS1_32segmented_reduce_config_selectorIN3c108BFloat16EEEZNS1_21segmented_reduce_implIS3_PKS6_PS6_PKlS6_N6hipcub16HIPCUB_304000_NS6detail27convert_result_type_wrapperISA_SB_N2at6native12_GLOBAL__N_19CustomSumEEEEE10hipError_tPvRmT0_T1_jT2_SS_T4_T3_P12ihipStream_tbEUlT_E_NS1_11comp_targetILNS1_3genE8ELNS1_11target_archE1030ELNS1_3gpuE2ELNS1_3repE0EEENS1_30default_config_static_selectorELNS0_4arch9wavefront6targetE0EEEvSR_.uses_vcc, 1
	.set _ZN7rocprim17ROCPRIM_400000_NS6detail17trampoline_kernelINS0_14default_configENS1_32segmented_reduce_config_selectorIN3c108BFloat16EEEZNS1_21segmented_reduce_implIS3_PKS6_PS6_PKlS6_N6hipcub16HIPCUB_304000_NS6detail27convert_result_type_wrapperISA_SB_N2at6native12_GLOBAL__N_19CustomSumEEEEE10hipError_tPvRmT0_T1_jT2_SS_T4_T3_P12ihipStream_tbEUlT_E_NS1_11comp_targetILNS1_3genE8ELNS1_11target_archE1030ELNS1_3gpuE2ELNS1_3repE0EEENS1_30default_config_static_selectorELNS0_4arch9wavefront6targetE0EEEvSR_.uses_flat_scratch, 0
	.set _ZN7rocprim17ROCPRIM_400000_NS6detail17trampoline_kernelINS0_14default_configENS1_32segmented_reduce_config_selectorIN3c108BFloat16EEEZNS1_21segmented_reduce_implIS3_PKS6_PS6_PKlS6_N6hipcub16HIPCUB_304000_NS6detail27convert_result_type_wrapperISA_SB_N2at6native12_GLOBAL__N_19CustomSumEEEEE10hipError_tPvRmT0_T1_jT2_SS_T4_T3_P12ihipStream_tbEUlT_E_NS1_11comp_targetILNS1_3genE8ELNS1_11target_archE1030ELNS1_3gpuE2ELNS1_3repE0EEENS1_30default_config_static_selectorELNS0_4arch9wavefront6targetE0EEEvSR_.has_dyn_sized_stack, 0
	.set _ZN7rocprim17ROCPRIM_400000_NS6detail17trampoline_kernelINS0_14default_configENS1_32segmented_reduce_config_selectorIN3c108BFloat16EEEZNS1_21segmented_reduce_implIS3_PKS6_PS6_PKlS6_N6hipcub16HIPCUB_304000_NS6detail27convert_result_type_wrapperISA_SB_N2at6native12_GLOBAL__N_19CustomSumEEEEE10hipError_tPvRmT0_T1_jT2_SS_T4_T3_P12ihipStream_tbEUlT_E_NS1_11comp_targetILNS1_3genE8ELNS1_11target_archE1030ELNS1_3gpuE2ELNS1_3repE0EEENS1_30default_config_static_selectorELNS0_4arch9wavefront6targetE0EEEvSR_.has_recursion, 0
	.set _ZN7rocprim17ROCPRIM_400000_NS6detail17trampoline_kernelINS0_14default_configENS1_32segmented_reduce_config_selectorIN3c108BFloat16EEEZNS1_21segmented_reduce_implIS3_PKS6_PS6_PKlS6_N6hipcub16HIPCUB_304000_NS6detail27convert_result_type_wrapperISA_SB_N2at6native12_GLOBAL__N_19CustomSumEEEEE10hipError_tPvRmT0_T1_jT2_SS_T4_T3_P12ihipStream_tbEUlT_E_NS1_11comp_targetILNS1_3genE8ELNS1_11target_archE1030ELNS1_3gpuE2ELNS1_3repE0EEENS1_30default_config_static_selectorELNS0_4arch9wavefront6targetE0EEEvSR_.has_indirect_call, 0
	.section	.AMDGPU.csdata,"",@progbits
; Kernel info:
; codeLenInByte = 4972
; TotalNumSgprs: 26
; NumVgprs: 15
; ScratchSize: 0
; MemoryBound: 0
; FloatMode: 240
; IeeeMode: 1
; LDSByteSize: 16 bytes/workgroup (compile time only)
; SGPRBlocks: 0
; VGPRBlocks: 1
; NumSGPRsForWavesPerEU: 26
; NumVGPRsForWavesPerEU: 15
; Occupancy: 16
; WaveLimiterHint : 1
; COMPUTE_PGM_RSRC2:SCRATCH_EN: 0
; COMPUTE_PGM_RSRC2:USER_SGPR: 6
; COMPUTE_PGM_RSRC2:TRAP_HANDLER: 0
; COMPUTE_PGM_RSRC2:TGID_X_EN: 1
; COMPUTE_PGM_RSRC2:TGID_Y_EN: 0
; COMPUTE_PGM_RSRC2:TGID_Z_EN: 0
; COMPUTE_PGM_RSRC2:TIDIG_COMP_CNT: 0
	.section	.text._ZN2at6native12_GLOBAL__N_119post_sum_div_kernelIN3c108BFloat16ElEEvPT_PKT0_lbS5_,"axG",@progbits,_ZN2at6native12_GLOBAL__N_119post_sum_div_kernelIN3c108BFloat16ElEEvPT_PKT0_lbS5_,comdat
	.globl	_ZN2at6native12_GLOBAL__N_119post_sum_div_kernelIN3c108BFloat16ElEEvPT_PKT0_lbS5_ ; -- Begin function _ZN2at6native12_GLOBAL__N_119post_sum_div_kernelIN3c108BFloat16ElEEvPT_PKT0_lbS5_
	.p2align	8
	.type	_ZN2at6native12_GLOBAL__N_119post_sum_div_kernelIN3c108BFloat16ElEEvPT_PKT0_lbS5_,@function
_ZN2at6native12_GLOBAL__N_119post_sum_div_kernelIN3c108BFloat16ElEEvPT_PKT0_lbS5_: ; @_ZN2at6native12_GLOBAL__N_119post_sum_div_kernelIN3c108BFloat16ElEEvPT_PKT0_lbS5_
; %bb.0:
	s_clause 0x1
	s_load_dword s7, s[4:5], 0x2c
	s_load_dwordx2 s[2:3], s[4:5], 0x10
	v_mov_b32_e32 v1, 0
	s_add_u32 s0, s4, 32
	s_addc_u32 s1, s5, 0
	s_waitcnt lgkmcnt(0)
	s_and_b32 s8, s7, 0xffff
	v_mad_u64_u32 v[2:3], null, s8, s6, v[0:1]
	s_mov_b32 s6, exec_lo
	v_cmpx_gt_i64_e64 s[2:3], v[2:3]
	s_cbranch_execz .LBB263_12
; %bb.1:
	s_load_dword s9, s[4:5], 0x18
	s_load_dword s0, s[0:1], 0x0
	s_load_dwordx4 s[4:7], s[4:5], 0x0
	v_mov_b32_e32 v0, v1
	v_mov_b32_e32 v1, v2
	;; [unrolled: 1-line block ×3, first 2 shown]
	s_mov_b32 s1, 0
                                        ; implicit-def: $sgpr13
                                        ; implicit-def: $sgpr12
	s_waitcnt lgkmcnt(0)
	s_and_b32 s10, 1, s9
	s_lshr_b32 s9, s9, 16
	s_cmp_eq_u32 s10, 1
	s_mul_i32 s8, s0, s8
	s_cselect_b32 s9, s9, 0x7fc0
	s_mov_b32 s11, s8
                                        ; implicit-def: $sgpr10
.LBB263_2:                              ; =>This Inner Loop Header: Depth=1
	v_ashrrev_i64 v[4:5], 29, v[0:1]
	s_or_b32 s12, s12, exec_lo
	s_or_b32 s13, s13, exec_lo
	s_mov_b32 s14, exec_lo
	v_add_co_u32 v4, vcc_lo, s6, v4
	v_add_co_ci_u32_e64 v5, null, s7, v5, vcc_lo
	global_load_dwordx2 v[6:7], v[4:5], off
	s_waitcnt vmcnt(0)
	v_cmpx_lt_i64_e32 -1, v[6:7]
	s_cbranch_execz .LBB263_10
; %bb.3:                                ;   in Loop: Header=BB263_2 Depth=1
	v_ashrrev_i32_e32 v5, 31, v1
	v_mov_b32_e32 v4, v1
	v_mov_b32_e32 v10, s9
	s_mov_b32 s15, -1
	v_lshlrev_b64 v[4:5], 1, v[4:5]
	v_add_co_u32 v4, s0, s4, v4
	v_add_co_ci_u32_e64 v5, null, s5, v5, s0
	s_mov_b32 s0, exec_lo
	v_cmpx_ne_u64_e32 0, v[6:7]
	s_cbranch_execz .LBB263_7
; %bb.4:                                ;   in Loop: Header=BB263_2 Depth=1
	global_load_ushort v9, v[4:5], off
	s_mov_b32 s15, 0
	s_mov_b32 s16, exec_lo
                                        ; implicit-def: $vgpr10
	s_waitcnt vmcnt(0)
	v_lshlrev_b32_e32 v9, 16, v9
	v_cmpx_o_f32_e32 v9, v9
	s_cbranch_execz .LBB263_6
; %bb.5:                                ;   in Loop: Header=BB263_2 Depth=1
	v_ffbh_u32_e32 v10, v7
	s_mov_b32 s15, exec_lo
	v_min_u32_e32 v10, 32, v10
	v_lshlrev_b64 v[6:7], v10, v[6:7]
	v_min_u32_e32 v6, 1, v6
	v_or_b32_e32 v6, v7, v6
	v_sub_nc_u32_e32 v7, 32, v10
	v_cvt_f32_u32_e32 v6, v6
	v_ldexp_f32 v6, v6, v7
	v_bfe_u32 v7, v6, 16, 1
	v_add3_u32 v6, v6, v7, 0x7fff
	v_and_b32_e32 v6, 0xffff0000, v6
	v_div_scale_f32 v7, null, v6, v6, v9
	v_rcp_f32_e32 v10, v7
	v_fma_f32 v11, -v7, v10, 1.0
	v_fmac_f32_e32 v10, v11, v10
	v_div_scale_f32 v11, vcc_lo, v9, v6, v9
	v_mul_f32_e32 v12, v11, v10
	v_fma_f32 v13, -v7, v12, v11
	v_fmac_f32_e32 v12, v13, v10
	v_fma_f32 v7, -v7, v12, v11
	v_div_fmas_f32 v7, v7, v10, v12
	v_div_fixup_f32 v6, v7, v6, v9
	v_bfe_u32 v7, v6, 16, 1
	v_cmp_o_f32_e32 vcc_lo, v6, v6
	v_add3_u32 v6, v6, v7, 0x7fff
	v_cndmask_b32_sdwa v10, v8, v6, vcc_lo dst_sel:DWORD dst_unused:UNUSED_PAD src0_sel:DWORD src1_sel:WORD_1
.LBB263_6:                              ;   in Loop: Header=BB263_2 Depth=1
	s_or_b32 exec_lo, exec_lo, s16
	s_orn2_b32 s15, s15, exec_lo
.LBB263_7:                              ;   in Loop: Header=BB263_2 Depth=1
	s_or_b32 exec_lo, exec_lo, s0
	s_and_saveexec_b32 s0, s15
	s_cbranch_execz .LBB263_9
; %bb.8:                                ;   in Loop: Header=BB263_2 Depth=1
	global_store_short v[4:5], v10, off
.LBB263_9:                              ;   in Loop: Header=BB263_2 Depth=1
	s_or_b32 exec_lo, exec_lo, s0
	v_add_co_u32 v2, vcc_lo, v2, s8
	v_add_co_ci_u32_e64 v3, null, 0, v3, vcc_lo
	v_add_co_u32 v0, s0, v0, 0
	v_add_co_ci_u32_e64 v1, null, s11, v1, s0
	v_cmp_le_i64_e32 vcc_lo, s[2:3], v[2:3]
	s_andn2_b32 s0, s13, exec_lo
	s_andn2_b32 s12, s12, exec_lo
	s_and_b32 s13, vcc_lo, exec_lo
	s_or_b32 s13, s0, s13
.LBB263_10:                             ;   in Loop: Header=BB263_2 Depth=1
	s_or_b32 exec_lo, exec_lo, s14
	s_and_b32 s0, exec_lo, s13
	s_or_b32 s1, s0, s1
	s_andn2_b32 s0, s10, exec_lo
	s_and_b32 s10, s12, exec_lo
	s_or_b32 s10, s0, s10
	s_andn2_b32 exec_lo, exec_lo, s1
	s_cbranch_execnz .LBB263_2
; %bb.11:
	s_or_b32 exec_lo, exec_lo, s1
	s_and_saveexec_b32 s0, s10
	s_xor_b32 s0, exec_lo, s0
	s_cbranch_execnz .LBB263_13
.LBB263_12:
	s_endpgm
.LBB263_13:
	s_trap 2
	; divergent unreachable
	s_endpgm
	.section	.rodata,"a",@progbits
	.p2align	6, 0x0
	.amdhsa_kernel _ZN2at6native12_GLOBAL__N_119post_sum_div_kernelIN3c108BFloat16ElEEvPT_PKT0_lbS5_
		.amdhsa_group_segment_fixed_size 0
		.amdhsa_private_segment_fixed_size 0
		.amdhsa_kernarg_size 288
		.amdhsa_user_sgpr_count 6
		.amdhsa_user_sgpr_private_segment_buffer 1
		.amdhsa_user_sgpr_dispatch_ptr 0
		.amdhsa_user_sgpr_queue_ptr 0
		.amdhsa_user_sgpr_kernarg_segment_ptr 1
		.amdhsa_user_sgpr_dispatch_id 0
		.amdhsa_user_sgpr_flat_scratch_init 0
		.amdhsa_user_sgpr_private_segment_size 0
		.amdhsa_wavefront_size32 1
		.amdhsa_uses_dynamic_stack 0
		.amdhsa_system_sgpr_private_segment_wavefront_offset 0
		.amdhsa_system_sgpr_workgroup_id_x 1
		.amdhsa_system_sgpr_workgroup_id_y 0
		.amdhsa_system_sgpr_workgroup_id_z 0
		.amdhsa_system_sgpr_workgroup_info 0
		.amdhsa_system_vgpr_workitem_id 0
		.amdhsa_next_free_vgpr 14
		.amdhsa_next_free_sgpr 17
		.amdhsa_reserve_vcc 1
		.amdhsa_reserve_flat_scratch 0
		.amdhsa_float_round_mode_32 0
		.amdhsa_float_round_mode_16_64 0
		.amdhsa_float_denorm_mode_32 3
		.amdhsa_float_denorm_mode_16_64 3
		.amdhsa_dx10_clamp 1
		.amdhsa_ieee_mode 1
		.amdhsa_fp16_overflow 0
		.amdhsa_workgroup_processor_mode 1
		.amdhsa_memory_ordered 1
		.amdhsa_forward_progress 1
		.amdhsa_shared_vgpr_count 0
		.amdhsa_exception_fp_ieee_invalid_op 0
		.amdhsa_exception_fp_denorm_src 0
		.amdhsa_exception_fp_ieee_div_zero 0
		.amdhsa_exception_fp_ieee_overflow 0
		.amdhsa_exception_fp_ieee_underflow 0
		.amdhsa_exception_fp_ieee_inexact 0
		.amdhsa_exception_int_div_zero 0
	.end_amdhsa_kernel
	.section	.text._ZN2at6native12_GLOBAL__N_119post_sum_div_kernelIN3c108BFloat16ElEEvPT_PKT0_lbS5_,"axG",@progbits,_ZN2at6native12_GLOBAL__N_119post_sum_div_kernelIN3c108BFloat16ElEEvPT_PKT0_lbS5_,comdat
.Lfunc_end263:
	.size	_ZN2at6native12_GLOBAL__N_119post_sum_div_kernelIN3c108BFloat16ElEEvPT_PKT0_lbS5_, .Lfunc_end263-_ZN2at6native12_GLOBAL__N_119post_sum_div_kernelIN3c108BFloat16ElEEvPT_PKT0_lbS5_
                                        ; -- End function
	.set _ZN2at6native12_GLOBAL__N_119post_sum_div_kernelIN3c108BFloat16ElEEvPT_PKT0_lbS5_.num_vgpr, 14
	.set _ZN2at6native12_GLOBAL__N_119post_sum_div_kernelIN3c108BFloat16ElEEvPT_PKT0_lbS5_.num_agpr, 0
	.set _ZN2at6native12_GLOBAL__N_119post_sum_div_kernelIN3c108BFloat16ElEEvPT_PKT0_lbS5_.numbered_sgpr, 17
	.set _ZN2at6native12_GLOBAL__N_119post_sum_div_kernelIN3c108BFloat16ElEEvPT_PKT0_lbS5_.num_named_barrier, 0
	.set _ZN2at6native12_GLOBAL__N_119post_sum_div_kernelIN3c108BFloat16ElEEvPT_PKT0_lbS5_.private_seg_size, 0
	.set _ZN2at6native12_GLOBAL__N_119post_sum_div_kernelIN3c108BFloat16ElEEvPT_PKT0_lbS5_.uses_vcc, 1
	.set _ZN2at6native12_GLOBAL__N_119post_sum_div_kernelIN3c108BFloat16ElEEvPT_PKT0_lbS5_.uses_flat_scratch, 0
	.set _ZN2at6native12_GLOBAL__N_119post_sum_div_kernelIN3c108BFloat16ElEEvPT_PKT0_lbS5_.has_dyn_sized_stack, 0
	.set _ZN2at6native12_GLOBAL__N_119post_sum_div_kernelIN3c108BFloat16ElEEvPT_PKT0_lbS5_.has_recursion, 0
	.set _ZN2at6native12_GLOBAL__N_119post_sum_div_kernelIN3c108BFloat16ElEEvPT_PKT0_lbS5_.has_indirect_call, 0
	.section	.AMDGPU.csdata,"",@progbits
; Kernel info:
; codeLenInByte = 604
; TotalNumSgprs: 19
; NumVgprs: 14
; ScratchSize: 0
; MemoryBound: 0
; FloatMode: 240
; IeeeMode: 1
; LDSByteSize: 0 bytes/workgroup (compile time only)
; SGPRBlocks: 0
; VGPRBlocks: 1
; NumSGPRsForWavesPerEU: 19
; NumVGPRsForWavesPerEU: 14
; Occupancy: 16
; WaveLimiterHint : 0
; COMPUTE_PGM_RSRC2:SCRATCH_EN: 0
; COMPUTE_PGM_RSRC2:USER_SGPR: 6
; COMPUTE_PGM_RSRC2:TRAP_HANDLER: 0
; COMPUTE_PGM_RSRC2:TGID_X_EN: 1
; COMPUTE_PGM_RSRC2:TGID_Y_EN: 0
; COMPUTE_PGM_RSRC2:TGID_Z_EN: 0
; COMPUTE_PGM_RSRC2:TIDIG_COMP_CNT: 0
	.section	.text._ZN7rocprim17ROCPRIM_400000_NS6detail17trampoline_kernelINS0_14default_configENS1_32segmented_reduce_config_selectorIN3c108BFloat16EEEZNS1_21segmented_reduce_implIS3_PKS6_PS6_PKlS6_N6hipcub16HIPCUB_304000_NS6detail27convert_result_type_wrapperISA_SB_N2at6native12_GLOBAL__N_19CustomMinEEEEE10hipError_tPvRmT0_T1_jT2_SS_T4_T3_P12ihipStream_tbEUlT_E_NS1_11comp_targetILNS1_3genE0ELNS1_11target_archE4294967295ELNS1_3gpuE0ELNS1_3repE0EEENS1_30default_config_static_selectorELNS0_4arch9wavefront6targetE0EEEvSR_,"axG",@progbits,_ZN7rocprim17ROCPRIM_400000_NS6detail17trampoline_kernelINS0_14default_configENS1_32segmented_reduce_config_selectorIN3c108BFloat16EEEZNS1_21segmented_reduce_implIS3_PKS6_PS6_PKlS6_N6hipcub16HIPCUB_304000_NS6detail27convert_result_type_wrapperISA_SB_N2at6native12_GLOBAL__N_19CustomMinEEEEE10hipError_tPvRmT0_T1_jT2_SS_T4_T3_P12ihipStream_tbEUlT_E_NS1_11comp_targetILNS1_3genE0ELNS1_11target_archE4294967295ELNS1_3gpuE0ELNS1_3repE0EEENS1_30default_config_static_selectorELNS0_4arch9wavefront6targetE0EEEvSR_,comdat
	.globl	_ZN7rocprim17ROCPRIM_400000_NS6detail17trampoline_kernelINS0_14default_configENS1_32segmented_reduce_config_selectorIN3c108BFloat16EEEZNS1_21segmented_reduce_implIS3_PKS6_PS6_PKlS6_N6hipcub16HIPCUB_304000_NS6detail27convert_result_type_wrapperISA_SB_N2at6native12_GLOBAL__N_19CustomMinEEEEE10hipError_tPvRmT0_T1_jT2_SS_T4_T3_P12ihipStream_tbEUlT_E_NS1_11comp_targetILNS1_3genE0ELNS1_11target_archE4294967295ELNS1_3gpuE0ELNS1_3repE0EEENS1_30default_config_static_selectorELNS0_4arch9wavefront6targetE0EEEvSR_ ; -- Begin function _ZN7rocprim17ROCPRIM_400000_NS6detail17trampoline_kernelINS0_14default_configENS1_32segmented_reduce_config_selectorIN3c108BFloat16EEEZNS1_21segmented_reduce_implIS3_PKS6_PS6_PKlS6_N6hipcub16HIPCUB_304000_NS6detail27convert_result_type_wrapperISA_SB_N2at6native12_GLOBAL__N_19CustomMinEEEEE10hipError_tPvRmT0_T1_jT2_SS_T4_T3_P12ihipStream_tbEUlT_E_NS1_11comp_targetILNS1_3genE0ELNS1_11target_archE4294967295ELNS1_3gpuE0ELNS1_3repE0EEENS1_30default_config_static_selectorELNS0_4arch9wavefront6targetE0EEEvSR_
	.p2align	8
	.type	_ZN7rocprim17ROCPRIM_400000_NS6detail17trampoline_kernelINS0_14default_configENS1_32segmented_reduce_config_selectorIN3c108BFloat16EEEZNS1_21segmented_reduce_implIS3_PKS6_PS6_PKlS6_N6hipcub16HIPCUB_304000_NS6detail27convert_result_type_wrapperISA_SB_N2at6native12_GLOBAL__N_19CustomMinEEEEE10hipError_tPvRmT0_T1_jT2_SS_T4_T3_P12ihipStream_tbEUlT_E_NS1_11comp_targetILNS1_3genE0ELNS1_11target_archE4294967295ELNS1_3gpuE0ELNS1_3repE0EEENS1_30default_config_static_selectorELNS0_4arch9wavefront6targetE0EEEvSR_,@function
_ZN7rocprim17ROCPRIM_400000_NS6detail17trampoline_kernelINS0_14default_configENS1_32segmented_reduce_config_selectorIN3c108BFloat16EEEZNS1_21segmented_reduce_implIS3_PKS6_PS6_PKlS6_N6hipcub16HIPCUB_304000_NS6detail27convert_result_type_wrapperISA_SB_N2at6native12_GLOBAL__N_19CustomMinEEEEE10hipError_tPvRmT0_T1_jT2_SS_T4_T3_P12ihipStream_tbEUlT_E_NS1_11comp_targetILNS1_3genE0ELNS1_11target_archE4294967295ELNS1_3gpuE0ELNS1_3repE0EEENS1_30default_config_static_selectorELNS0_4arch9wavefront6targetE0EEEvSR_: ; @_ZN7rocprim17ROCPRIM_400000_NS6detail17trampoline_kernelINS0_14default_configENS1_32segmented_reduce_config_selectorIN3c108BFloat16EEEZNS1_21segmented_reduce_implIS3_PKS6_PS6_PKlS6_N6hipcub16HIPCUB_304000_NS6detail27convert_result_type_wrapperISA_SB_N2at6native12_GLOBAL__N_19CustomMinEEEEE10hipError_tPvRmT0_T1_jT2_SS_T4_T3_P12ihipStream_tbEUlT_E_NS1_11comp_targetILNS1_3genE0ELNS1_11target_archE4294967295ELNS1_3gpuE0ELNS1_3repE0EEENS1_30default_config_static_selectorELNS0_4arch9wavefront6targetE0EEEvSR_
; %bb.0:
	.section	.rodata,"a",@progbits
	.p2align	6, 0x0
	.amdhsa_kernel _ZN7rocprim17ROCPRIM_400000_NS6detail17trampoline_kernelINS0_14default_configENS1_32segmented_reduce_config_selectorIN3c108BFloat16EEEZNS1_21segmented_reduce_implIS3_PKS6_PS6_PKlS6_N6hipcub16HIPCUB_304000_NS6detail27convert_result_type_wrapperISA_SB_N2at6native12_GLOBAL__N_19CustomMinEEEEE10hipError_tPvRmT0_T1_jT2_SS_T4_T3_P12ihipStream_tbEUlT_E_NS1_11comp_targetILNS1_3genE0ELNS1_11target_archE4294967295ELNS1_3gpuE0ELNS1_3repE0EEENS1_30default_config_static_selectorELNS0_4arch9wavefront6targetE0EEEvSR_
		.amdhsa_group_segment_fixed_size 0
		.amdhsa_private_segment_fixed_size 0
		.amdhsa_kernarg_size 48
		.amdhsa_user_sgpr_count 6
		.amdhsa_user_sgpr_private_segment_buffer 1
		.amdhsa_user_sgpr_dispatch_ptr 0
		.amdhsa_user_sgpr_queue_ptr 0
		.amdhsa_user_sgpr_kernarg_segment_ptr 1
		.amdhsa_user_sgpr_dispatch_id 0
		.amdhsa_user_sgpr_flat_scratch_init 0
		.amdhsa_user_sgpr_private_segment_size 0
		.amdhsa_wavefront_size32 1
		.amdhsa_uses_dynamic_stack 0
		.amdhsa_system_sgpr_private_segment_wavefront_offset 0
		.amdhsa_system_sgpr_workgroup_id_x 1
		.amdhsa_system_sgpr_workgroup_id_y 0
		.amdhsa_system_sgpr_workgroup_id_z 0
		.amdhsa_system_sgpr_workgroup_info 0
		.amdhsa_system_vgpr_workitem_id 0
		.amdhsa_next_free_vgpr 1
		.amdhsa_next_free_sgpr 1
		.amdhsa_reserve_vcc 0
		.amdhsa_reserve_flat_scratch 0
		.amdhsa_float_round_mode_32 0
		.amdhsa_float_round_mode_16_64 0
		.amdhsa_float_denorm_mode_32 3
		.amdhsa_float_denorm_mode_16_64 3
		.amdhsa_dx10_clamp 1
		.amdhsa_ieee_mode 1
		.amdhsa_fp16_overflow 0
		.amdhsa_workgroup_processor_mode 1
		.amdhsa_memory_ordered 1
		.amdhsa_forward_progress 1
		.amdhsa_shared_vgpr_count 0
		.amdhsa_exception_fp_ieee_invalid_op 0
		.amdhsa_exception_fp_denorm_src 0
		.amdhsa_exception_fp_ieee_div_zero 0
		.amdhsa_exception_fp_ieee_overflow 0
		.amdhsa_exception_fp_ieee_underflow 0
		.amdhsa_exception_fp_ieee_inexact 0
		.amdhsa_exception_int_div_zero 0
	.end_amdhsa_kernel
	.section	.text._ZN7rocprim17ROCPRIM_400000_NS6detail17trampoline_kernelINS0_14default_configENS1_32segmented_reduce_config_selectorIN3c108BFloat16EEEZNS1_21segmented_reduce_implIS3_PKS6_PS6_PKlS6_N6hipcub16HIPCUB_304000_NS6detail27convert_result_type_wrapperISA_SB_N2at6native12_GLOBAL__N_19CustomMinEEEEE10hipError_tPvRmT0_T1_jT2_SS_T4_T3_P12ihipStream_tbEUlT_E_NS1_11comp_targetILNS1_3genE0ELNS1_11target_archE4294967295ELNS1_3gpuE0ELNS1_3repE0EEENS1_30default_config_static_selectorELNS0_4arch9wavefront6targetE0EEEvSR_,"axG",@progbits,_ZN7rocprim17ROCPRIM_400000_NS6detail17trampoline_kernelINS0_14default_configENS1_32segmented_reduce_config_selectorIN3c108BFloat16EEEZNS1_21segmented_reduce_implIS3_PKS6_PS6_PKlS6_N6hipcub16HIPCUB_304000_NS6detail27convert_result_type_wrapperISA_SB_N2at6native12_GLOBAL__N_19CustomMinEEEEE10hipError_tPvRmT0_T1_jT2_SS_T4_T3_P12ihipStream_tbEUlT_E_NS1_11comp_targetILNS1_3genE0ELNS1_11target_archE4294967295ELNS1_3gpuE0ELNS1_3repE0EEENS1_30default_config_static_selectorELNS0_4arch9wavefront6targetE0EEEvSR_,comdat
.Lfunc_end264:
	.size	_ZN7rocprim17ROCPRIM_400000_NS6detail17trampoline_kernelINS0_14default_configENS1_32segmented_reduce_config_selectorIN3c108BFloat16EEEZNS1_21segmented_reduce_implIS3_PKS6_PS6_PKlS6_N6hipcub16HIPCUB_304000_NS6detail27convert_result_type_wrapperISA_SB_N2at6native12_GLOBAL__N_19CustomMinEEEEE10hipError_tPvRmT0_T1_jT2_SS_T4_T3_P12ihipStream_tbEUlT_E_NS1_11comp_targetILNS1_3genE0ELNS1_11target_archE4294967295ELNS1_3gpuE0ELNS1_3repE0EEENS1_30default_config_static_selectorELNS0_4arch9wavefront6targetE0EEEvSR_, .Lfunc_end264-_ZN7rocprim17ROCPRIM_400000_NS6detail17trampoline_kernelINS0_14default_configENS1_32segmented_reduce_config_selectorIN3c108BFloat16EEEZNS1_21segmented_reduce_implIS3_PKS6_PS6_PKlS6_N6hipcub16HIPCUB_304000_NS6detail27convert_result_type_wrapperISA_SB_N2at6native12_GLOBAL__N_19CustomMinEEEEE10hipError_tPvRmT0_T1_jT2_SS_T4_T3_P12ihipStream_tbEUlT_E_NS1_11comp_targetILNS1_3genE0ELNS1_11target_archE4294967295ELNS1_3gpuE0ELNS1_3repE0EEENS1_30default_config_static_selectorELNS0_4arch9wavefront6targetE0EEEvSR_
                                        ; -- End function
	.set _ZN7rocprim17ROCPRIM_400000_NS6detail17trampoline_kernelINS0_14default_configENS1_32segmented_reduce_config_selectorIN3c108BFloat16EEEZNS1_21segmented_reduce_implIS3_PKS6_PS6_PKlS6_N6hipcub16HIPCUB_304000_NS6detail27convert_result_type_wrapperISA_SB_N2at6native12_GLOBAL__N_19CustomMinEEEEE10hipError_tPvRmT0_T1_jT2_SS_T4_T3_P12ihipStream_tbEUlT_E_NS1_11comp_targetILNS1_3genE0ELNS1_11target_archE4294967295ELNS1_3gpuE0ELNS1_3repE0EEENS1_30default_config_static_selectorELNS0_4arch9wavefront6targetE0EEEvSR_.num_vgpr, 0
	.set _ZN7rocprim17ROCPRIM_400000_NS6detail17trampoline_kernelINS0_14default_configENS1_32segmented_reduce_config_selectorIN3c108BFloat16EEEZNS1_21segmented_reduce_implIS3_PKS6_PS6_PKlS6_N6hipcub16HIPCUB_304000_NS6detail27convert_result_type_wrapperISA_SB_N2at6native12_GLOBAL__N_19CustomMinEEEEE10hipError_tPvRmT0_T1_jT2_SS_T4_T3_P12ihipStream_tbEUlT_E_NS1_11comp_targetILNS1_3genE0ELNS1_11target_archE4294967295ELNS1_3gpuE0ELNS1_3repE0EEENS1_30default_config_static_selectorELNS0_4arch9wavefront6targetE0EEEvSR_.num_agpr, 0
	.set _ZN7rocprim17ROCPRIM_400000_NS6detail17trampoline_kernelINS0_14default_configENS1_32segmented_reduce_config_selectorIN3c108BFloat16EEEZNS1_21segmented_reduce_implIS3_PKS6_PS6_PKlS6_N6hipcub16HIPCUB_304000_NS6detail27convert_result_type_wrapperISA_SB_N2at6native12_GLOBAL__N_19CustomMinEEEEE10hipError_tPvRmT0_T1_jT2_SS_T4_T3_P12ihipStream_tbEUlT_E_NS1_11comp_targetILNS1_3genE0ELNS1_11target_archE4294967295ELNS1_3gpuE0ELNS1_3repE0EEENS1_30default_config_static_selectorELNS0_4arch9wavefront6targetE0EEEvSR_.numbered_sgpr, 0
	.set _ZN7rocprim17ROCPRIM_400000_NS6detail17trampoline_kernelINS0_14default_configENS1_32segmented_reduce_config_selectorIN3c108BFloat16EEEZNS1_21segmented_reduce_implIS3_PKS6_PS6_PKlS6_N6hipcub16HIPCUB_304000_NS6detail27convert_result_type_wrapperISA_SB_N2at6native12_GLOBAL__N_19CustomMinEEEEE10hipError_tPvRmT0_T1_jT2_SS_T4_T3_P12ihipStream_tbEUlT_E_NS1_11comp_targetILNS1_3genE0ELNS1_11target_archE4294967295ELNS1_3gpuE0ELNS1_3repE0EEENS1_30default_config_static_selectorELNS0_4arch9wavefront6targetE0EEEvSR_.num_named_barrier, 0
	.set _ZN7rocprim17ROCPRIM_400000_NS6detail17trampoline_kernelINS0_14default_configENS1_32segmented_reduce_config_selectorIN3c108BFloat16EEEZNS1_21segmented_reduce_implIS3_PKS6_PS6_PKlS6_N6hipcub16HIPCUB_304000_NS6detail27convert_result_type_wrapperISA_SB_N2at6native12_GLOBAL__N_19CustomMinEEEEE10hipError_tPvRmT0_T1_jT2_SS_T4_T3_P12ihipStream_tbEUlT_E_NS1_11comp_targetILNS1_3genE0ELNS1_11target_archE4294967295ELNS1_3gpuE0ELNS1_3repE0EEENS1_30default_config_static_selectorELNS0_4arch9wavefront6targetE0EEEvSR_.private_seg_size, 0
	.set _ZN7rocprim17ROCPRIM_400000_NS6detail17trampoline_kernelINS0_14default_configENS1_32segmented_reduce_config_selectorIN3c108BFloat16EEEZNS1_21segmented_reduce_implIS3_PKS6_PS6_PKlS6_N6hipcub16HIPCUB_304000_NS6detail27convert_result_type_wrapperISA_SB_N2at6native12_GLOBAL__N_19CustomMinEEEEE10hipError_tPvRmT0_T1_jT2_SS_T4_T3_P12ihipStream_tbEUlT_E_NS1_11comp_targetILNS1_3genE0ELNS1_11target_archE4294967295ELNS1_3gpuE0ELNS1_3repE0EEENS1_30default_config_static_selectorELNS0_4arch9wavefront6targetE0EEEvSR_.uses_vcc, 0
	.set _ZN7rocprim17ROCPRIM_400000_NS6detail17trampoline_kernelINS0_14default_configENS1_32segmented_reduce_config_selectorIN3c108BFloat16EEEZNS1_21segmented_reduce_implIS3_PKS6_PS6_PKlS6_N6hipcub16HIPCUB_304000_NS6detail27convert_result_type_wrapperISA_SB_N2at6native12_GLOBAL__N_19CustomMinEEEEE10hipError_tPvRmT0_T1_jT2_SS_T4_T3_P12ihipStream_tbEUlT_E_NS1_11comp_targetILNS1_3genE0ELNS1_11target_archE4294967295ELNS1_3gpuE0ELNS1_3repE0EEENS1_30default_config_static_selectorELNS0_4arch9wavefront6targetE0EEEvSR_.uses_flat_scratch, 0
	.set _ZN7rocprim17ROCPRIM_400000_NS6detail17trampoline_kernelINS0_14default_configENS1_32segmented_reduce_config_selectorIN3c108BFloat16EEEZNS1_21segmented_reduce_implIS3_PKS6_PS6_PKlS6_N6hipcub16HIPCUB_304000_NS6detail27convert_result_type_wrapperISA_SB_N2at6native12_GLOBAL__N_19CustomMinEEEEE10hipError_tPvRmT0_T1_jT2_SS_T4_T3_P12ihipStream_tbEUlT_E_NS1_11comp_targetILNS1_3genE0ELNS1_11target_archE4294967295ELNS1_3gpuE0ELNS1_3repE0EEENS1_30default_config_static_selectorELNS0_4arch9wavefront6targetE0EEEvSR_.has_dyn_sized_stack, 0
	.set _ZN7rocprim17ROCPRIM_400000_NS6detail17trampoline_kernelINS0_14default_configENS1_32segmented_reduce_config_selectorIN3c108BFloat16EEEZNS1_21segmented_reduce_implIS3_PKS6_PS6_PKlS6_N6hipcub16HIPCUB_304000_NS6detail27convert_result_type_wrapperISA_SB_N2at6native12_GLOBAL__N_19CustomMinEEEEE10hipError_tPvRmT0_T1_jT2_SS_T4_T3_P12ihipStream_tbEUlT_E_NS1_11comp_targetILNS1_3genE0ELNS1_11target_archE4294967295ELNS1_3gpuE0ELNS1_3repE0EEENS1_30default_config_static_selectorELNS0_4arch9wavefront6targetE0EEEvSR_.has_recursion, 0
	.set _ZN7rocprim17ROCPRIM_400000_NS6detail17trampoline_kernelINS0_14default_configENS1_32segmented_reduce_config_selectorIN3c108BFloat16EEEZNS1_21segmented_reduce_implIS3_PKS6_PS6_PKlS6_N6hipcub16HIPCUB_304000_NS6detail27convert_result_type_wrapperISA_SB_N2at6native12_GLOBAL__N_19CustomMinEEEEE10hipError_tPvRmT0_T1_jT2_SS_T4_T3_P12ihipStream_tbEUlT_E_NS1_11comp_targetILNS1_3genE0ELNS1_11target_archE4294967295ELNS1_3gpuE0ELNS1_3repE0EEENS1_30default_config_static_selectorELNS0_4arch9wavefront6targetE0EEEvSR_.has_indirect_call, 0
	.section	.AMDGPU.csdata,"",@progbits
; Kernel info:
; codeLenInByte = 0
; TotalNumSgprs: 0
; NumVgprs: 0
; ScratchSize: 0
; MemoryBound: 0
; FloatMode: 240
; IeeeMode: 1
; LDSByteSize: 0 bytes/workgroup (compile time only)
; SGPRBlocks: 0
; VGPRBlocks: 0
; NumSGPRsForWavesPerEU: 1
; NumVGPRsForWavesPerEU: 1
; Occupancy: 16
; WaveLimiterHint : 0
; COMPUTE_PGM_RSRC2:SCRATCH_EN: 0
; COMPUTE_PGM_RSRC2:USER_SGPR: 6
; COMPUTE_PGM_RSRC2:TRAP_HANDLER: 0
; COMPUTE_PGM_RSRC2:TGID_X_EN: 1
; COMPUTE_PGM_RSRC2:TGID_Y_EN: 0
; COMPUTE_PGM_RSRC2:TGID_Z_EN: 0
; COMPUTE_PGM_RSRC2:TIDIG_COMP_CNT: 0
	.section	.text._ZN7rocprim17ROCPRIM_400000_NS6detail17trampoline_kernelINS0_14default_configENS1_32segmented_reduce_config_selectorIN3c108BFloat16EEEZNS1_21segmented_reduce_implIS3_PKS6_PS6_PKlS6_N6hipcub16HIPCUB_304000_NS6detail27convert_result_type_wrapperISA_SB_N2at6native12_GLOBAL__N_19CustomMinEEEEE10hipError_tPvRmT0_T1_jT2_SS_T4_T3_P12ihipStream_tbEUlT_E_NS1_11comp_targetILNS1_3genE5ELNS1_11target_archE942ELNS1_3gpuE9ELNS1_3repE0EEENS1_30default_config_static_selectorELNS0_4arch9wavefront6targetE0EEEvSR_,"axG",@progbits,_ZN7rocprim17ROCPRIM_400000_NS6detail17trampoline_kernelINS0_14default_configENS1_32segmented_reduce_config_selectorIN3c108BFloat16EEEZNS1_21segmented_reduce_implIS3_PKS6_PS6_PKlS6_N6hipcub16HIPCUB_304000_NS6detail27convert_result_type_wrapperISA_SB_N2at6native12_GLOBAL__N_19CustomMinEEEEE10hipError_tPvRmT0_T1_jT2_SS_T4_T3_P12ihipStream_tbEUlT_E_NS1_11comp_targetILNS1_3genE5ELNS1_11target_archE942ELNS1_3gpuE9ELNS1_3repE0EEENS1_30default_config_static_selectorELNS0_4arch9wavefront6targetE0EEEvSR_,comdat
	.globl	_ZN7rocprim17ROCPRIM_400000_NS6detail17trampoline_kernelINS0_14default_configENS1_32segmented_reduce_config_selectorIN3c108BFloat16EEEZNS1_21segmented_reduce_implIS3_PKS6_PS6_PKlS6_N6hipcub16HIPCUB_304000_NS6detail27convert_result_type_wrapperISA_SB_N2at6native12_GLOBAL__N_19CustomMinEEEEE10hipError_tPvRmT0_T1_jT2_SS_T4_T3_P12ihipStream_tbEUlT_E_NS1_11comp_targetILNS1_3genE5ELNS1_11target_archE942ELNS1_3gpuE9ELNS1_3repE0EEENS1_30default_config_static_selectorELNS0_4arch9wavefront6targetE0EEEvSR_ ; -- Begin function _ZN7rocprim17ROCPRIM_400000_NS6detail17trampoline_kernelINS0_14default_configENS1_32segmented_reduce_config_selectorIN3c108BFloat16EEEZNS1_21segmented_reduce_implIS3_PKS6_PS6_PKlS6_N6hipcub16HIPCUB_304000_NS6detail27convert_result_type_wrapperISA_SB_N2at6native12_GLOBAL__N_19CustomMinEEEEE10hipError_tPvRmT0_T1_jT2_SS_T4_T3_P12ihipStream_tbEUlT_E_NS1_11comp_targetILNS1_3genE5ELNS1_11target_archE942ELNS1_3gpuE9ELNS1_3repE0EEENS1_30default_config_static_selectorELNS0_4arch9wavefront6targetE0EEEvSR_
	.p2align	8
	.type	_ZN7rocprim17ROCPRIM_400000_NS6detail17trampoline_kernelINS0_14default_configENS1_32segmented_reduce_config_selectorIN3c108BFloat16EEEZNS1_21segmented_reduce_implIS3_PKS6_PS6_PKlS6_N6hipcub16HIPCUB_304000_NS6detail27convert_result_type_wrapperISA_SB_N2at6native12_GLOBAL__N_19CustomMinEEEEE10hipError_tPvRmT0_T1_jT2_SS_T4_T3_P12ihipStream_tbEUlT_E_NS1_11comp_targetILNS1_3genE5ELNS1_11target_archE942ELNS1_3gpuE9ELNS1_3repE0EEENS1_30default_config_static_selectorELNS0_4arch9wavefront6targetE0EEEvSR_,@function
_ZN7rocprim17ROCPRIM_400000_NS6detail17trampoline_kernelINS0_14default_configENS1_32segmented_reduce_config_selectorIN3c108BFloat16EEEZNS1_21segmented_reduce_implIS3_PKS6_PS6_PKlS6_N6hipcub16HIPCUB_304000_NS6detail27convert_result_type_wrapperISA_SB_N2at6native12_GLOBAL__N_19CustomMinEEEEE10hipError_tPvRmT0_T1_jT2_SS_T4_T3_P12ihipStream_tbEUlT_E_NS1_11comp_targetILNS1_3genE5ELNS1_11target_archE942ELNS1_3gpuE9ELNS1_3repE0EEENS1_30default_config_static_selectorELNS0_4arch9wavefront6targetE0EEEvSR_: ; @_ZN7rocprim17ROCPRIM_400000_NS6detail17trampoline_kernelINS0_14default_configENS1_32segmented_reduce_config_selectorIN3c108BFloat16EEEZNS1_21segmented_reduce_implIS3_PKS6_PS6_PKlS6_N6hipcub16HIPCUB_304000_NS6detail27convert_result_type_wrapperISA_SB_N2at6native12_GLOBAL__N_19CustomMinEEEEE10hipError_tPvRmT0_T1_jT2_SS_T4_T3_P12ihipStream_tbEUlT_E_NS1_11comp_targetILNS1_3genE5ELNS1_11target_archE942ELNS1_3gpuE9ELNS1_3repE0EEENS1_30default_config_static_selectorELNS0_4arch9wavefront6targetE0EEEvSR_
; %bb.0:
	.section	.rodata,"a",@progbits
	.p2align	6, 0x0
	.amdhsa_kernel _ZN7rocprim17ROCPRIM_400000_NS6detail17trampoline_kernelINS0_14default_configENS1_32segmented_reduce_config_selectorIN3c108BFloat16EEEZNS1_21segmented_reduce_implIS3_PKS6_PS6_PKlS6_N6hipcub16HIPCUB_304000_NS6detail27convert_result_type_wrapperISA_SB_N2at6native12_GLOBAL__N_19CustomMinEEEEE10hipError_tPvRmT0_T1_jT2_SS_T4_T3_P12ihipStream_tbEUlT_E_NS1_11comp_targetILNS1_3genE5ELNS1_11target_archE942ELNS1_3gpuE9ELNS1_3repE0EEENS1_30default_config_static_selectorELNS0_4arch9wavefront6targetE0EEEvSR_
		.amdhsa_group_segment_fixed_size 0
		.amdhsa_private_segment_fixed_size 0
		.amdhsa_kernarg_size 48
		.amdhsa_user_sgpr_count 6
		.amdhsa_user_sgpr_private_segment_buffer 1
		.amdhsa_user_sgpr_dispatch_ptr 0
		.amdhsa_user_sgpr_queue_ptr 0
		.amdhsa_user_sgpr_kernarg_segment_ptr 1
		.amdhsa_user_sgpr_dispatch_id 0
		.amdhsa_user_sgpr_flat_scratch_init 0
		.amdhsa_user_sgpr_private_segment_size 0
		.amdhsa_wavefront_size32 1
		.amdhsa_uses_dynamic_stack 0
		.amdhsa_system_sgpr_private_segment_wavefront_offset 0
		.amdhsa_system_sgpr_workgroup_id_x 1
		.amdhsa_system_sgpr_workgroup_id_y 0
		.amdhsa_system_sgpr_workgroup_id_z 0
		.amdhsa_system_sgpr_workgroup_info 0
		.amdhsa_system_vgpr_workitem_id 0
		.amdhsa_next_free_vgpr 1
		.amdhsa_next_free_sgpr 1
		.amdhsa_reserve_vcc 0
		.amdhsa_reserve_flat_scratch 0
		.amdhsa_float_round_mode_32 0
		.amdhsa_float_round_mode_16_64 0
		.amdhsa_float_denorm_mode_32 3
		.amdhsa_float_denorm_mode_16_64 3
		.amdhsa_dx10_clamp 1
		.amdhsa_ieee_mode 1
		.amdhsa_fp16_overflow 0
		.amdhsa_workgroup_processor_mode 1
		.amdhsa_memory_ordered 1
		.amdhsa_forward_progress 1
		.amdhsa_shared_vgpr_count 0
		.amdhsa_exception_fp_ieee_invalid_op 0
		.amdhsa_exception_fp_denorm_src 0
		.amdhsa_exception_fp_ieee_div_zero 0
		.amdhsa_exception_fp_ieee_overflow 0
		.amdhsa_exception_fp_ieee_underflow 0
		.amdhsa_exception_fp_ieee_inexact 0
		.amdhsa_exception_int_div_zero 0
	.end_amdhsa_kernel
	.section	.text._ZN7rocprim17ROCPRIM_400000_NS6detail17trampoline_kernelINS0_14default_configENS1_32segmented_reduce_config_selectorIN3c108BFloat16EEEZNS1_21segmented_reduce_implIS3_PKS6_PS6_PKlS6_N6hipcub16HIPCUB_304000_NS6detail27convert_result_type_wrapperISA_SB_N2at6native12_GLOBAL__N_19CustomMinEEEEE10hipError_tPvRmT0_T1_jT2_SS_T4_T3_P12ihipStream_tbEUlT_E_NS1_11comp_targetILNS1_3genE5ELNS1_11target_archE942ELNS1_3gpuE9ELNS1_3repE0EEENS1_30default_config_static_selectorELNS0_4arch9wavefront6targetE0EEEvSR_,"axG",@progbits,_ZN7rocprim17ROCPRIM_400000_NS6detail17trampoline_kernelINS0_14default_configENS1_32segmented_reduce_config_selectorIN3c108BFloat16EEEZNS1_21segmented_reduce_implIS3_PKS6_PS6_PKlS6_N6hipcub16HIPCUB_304000_NS6detail27convert_result_type_wrapperISA_SB_N2at6native12_GLOBAL__N_19CustomMinEEEEE10hipError_tPvRmT0_T1_jT2_SS_T4_T3_P12ihipStream_tbEUlT_E_NS1_11comp_targetILNS1_3genE5ELNS1_11target_archE942ELNS1_3gpuE9ELNS1_3repE0EEENS1_30default_config_static_selectorELNS0_4arch9wavefront6targetE0EEEvSR_,comdat
.Lfunc_end265:
	.size	_ZN7rocprim17ROCPRIM_400000_NS6detail17trampoline_kernelINS0_14default_configENS1_32segmented_reduce_config_selectorIN3c108BFloat16EEEZNS1_21segmented_reduce_implIS3_PKS6_PS6_PKlS6_N6hipcub16HIPCUB_304000_NS6detail27convert_result_type_wrapperISA_SB_N2at6native12_GLOBAL__N_19CustomMinEEEEE10hipError_tPvRmT0_T1_jT2_SS_T4_T3_P12ihipStream_tbEUlT_E_NS1_11comp_targetILNS1_3genE5ELNS1_11target_archE942ELNS1_3gpuE9ELNS1_3repE0EEENS1_30default_config_static_selectorELNS0_4arch9wavefront6targetE0EEEvSR_, .Lfunc_end265-_ZN7rocprim17ROCPRIM_400000_NS6detail17trampoline_kernelINS0_14default_configENS1_32segmented_reduce_config_selectorIN3c108BFloat16EEEZNS1_21segmented_reduce_implIS3_PKS6_PS6_PKlS6_N6hipcub16HIPCUB_304000_NS6detail27convert_result_type_wrapperISA_SB_N2at6native12_GLOBAL__N_19CustomMinEEEEE10hipError_tPvRmT0_T1_jT2_SS_T4_T3_P12ihipStream_tbEUlT_E_NS1_11comp_targetILNS1_3genE5ELNS1_11target_archE942ELNS1_3gpuE9ELNS1_3repE0EEENS1_30default_config_static_selectorELNS0_4arch9wavefront6targetE0EEEvSR_
                                        ; -- End function
	.set _ZN7rocprim17ROCPRIM_400000_NS6detail17trampoline_kernelINS0_14default_configENS1_32segmented_reduce_config_selectorIN3c108BFloat16EEEZNS1_21segmented_reduce_implIS3_PKS6_PS6_PKlS6_N6hipcub16HIPCUB_304000_NS6detail27convert_result_type_wrapperISA_SB_N2at6native12_GLOBAL__N_19CustomMinEEEEE10hipError_tPvRmT0_T1_jT2_SS_T4_T3_P12ihipStream_tbEUlT_E_NS1_11comp_targetILNS1_3genE5ELNS1_11target_archE942ELNS1_3gpuE9ELNS1_3repE0EEENS1_30default_config_static_selectorELNS0_4arch9wavefront6targetE0EEEvSR_.num_vgpr, 0
	.set _ZN7rocprim17ROCPRIM_400000_NS6detail17trampoline_kernelINS0_14default_configENS1_32segmented_reduce_config_selectorIN3c108BFloat16EEEZNS1_21segmented_reduce_implIS3_PKS6_PS6_PKlS6_N6hipcub16HIPCUB_304000_NS6detail27convert_result_type_wrapperISA_SB_N2at6native12_GLOBAL__N_19CustomMinEEEEE10hipError_tPvRmT0_T1_jT2_SS_T4_T3_P12ihipStream_tbEUlT_E_NS1_11comp_targetILNS1_3genE5ELNS1_11target_archE942ELNS1_3gpuE9ELNS1_3repE0EEENS1_30default_config_static_selectorELNS0_4arch9wavefront6targetE0EEEvSR_.num_agpr, 0
	.set _ZN7rocprim17ROCPRIM_400000_NS6detail17trampoline_kernelINS0_14default_configENS1_32segmented_reduce_config_selectorIN3c108BFloat16EEEZNS1_21segmented_reduce_implIS3_PKS6_PS6_PKlS6_N6hipcub16HIPCUB_304000_NS6detail27convert_result_type_wrapperISA_SB_N2at6native12_GLOBAL__N_19CustomMinEEEEE10hipError_tPvRmT0_T1_jT2_SS_T4_T3_P12ihipStream_tbEUlT_E_NS1_11comp_targetILNS1_3genE5ELNS1_11target_archE942ELNS1_3gpuE9ELNS1_3repE0EEENS1_30default_config_static_selectorELNS0_4arch9wavefront6targetE0EEEvSR_.numbered_sgpr, 0
	.set _ZN7rocprim17ROCPRIM_400000_NS6detail17trampoline_kernelINS0_14default_configENS1_32segmented_reduce_config_selectorIN3c108BFloat16EEEZNS1_21segmented_reduce_implIS3_PKS6_PS6_PKlS6_N6hipcub16HIPCUB_304000_NS6detail27convert_result_type_wrapperISA_SB_N2at6native12_GLOBAL__N_19CustomMinEEEEE10hipError_tPvRmT0_T1_jT2_SS_T4_T3_P12ihipStream_tbEUlT_E_NS1_11comp_targetILNS1_3genE5ELNS1_11target_archE942ELNS1_3gpuE9ELNS1_3repE0EEENS1_30default_config_static_selectorELNS0_4arch9wavefront6targetE0EEEvSR_.num_named_barrier, 0
	.set _ZN7rocprim17ROCPRIM_400000_NS6detail17trampoline_kernelINS0_14default_configENS1_32segmented_reduce_config_selectorIN3c108BFloat16EEEZNS1_21segmented_reduce_implIS3_PKS6_PS6_PKlS6_N6hipcub16HIPCUB_304000_NS6detail27convert_result_type_wrapperISA_SB_N2at6native12_GLOBAL__N_19CustomMinEEEEE10hipError_tPvRmT0_T1_jT2_SS_T4_T3_P12ihipStream_tbEUlT_E_NS1_11comp_targetILNS1_3genE5ELNS1_11target_archE942ELNS1_3gpuE9ELNS1_3repE0EEENS1_30default_config_static_selectorELNS0_4arch9wavefront6targetE0EEEvSR_.private_seg_size, 0
	.set _ZN7rocprim17ROCPRIM_400000_NS6detail17trampoline_kernelINS0_14default_configENS1_32segmented_reduce_config_selectorIN3c108BFloat16EEEZNS1_21segmented_reduce_implIS3_PKS6_PS6_PKlS6_N6hipcub16HIPCUB_304000_NS6detail27convert_result_type_wrapperISA_SB_N2at6native12_GLOBAL__N_19CustomMinEEEEE10hipError_tPvRmT0_T1_jT2_SS_T4_T3_P12ihipStream_tbEUlT_E_NS1_11comp_targetILNS1_3genE5ELNS1_11target_archE942ELNS1_3gpuE9ELNS1_3repE0EEENS1_30default_config_static_selectorELNS0_4arch9wavefront6targetE0EEEvSR_.uses_vcc, 0
	.set _ZN7rocprim17ROCPRIM_400000_NS6detail17trampoline_kernelINS0_14default_configENS1_32segmented_reduce_config_selectorIN3c108BFloat16EEEZNS1_21segmented_reduce_implIS3_PKS6_PS6_PKlS6_N6hipcub16HIPCUB_304000_NS6detail27convert_result_type_wrapperISA_SB_N2at6native12_GLOBAL__N_19CustomMinEEEEE10hipError_tPvRmT0_T1_jT2_SS_T4_T3_P12ihipStream_tbEUlT_E_NS1_11comp_targetILNS1_3genE5ELNS1_11target_archE942ELNS1_3gpuE9ELNS1_3repE0EEENS1_30default_config_static_selectorELNS0_4arch9wavefront6targetE0EEEvSR_.uses_flat_scratch, 0
	.set _ZN7rocprim17ROCPRIM_400000_NS6detail17trampoline_kernelINS0_14default_configENS1_32segmented_reduce_config_selectorIN3c108BFloat16EEEZNS1_21segmented_reduce_implIS3_PKS6_PS6_PKlS6_N6hipcub16HIPCUB_304000_NS6detail27convert_result_type_wrapperISA_SB_N2at6native12_GLOBAL__N_19CustomMinEEEEE10hipError_tPvRmT0_T1_jT2_SS_T4_T3_P12ihipStream_tbEUlT_E_NS1_11comp_targetILNS1_3genE5ELNS1_11target_archE942ELNS1_3gpuE9ELNS1_3repE0EEENS1_30default_config_static_selectorELNS0_4arch9wavefront6targetE0EEEvSR_.has_dyn_sized_stack, 0
	.set _ZN7rocprim17ROCPRIM_400000_NS6detail17trampoline_kernelINS0_14default_configENS1_32segmented_reduce_config_selectorIN3c108BFloat16EEEZNS1_21segmented_reduce_implIS3_PKS6_PS6_PKlS6_N6hipcub16HIPCUB_304000_NS6detail27convert_result_type_wrapperISA_SB_N2at6native12_GLOBAL__N_19CustomMinEEEEE10hipError_tPvRmT0_T1_jT2_SS_T4_T3_P12ihipStream_tbEUlT_E_NS1_11comp_targetILNS1_3genE5ELNS1_11target_archE942ELNS1_3gpuE9ELNS1_3repE0EEENS1_30default_config_static_selectorELNS0_4arch9wavefront6targetE0EEEvSR_.has_recursion, 0
	.set _ZN7rocprim17ROCPRIM_400000_NS6detail17trampoline_kernelINS0_14default_configENS1_32segmented_reduce_config_selectorIN3c108BFloat16EEEZNS1_21segmented_reduce_implIS3_PKS6_PS6_PKlS6_N6hipcub16HIPCUB_304000_NS6detail27convert_result_type_wrapperISA_SB_N2at6native12_GLOBAL__N_19CustomMinEEEEE10hipError_tPvRmT0_T1_jT2_SS_T4_T3_P12ihipStream_tbEUlT_E_NS1_11comp_targetILNS1_3genE5ELNS1_11target_archE942ELNS1_3gpuE9ELNS1_3repE0EEENS1_30default_config_static_selectorELNS0_4arch9wavefront6targetE0EEEvSR_.has_indirect_call, 0
	.section	.AMDGPU.csdata,"",@progbits
; Kernel info:
; codeLenInByte = 0
; TotalNumSgprs: 0
; NumVgprs: 0
; ScratchSize: 0
; MemoryBound: 0
; FloatMode: 240
; IeeeMode: 1
; LDSByteSize: 0 bytes/workgroup (compile time only)
; SGPRBlocks: 0
; VGPRBlocks: 0
; NumSGPRsForWavesPerEU: 1
; NumVGPRsForWavesPerEU: 1
; Occupancy: 16
; WaveLimiterHint : 0
; COMPUTE_PGM_RSRC2:SCRATCH_EN: 0
; COMPUTE_PGM_RSRC2:USER_SGPR: 6
; COMPUTE_PGM_RSRC2:TRAP_HANDLER: 0
; COMPUTE_PGM_RSRC2:TGID_X_EN: 1
; COMPUTE_PGM_RSRC2:TGID_Y_EN: 0
; COMPUTE_PGM_RSRC2:TGID_Z_EN: 0
; COMPUTE_PGM_RSRC2:TIDIG_COMP_CNT: 0
	.section	.text._ZN7rocprim17ROCPRIM_400000_NS6detail17trampoline_kernelINS0_14default_configENS1_32segmented_reduce_config_selectorIN3c108BFloat16EEEZNS1_21segmented_reduce_implIS3_PKS6_PS6_PKlS6_N6hipcub16HIPCUB_304000_NS6detail27convert_result_type_wrapperISA_SB_N2at6native12_GLOBAL__N_19CustomMinEEEEE10hipError_tPvRmT0_T1_jT2_SS_T4_T3_P12ihipStream_tbEUlT_E_NS1_11comp_targetILNS1_3genE10ELNS1_11target_archE1201ELNS1_3gpuE5ELNS1_3repE0EEENS1_30default_config_static_selectorELNS0_4arch9wavefront6targetE0EEEvSR_,"axG",@progbits,_ZN7rocprim17ROCPRIM_400000_NS6detail17trampoline_kernelINS0_14default_configENS1_32segmented_reduce_config_selectorIN3c108BFloat16EEEZNS1_21segmented_reduce_implIS3_PKS6_PS6_PKlS6_N6hipcub16HIPCUB_304000_NS6detail27convert_result_type_wrapperISA_SB_N2at6native12_GLOBAL__N_19CustomMinEEEEE10hipError_tPvRmT0_T1_jT2_SS_T4_T3_P12ihipStream_tbEUlT_E_NS1_11comp_targetILNS1_3genE10ELNS1_11target_archE1201ELNS1_3gpuE5ELNS1_3repE0EEENS1_30default_config_static_selectorELNS0_4arch9wavefront6targetE0EEEvSR_,comdat
	.globl	_ZN7rocprim17ROCPRIM_400000_NS6detail17trampoline_kernelINS0_14default_configENS1_32segmented_reduce_config_selectorIN3c108BFloat16EEEZNS1_21segmented_reduce_implIS3_PKS6_PS6_PKlS6_N6hipcub16HIPCUB_304000_NS6detail27convert_result_type_wrapperISA_SB_N2at6native12_GLOBAL__N_19CustomMinEEEEE10hipError_tPvRmT0_T1_jT2_SS_T4_T3_P12ihipStream_tbEUlT_E_NS1_11comp_targetILNS1_3genE10ELNS1_11target_archE1201ELNS1_3gpuE5ELNS1_3repE0EEENS1_30default_config_static_selectorELNS0_4arch9wavefront6targetE0EEEvSR_ ; -- Begin function _ZN7rocprim17ROCPRIM_400000_NS6detail17trampoline_kernelINS0_14default_configENS1_32segmented_reduce_config_selectorIN3c108BFloat16EEEZNS1_21segmented_reduce_implIS3_PKS6_PS6_PKlS6_N6hipcub16HIPCUB_304000_NS6detail27convert_result_type_wrapperISA_SB_N2at6native12_GLOBAL__N_19CustomMinEEEEE10hipError_tPvRmT0_T1_jT2_SS_T4_T3_P12ihipStream_tbEUlT_E_NS1_11comp_targetILNS1_3genE10ELNS1_11target_archE1201ELNS1_3gpuE5ELNS1_3repE0EEENS1_30default_config_static_selectorELNS0_4arch9wavefront6targetE0EEEvSR_
	.p2align	8
	.type	_ZN7rocprim17ROCPRIM_400000_NS6detail17trampoline_kernelINS0_14default_configENS1_32segmented_reduce_config_selectorIN3c108BFloat16EEEZNS1_21segmented_reduce_implIS3_PKS6_PS6_PKlS6_N6hipcub16HIPCUB_304000_NS6detail27convert_result_type_wrapperISA_SB_N2at6native12_GLOBAL__N_19CustomMinEEEEE10hipError_tPvRmT0_T1_jT2_SS_T4_T3_P12ihipStream_tbEUlT_E_NS1_11comp_targetILNS1_3genE10ELNS1_11target_archE1201ELNS1_3gpuE5ELNS1_3repE0EEENS1_30default_config_static_selectorELNS0_4arch9wavefront6targetE0EEEvSR_,@function
_ZN7rocprim17ROCPRIM_400000_NS6detail17trampoline_kernelINS0_14default_configENS1_32segmented_reduce_config_selectorIN3c108BFloat16EEEZNS1_21segmented_reduce_implIS3_PKS6_PS6_PKlS6_N6hipcub16HIPCUB_304000_NS6detail27convert_result_type_wrapperISA_SB_N2at6native12_GLOBAL__N_19CustomMinEEEEE10hipError_tPvRmT0_T1_jT2_SS_T4_T3_P12ihipStream_tbEUlT_E_NS1_11comp_targetILNS1_3genE10ELNS1_11target_archE1201ELNS1_3gpuE5ELNS1_3repE0EEENS1_30default_config_static_selectorELNS0_4arch9wavefront6targetE0EEEvSR_: ; @_ZN7rocprim17ROCPRIM_400000_NS6detail17trampoline_kernelINS0_14default_configENS1_32segmented_reduce_config_selectorIN3c108BFloat16EEEZNS1_21segmented_reduce_implIS3_PKS6_PS6_PKlS6_N6hipcub16HIPCUB_304000_NS6detail27convert_result_type_wrapperISA_SB_N2at6native12_GLOBAL__N_19CustomMinEEEEE10hipError_tPvRmT0_T1_jT2_SS_T4_T3_P12ihipStream_tbEUlT_E_NS1_11comp_targetILNS1_3genE10ELNS1_11target_archE1201ELNS1_3gpuE5ELNS1_3repE0EEENS1_30default_config_static_selectorELNS0_4arch9wavefront6targetE0EEEvSR_
; %bb.0:
	.section	.rodata,"a",@progbits
	.p2align	6, 0x0
	.amdhsa_kernel _ZN7rocprim17ROCPRIM_400000_NS6detail17trampoline_kernelINS0_14default_configENS1_32segmented_reduce_config_selectorIN3c108BFloat16EEEZNS1_21segmented_reduce_implIS3_PKS6_PS6_PKlS6_N6hipcub16HIPCUB_304000_NS6detail27convert_result_type_wrapperISA_SB_N2at6native12_GLOBAL__N_19CustomMinEEEEE10hipError_tPvRmT0_T1_jT2_SS_T4_T3_P12ihipStream_tbEUlT_E_NS1_11comp_targetILNS1_3genE10ELNS1_11target_archE1201ELNS1_3gpuE5ELNS1_3repE0EEENS1_30default_config_static_selectorELNS0_4arch9wavefront6targetE0EEEvSR_
		.amdhsa_group_segment_fixed_size 0
		.amdhsa_private_segment_fixed_size 0
		.amdhsa_kernarg_size 48
		.amdhsa_user_sgpr_count 6
		.amdhsa_user_sgpr_private_segment_buffer 1
		.amdhsa_user_sgpr_dispatch_ptr 0
		.amdhsa_user_sgpr_queue_ptr 0
		.amdhsa_user_sgpr_kernarg_segment_ptr 1
		.amdhsa_user_sgpr_dispatch_id 0
		.amdhsa_user_sgpr_flat_scratch_init 0
		.amdhsa_user_sgpr_private_segment_size 0
		.amdhsa_wavefront_size32 1
		.amdhsa_uses_dynamic_stack 0
		.amdhsa_system_sgpr_private_segment_wavefront_offset 0
		.amdhsa_system_sgpr_workgroup_id_x 1
		.amdhsa_system_sgpr_workgroup_id_y 0
		.amdhsa_system_sgpr_workgroup_id_z 0
		.amdhsa_system_sgpr_workgroup_info 0
		.amdhsa_system_vgpr_workitem_id 0
		.amdhsa_next_free_vgpr 1
		.amdhsa_next_free_sgpr 1
		.amdhsa_reserve_vcc 0
		.amdhsa_reserve_flat_scratch 0
		.amdhsa_float_round_mode_32 0
		.amdhsa_float_round_mode_16_64 0
		.amdhsa_float_denorm_mode_32 3
		.amdhsa_float_denorm_mode_16_64 3
		.amdhsa_dx10_clamp 1
		.amdhsa_ieee_mode 1
		.amdhsa_fp16_overflow 0
		.amdhsa_workgroup_processor_mode 1
		.amdhsa_memory_ordered 1
		.amdhsa_forward_progress 1
		.amdhsa_shared_vgpr_count 0
		.amdhsa_exception_fp_ieee_invalid_op 0
		.amdhsa_exception_fp_denorm_src 0
		.amdhsa_exception_fp_ieee_div_zero 0
		.amdhsa_exception_fp_ieee_overflow 0
		.amdhsa_exception_fp_ieee_underflow 0
		.amdhsa_exception_fp_ieee_inexact 0
		.amdhsa_exception_int_div_zero 0
	.end_amdhsa_kernel
	.section	.text._ZN7rocprim17ROCPRIM_400000_NS6detail17trampoline_kernelINS0_14default_configENS1_32segmented_reduce_config_selectorIN3c108BFloat16EEEZNS1_21segmented_reduce_implIS3_PKS6_PS6_PKlS6_N6hipcub16HIPCUB_304000_NS6detail27convert_result_type_wrapperISA_SB_N2at6native12_GLOBAL__N_19CustomMinEEEEE10hipError_tPvRmT0_T1_jT2_SS_T4_T3_P12ihipStream_tbEUlT_E_NS1_11comp_targetILNS1_3genE10ELNS1_11target_archE1201ELNS1_3gpuE5ELNS1_3repE0EEENS1_30default_config_static_selectorELNS0_4arch9wavefront6targetE0EEEvSR_,"axG",@progbits,_ZN7rocprim17ROCPRIM_400000_NS6detail17trampoline_kernelINS0_14default_configENS1_32segmented_reduce_config_selectorIN3c108BFloat16EEEZNS1_21segmented_reduce_implIS3_PKS6_PS6_PKlS6_N6hipcub16HIPCUB_304000_NS6detail27convert_result_type_wrapperISA_SB_N2at6native12_GLOBAL__N_19CustomMinEEEEE10hipError_tPvRmT0_T1_jT2_SS_T4_T3_P12ihipStream_tbEUlT_E_NS1_11comp_targetILNS1_3genE10ELNS1_11target_archE1201ELNS1_3gpuE5ELNS1_3repE0EEENS1_30default_config_static_selectorELNS0_4arch9wavefront6targetE0EEEvSR_,comdat
.Lfunc_end266:
	.size	_ZN7rocprim17ROCPRIM_400000_NS6detail17trampoline_kernelINS0_14default_configENS1_32segmented_reduce_config_selectorIN3c108BFloat16EEEZNS1_21segmented_reduce_implIS3_PKS6_PS6_PKlS6_N6hipcub16HIPCUB_304000_NS6detail27convert_result_type_wrapperISA_SB_N2at6native12_GLOBAL__N_19CustomMinEEEEE10hipError_tPvRmT0_T1_jT2_SS_T4_T3_P12ihipStream_tbEUlT_E_NS1_11comp_targetILNS1_3genE10ELNS1_11target_archE1201ELNS1_3gpuE5ELNS1_3repE0EEENS1_30default_config_static_selectorELNS0_4arch9wavefront6targetE0EEEvSR_, .Lfunc_end266-_ZN7rocprim17ROCPRIM_400000_NS6detail17trampoline_kernelINS0_14default_configENS1_32segmented_reduce_config_selectorIN3c108BFloat16EEEZNS1_21segmented_reduce_implIS3_PKS6_PS6_PKlS6_N6hipcub16HIPCUB_304000_NS6detail27convert_result_type_wrapperISA_SB_N2at6native12_GLOBAL__N_19CustomMinEEEEE10hipError_tPvRmT0_T1_jT2_SS_T4_T3_P12ihipStream_tbEUlT_E_NS1_11comp_targetILNS1_3genE10ELNS1_11target_archE1201ELNS1_3gpuE5ELNS1_3repE0EEENS1_30default_config_static_selectorELNS0_4arch9wavefront6targetE0EEEvSR_
                                        ; -- End function
	.set _ZN7rocprim17ROCPRIM_400000_NS6detail17trampoline_kernelINS0_14default_configENS1_32segmented_reduce_config_selectorIN3c108BFloat16EEEZNS1_21segmented_reduce_implIS3_PKS6_PS6_PKlS6_N6hipcub16HIPCUB_304000_NS6detail27convert_result_type_wrapperISA_SB_N2at6native12_GLOBAL__N_19CustomMinEEEEE10hipError_tPvRmT0_T1_jT2_SS_T4_T3_P12ihipStream_tbEUlT_E_NS1_11comp_targetILNS1_3genE10ELNS1_11target_archE1201ELNS1_3gpuE5ELNS1_3repE0EEENS1_30default_config_static_selectorELNS0_4arch9wavefront6targetE0EEEvSR_.num_vgpr, 0
	.set _ZN7rocprim17ROCPRIM_400000_NS6detail17trampoline_kernelINS0_14default_configENS1_32segmented_reduce_config_selectorIN3c108BFloat16EEEZNS1_21segmented_reduce_implIS3_PKS6_PS6_PKlS6_N6hipcub16HIPCUB_304000_NS6detail27convert_result_type_wrapperISA_SB_N2at6native12_GLOBAL__N_19CustomMinEEEEE10hipError_tPvRmT0_T1_jT2_SS_T4_T3_P12ihipStream_tbEUlT_E_NS1_11comp_targetILNS1_3genE10ELNS1_11target_archE1201ELNS1_3gpuE5ELNS1_3repE0EEENS1_30default_config_static_selectorELNS0_4arch9wavefront6targetE0EEEvSR_.num_agpr, 0
	.set _ZN7rocprim17ROCPRIM_400000_NS6detail17trampoline_kernelINS0_14default_configENS1_32segmented_reduce_config_selectorIN3c108BFloat16EEEZNS1_21segmented_reduce_implIS3_PKS6_PS6_PKlS6_N6hipcub16HIPCUB_304000_NS6detail27convert_result_type_wrapperISA_SB_N2at6native12_GLOBAL__N_19CustomMinEEEEE10hipError_tPvRmT0_T1_jT2_SS_T4_T3_P12ihipStream_tbEUlT_E_NS1_11comp_targetILNS1_3genE10ELNS1_11target_archE1201ELNS1_3gpuE5ELNS1_3repE0EEENS1_30default_config_static_selectorELNS0_4arch9wavefront6targetE0EEEvSR_.numbered_sgpr, 0
	.set _ZN7rocprim17ROCPRIM_400000_NS6detail17trampoline_kernelINS0_14default_configENS1_32segmented_reduce_config_selectorIN3c108BFloat16EEEZNS1_21segmented_reduce_implIS3_PKS6_PS6_PKlS6_N6hipcub16HIPCUB_304000_NS6detail27convert_result_type_wrapperISA_SB_N2at6native12_GLOBAL__N_19CustomMinEEEEE10hipError_tPvRmT0_T1_jT2_SS_T4_T3_P12ihipStream_tbEUlT_E_NS1_11comp_targetILNS1_3genE10ELNS1_11target_archE1201ELNS1_3gpuE5ELNS1_3repE0EEENS1_30default_config_static_selectorELNS0_4arch9wavefront6targetE0EEEvSR_.num_named_barrier, 0
	.set _ZN7rocprim17ROCPRIM_400000_NS6detail17trampoline_kernelINS0_14default_configENS1_32segmented_reduce_config_selectorIN3c108BFloat16EEEZNS1_21segmented_reduce_implIS3_PKS6_PS6_PKlS6_N6hipcub16HIPCUB_304000_NS6detail27convert_result_type_wrapperISA_SB_N2at6native12_GLOBAL__N_19CustomMinEEEEE10hipError_tPvRmT0_T1_jT2_SS_T4_T3_P12ihipStream_tbEUlT_E_NS1_11comp_targetILNS1_3genE10ELNS1_11target_archE1201ELNS1_3gpuE5ELNS1_3repE0EEENS1_30default_config_static_selectorELNS0_4arch9wavefront6targetE0EEEvSR_.private_seg_size, 0
	.set _ZN7rocprim17ROCPRIM_400000_NS6detail17trampoline_kernelINS0_14default_configENS1_32segmented_reduce_config_selectorIN3c108BFloat16EEEZNS1_21segmented_reduce_implIS3_PKS6_PS6_PKlS6_N6hipcub16HIPCUB_304000_NS6detail27convert_result_type_wrapperISA_SB_N2at6native12_GLOBAL__N_19CustomMinEEEEE10hipError_tPvRmT0_T1_jT2_SS_T4_T3_P12ihipStream_tbEUlT_E_NS1_11comp_targetILNS1_3genE10ELNS1_11target_archE1201ELNS1_3gpuE5ELNS1_3repE0EEENS1_30default_config_static_selectorELNS0_4arch9wavefront6targetE0EEEvSR_.uses_vcc, 0
	.set _ZN7rocprim17ROCPRIM_400000_NS6detail17trampoline_kernelINS0_14default_configENS1_32segmented_reduce_config_selectorIN3c108BFloat16EEEZNS1_21segmented_reduce_implIS3_PKS6_PS6_PKlS6_N6hipcub16HIPCUB_304000_NS6detail27convert_result_type_wrapperISA_SB_N2at6native12_GLOBAL__N_19CustomMinEEEEE10hipError_tPvRmT0_T1_jT2_SS_T4_T3_P12ihipStream_tbEUlT_E_NS1_11comp_targetILNS1_3genE10ELNS1_11target_archE1201ELNS1_3gpuE5ELNS1_3repE0EEENS1_30default_config_static_selectorELNS0_4arch9wavefront6targetE0EEEvSR_.uses_flat_scratch, 0
	.set _ZN7rocprim17ROCPRIM_400000_NS6detail17trampoline_kernelINS0_14default_configENS1_32segmented_reduce_config_selectorIN3c108BFloat16EEEZNS1_21segmented_reduce_implIS3_PKS6_PS6_PKlS6_N6hipcub16HIPCUB_304000_NS6detail27convert_result_type_wrapperISA_SB_N2at6native12_GLOBAL__N_19CustomMinEEEEE10hipError_tPvRmT0_T1_jT2_SS_T4_T3_P12ihipStream_tbEUlT_E_NS1_11comp_targetILNS1_3genE10ELNS1_11target_archE1201ELNS1_3gpuE5ELNS1_3repE0EEENS1_30default_config_static_selectorELNS0_4arch9wavefront6targetE0EEEvSR_.has_dyn_sized_stack, 0
	.set _ZN7rocprim17ROCPRIM_400000_NS6detail17trampoline_kernelINS0_14default_configENS1_32segmented_reduce_config_selectorIN3c108BFloat16EEEZNS1_21segmented_reduce_implIS3_PKS6_PS6_PKlS6_N6hipcub16HIPCUB_304000_NS6detail27convert_result_type_wrapperISA_SB_N2at6native12_GLOBAL__N_19CustomMinEEEEE10hipError_tPvRmT0_T1_jT2_SS_T4_T3_P12ihipStream_tbEUlT_E_NS1_11comp_targetILNS1_3genE10ELNS1_11target_archE1201ELNS1_3gpuE5ELNS1_3repE0EEENS1_30default_config_static_selectorELNS0_4arch9wavefront6targetE0EEEvSR_.has_recursion, 0
	.set _ZN7rocprim17ROCPRIM_400000_NS6detail17trampoline_kernelINS0_14default_configENS1_32segmented_reduce_config_selectorIN3c108BFloat16EEEZNS1_21segmented_reduce_implIS3_PKS6_PS6_PKlS6_N6hipcub16HIPCUB_304000_NS6detail27convert_result_type_wrapperISA_SB_N2at6native12_GLOBAL__N_19CustomMinEEEEE10hipError_tPvRmT0_T1_jT2_SS_T4_T3_P12ihipStream_tbEUlT_E_NS1_11comp_targetILNS1_3genE10ELNS1_11target_archE1201ELNS1_3gpuE5ELNS1_3repE0EEENS1_30default_config_static_selectorELNS0_4arch9wavefront6targetE0EEEvSR_.has_indirect_call, 0
	.section	.AMDGPU.csdata,"",@progbits
; Kernel info:
; codeLenInByte = 0
; TotalNumSgprs: 0
; NumVgprs: 0
; ScratchSize: 0
; MemoryBound: 0
; FloatMode: 240
; IeeeMode: 1
; LDSByteSize: 0 bytes/workgroup (compile time only)
; SGPRBlocks: 0
; VGPRBlocks: 0
; NumSGPRsForWavesPerEU: 1
; NumVGPRsForWavesPerEU: 1
; Occupancy: 16
; WaveLimiterHint : 0
; COMPUTE_PGM_RSRC2:SCRATCH_EN: 0
; COMPUTE_PGM_RSRC2:USER_SGPR: 6
; COMPUTE_PGM_RSRC2:TRAP_HANDLER: 0
; COMPUTE_PGM_RSRC2:TGID_X_EN: 1
; COMPUTE_PGM_RSRC2:TGID_Y_EN: 0
; COMPUTE_PGM_RSRC2:TGID_Z_EN: 0
; COMPUTE_PGM_RSRC2:TIDIG_COMP_CNT: 0
	.section	.text._ZN7rocprim17ROCPRIM_400000_NS6detail17trampoline_kernelINS0_14default_configENS1_32segmented_reduce_config_selectorIN3c108BFloat16EEEZNS1_21segmented_reduce_implIS3_PKS6_PS6_PKlS6_N6hipcub16HIPCUB_304000_NS6detail27convert_result_type_wrapperISA_SB_N2at6native12_GLOBAL__N_19CustomMinEEEEE10hipError_tPvRmT0_T1_jT2_SS_T4_T3_P12ihipStream_tbEUlT_E_NS1_11comp_targetILNS1_3genE4ELNS1_11target_archE910ELNS1_3gpuE8ELNS1_3repE0EEENS1_30default_config_static_selectorELNS0_4arch9wavefront6targetE0EEEvSR_,"axG",@progbits,_ZN7rocprim17ROCPRIM_400000_NS6detail17trampoline_kernelINS0_14default_configENS1_32segmented_reduce_config_selectorIN3c108BFloat16EEEZNS1_21segmented_reduce_implIS3_PKS6_PS6_PKlS6_N6hipcub16HIPCUB_304000_NS6detail27convert_result_type_wrapperISA_SB_N2at6native12_GLOBAL__N_19CustomMinEEEEE10hipError_tPvRmT0_T1_jT2_SS_T4_T3_P12ihipStream_tbEUlT_E_NS1_11comp_targetILNS1_3genE4ELNS1_11target_archE910ELNS1_3gpuE8ELNS1_3repE0EEENS1_30default_config_static_selectorELNS0_4arch9wavefront6targetE0EEEvSR_,comdat
	.globl	_ZN7rocprim17ROCPRIM_400000_NS6detail17trampoline_kernelINS0_14default_configENS1_32segmented_reduce_config_selectorIN3c108BFloat16EEEZNS1_21segmented_reduce_implIS3_PKS6_PS6_PKlS6_N6hipcub16HIPCUB_304000_NS6detail27convert_result_type_wrapperISA_SB_N2at6native12_GLOBAL__N_19CustomMinEEEEE10hipError_tPvRmT0_T1_jT2_SS_T4_T3_P12ihipStream_tbEUlT_E_NS1_11comp_targetILNS1_3genE4ELNS1_11target_archE910ELNS1_3gpuE8ELNS1_3repE0EEENS1_30default_config_static_selectorELNS0_4arch9wavefront6targetE0EEEvSR_ ; -- Begin function _ZN7rocprim17ROCPRIM_400000_NS6detail17trampoline_kernelINS0_14default_configENS1_32segmented_reduce_config_selectorIN3c108BFloat16EEEZNS1_21segmented_reduce_implIS3_PKS6_PS6_PKlS6_N6hipcub16HIPCUB_304000_NS6detail27convert_result_type_wrapperISA_SB_N2at6native12_GLOBAL__N_19CustomMinEEEEE10hipError_tPvRmT0_T1_jT2_SS_T4_T3_P12ihipStream_tbEUlT_E_NS1_11comp_targetILNS1_3genE4ELNS1_11target_archE910ELNS1_3gpuE8ELNS1_3repE0EEENS1_30default_config_static_selectorELNS0_4arch9wavefront6targetE0EEEvSR_
	.p2align	8
	.type	_ZN7rocprim17ROCPRIM_400000_NS6detail17trampoline_kernelINS0_14default_configENS1_32segmented_reduce_config_selectorIN3c108BFloat16EEEZNS1_21segmented_reduce_implIS3_PKS6_PS6_PKlS6_N6hipcub16HIPCUB_304000_NS6detail27convert_result_type_wrapperISA_SB_N2at6native12_GLOBAL__N_19CustomMinEEEEE10hipError_tPvRmT0_T1_jT2_SS_T4_T3_P12ihipStream_tbEUlT_E_NS1_11comp_targetILNS1_3genE4ELNS1_11target_archE910ELNS1_3gpuE8ELNS1_3repE0EEENS1_30default_config_static_selectorELNS0_4arch9wavefront6targetE0EEEvSR_,@function
_ZN7rocprim17ROCPRIM_400000_NS6detail17trampoline_kernelINS0_14default_configENS1_32segmented_reduce_config_selectorIN3c108BFloat16EEEZNS1_21segmented_reduce_implIS3_PKS6_PS6_PKlS6_N6hipcub16HIPCUB_304000_NS6detail27convert_result_type_wrapperISA_SB_N2at6native12_GLOBAL__N_19CustomMinEEEEE10hipError_tPvRmT0_T1_jT2_SS_T4_T3_P12ihipStream_tbEUlT_E_NS1_11comp_targetILNS1_3genE4ELNS1_11target_archE910ELNS1_3gpuE8ELNS1_3repE0EEENS1_30default_config_static_selectorELNS0_4arch9wavefront6targetE0EEEvSR_: ; @_ZN7rocprim17ROCPRIM_400000_NS6detail17trampoline_kernelINS0_14default_configENS1_32segmented_reduce_config_selectorIN3c108BFloat16EEEZNS1_21segmented_reduce_implIS3_PKS6_PS6_PKlS6_N6hipcub16HIPCUB_304000_NS6detail27convert_result_type_wrapperISA_SB_N2at6native12_GLOBAL__N_19CustomMinEEEEE10hipError_tPvRmT0_T1_jT2_SS_T4_T3_P12ihipStream_tbEUlT_E_NS1_11comp_targetILNS1_3genE4ELNS1_11target_archE910ELNS1_3gpuE8ELNS1_3repE0EEENS1_30default_config_static_selectorELNS0_4arch9wavefront6targetE0EEEvSR_
; %bb.0:
	.section	.rodata,"a",@progbits
	.p2align	6, 0x0
	.amdhsa_kernel _ZN7rocprim17ROCPRIM_400000_NS6detail17trampoline_kernelINS0_14default_configENS1_32segmented_reduce_config_selectorIN3c108BFloat16EEEZNS1_21segmented_reduce_implIS3_PKS6_PS6_PKlS6_N6hipcub16HIPCUB_304000_NS6detail27convert_result_type_wrapperISA_SB_N2at6native12_GLOBAL__N_19CustomMinEEEEE10hipError_tPvRmT0_T1_jT2_SS_T4_T3_P12ihipStream_tbEUlT_E_NS1_11comp_targetILNS1_3genE4ELNS1_11target_archE910ELNS1_3gpuE8ELNS1_3repE0EEENS1_30default_config_static_selectorELNS0_4arch9wavefront6targetE0EEEvSR_
		.amdhsa_group_segment_fixed_size 0
		.amdhsa_private_segment_fixed_size 0
		.amdhsa_kernarg_size 48
		.amdhsa_user_sgpr_count 6
		.amdhsa_user_sgpr_private_segment_buffer 1
		.amdhsa_user_sgpr_dispatch_ptr 0
		.amdhsa_user_sgpr_queue_ptr 0
		.amdhsa_user_sgpr_kernarg_segment_ptr 1
		.amdhsa_user_sgpr_dispatch_id 0
		.amdhsa_user_sgpr_flat_scratch_init 0
		.amdhsa_user_sgpr_private_segment_size 0
		.amdhsa_wavefront_size32 1
		.amdhsa_uses_dynamic_stack 0
		.amdhsa_system_sgpr_private_segment_wavefront_offset 0
		.amdhsa_system_sgpr_workgroup_id_x 1
		.amdhsa_system_sgpr_workgroup_id_y 0
		.amdhsa_system_sgpr_workgroup_id_z 0
		.amdhsa_system_sgpr_workgroup_info 0
		.amdhsa_system_vgpr_workitem_id 0
		.amdhsa_next_free_vgpr 1
		.amdhsa_next_free_sgpr 1
		.amdhsa_reserve_vcc 0
		.amdhsa_reserve_flat_scratch 0
		.amdhsa_float_round_mode_32 0
		.amdhsa_float_round_mode_16_64 0
		.amdhsa_float_denorm_mode_32 3
		.amdhsa_float_denorm_mode_16_64 3
		.amdhsa_dx10_clamp 1
		.amdhsa_ieee_mode 1
		.amdhsa_fp16_overflow 0
		.amdhsa_workgroup_processor_mode 1
		.amdhsa_memory_ordered 1
		.amdhsa_forward_progress 1
		.amdhsa_shared_vgpr_count 0
		.amdhsa_exception_fp_ieee_invalid_op 0
		.amdhsa_exception_fp_denorm_src 0
		.amdhsa_exception_fp_ieee_div_zero 0
		.amdhsa_exception_fp_ieee_overflow 0
		.amdhsa_exception_fp_ieee_underflow 0
		.amdhsa_exception_fp_ieee_inexact 0
		.amdhsa_exception_int_div_zero 0
	.end_amdhsa_kernel
	.section	.text._ZN7rocprim17ROCPRIM_400000_NS6detail17trampoline_kernelINS0_14default_configENS1_32segmented_reduce_config_selectorIN3c108BFloat16EEEZNS1_21segmented_reduce_implIS3_PKS6_PS6_PKlS6_N6hipcub16HIPCUB_304000_NS6detail27convert_result_type_wrapperISA_SB_N2at6native12_GLOBAL__N_19CustomMinEEEEE10hipError_tPvRmT0_T1_jT2_SS_T4_T3_P12ihipStream_tbEUlT_E_NS1_11comp_targetILNS1_3genE4ELNS1_11target_archE910ELNS1_3gpuE8ELNS1_3repE0EEENS1_30default_config_static_selectorELNS0_4arch9wavefront6targetE0EEEvSR_,"axG",@progbits,_ZN7rocprim17ROCPRIM_400000_NS6detail17trampoline_kernelINS0_14default_configENS1_32segmented_reduce_config_selectorIN3c108BFloat16EEEZNS1_21segmented_reduce_implIS3_PKS6_PS6_PKlS6_N6hipcub16HIPCUB_304000_NS6detail27convert_result_type_wrapperISA_SB_N2at6native12_GLOBAL__N_19CustomMinEEEEE10hipError_tPvRmT0_T1_jT2_SS_T4_T3_P12ihipStream_tbEUlT_E_NS1_11comp_targetILNS1_3genE4ELNS1_11target_archE910ELNS1_3gpuE8ELNS1_3repE0EEENS1_30default_config_static_selectorELNS0_4arch9wavefront6targetE0EEEvSR_,comdat
.Lfunc_end267:
	.size	_ZN7rocprim17ROCPRIM_400000_NS6detail17trampoline_kernelINS0_14default_configENS1_32segmented_reduce_config_selectorIN3c108BFloat16EEEZNS1_21segmented_reduce_implIS3_PKS6_PS6_PKlS6_N6hipcub16HIPCUB_304000_NS6detail27convert_result_type_wrapperISA_SB_N2at6native12_GLOBAL__N_19CustomMinEEEEE10hipError_tPvRmT0_T1_jT2_SS_T4_T3_P12ihipStream_tbEUlT_E_NS1_11comp_targetILNS1_3genE4ELNS1_11target_archE910ELNS1_3gpuE8ELNS1_3repE0EEENS1_30default_config_static_selectorELNS0_4arch9wavefront6targetE0EEEvSR_, .Lfunc_end267-_ZN7rocprim17ROCPRIM_400000_NS6detail17trampoline_kernelINS0_14default_configENS1_32segmented_reduce_config_selectorIN3c108BFloat16EEEZNS1_21segmented_reduce_implIS3_PKS6_PS6_PKlS6_N6hipcub16HIPCUB_304000_NS6detail27convert_result_type_wrapperISA_SB_N2at6native12_GLOBAL__N_19CustomMinEEEEE10hipError_tPvRmT0_T1_jT2_SS_T4_T3_P12ihipStream_tbEUlT_E_NS1_11comp_targetILNS1_3genE4ELNS1_11target_archE910ELNS1_3gpuE8ELNS1_3repE0EEENS1_30default_config_static_selectorELNS0_4arch9wavefront6targetE0EEEvSR_
                                        ; -- End function
	.set _ZN7rocprim17ROCPRIM_400000_NS6detail17trampoline_kernelINS0_14default_configENS1_32segmented_reduce_config_selectorIN3c108BFloat16EEEZNS1_21segmented_reduce_implIS3_PKS6_PS6_PKlS6_N6hipcub16HIPCUB_304000_NS6detail27convert_result_type_wrapperISA_SB_N2at6native12_GLOBAL__N_19CustomMinEEEEE10hipError_tPvRmT0_T1_jT2_SS_T4_T3_P12ihipStream_tbEUlT_E_NS1_11comp_targetILNS1_3genE4ELNS1_11target_archE910ELNS1_3gpuE8ELNS1_3repE0EEENS1_30default_config_static_selectorELNS0_4arch9wavefront6targetE0EEEvSR_.num_vgpr, 0
	.set _ZN7rocprim17ROCPRIM_400000_NS6detail17trampoline_kernelINS0_14default_configENS1_32segmented_reduce_config_selectorIN3c108BFloat16EEEZNS1_21segmented_reduce_implIS3_PKS6_PS6_PKlS6_N6hipcub16HIPCUB_304000_NS6detail27convert_result_type_wrapperISA_SB_N2at6native12_GLOBAL__N_19CustomMinEEEEE10hipError_tPvRmT0_T1_jT2_SS_T4_T3_P12ihipStream_tbEUlT_E_NS1_11comp_targetILNS1_3genE4ELNS1_11target_archE910ELNS1_3gpuE8ELNS1_3repE0EEENS1_30default_config_static_selectorELNS0_4arch9wavefront6targetE0EEEvSR_.num_agpr, 0
	.set _ZN7rocprim17ROCPRIM_400000_NS6detail17trampoline_kernelINS0_14default_configENS1_32segmented_reduce_config_selectorIN3c108BFloat16EEEZNS1_21segmented_reduce_implIS3_PKS6_PS6_PKlS6_N6hipcub16HIPCUB_304000_NS6detail27convert_result_type_wrapperISA_SB_N2at6native12_GLOBAL__N_19CustomMinEEEEE10hipError_tPvRmT0_T1_jT2_SS_T4_T3_P12ihipStream_tbEUlT_E_NS1_11comp_targetILNS1_3genE4ELNS1_11target_archE910ELNS1_3gpuE8ELNS1_3repE0EEENS1_30default_config_static_selectorELNS0_4arch9wavefront6targetE0EEEvSR_.numbered_sgpr, 0
	.set _ZN7rocprim17ROCPRIM_400000_NS6detail17trampoline_kernelINS0_14default_configENS1_32segmented_reduce_config_selectorIN3c108BFloat16EEEZNS1_21segmented_reduce_implIS3_PKS6_PS6_PKlS6_N6hipcub16HIPCUB_304000_NS6detail27convert_result_type_wrapperISA_SB_N2at6native12_GLOBAL__N_19CustomMinEEEEE10hipError_tPvRmT0_T1_jT2_SS_T4_T3_P12ihipStream_tbEUlT_E_NS1_11comp_targetILNS1_3genE4ELNS1_11target_archE910ELNS1_3gpuE8ELNS1_3repE0EEENS1_30default_config_static_selectorELNS0_4arch9wavefront6targetE0EEEvSR_.num_named_barrier, 0
	.set _ZN7rocprim17ROCPRIM_400000_NS6detail17trampoline_kernelINS0_14default_configENS1_32segmented_reduce_config_selectorIN3c108BFloat16EEEZNS1_21segmented_reduce_implIS3_PKS6_PS6_PKlS6_N6hipcub16HIPCUB_304000_NS6detail27convert_result_type_wrapperISA_SB_N2at6native12_GLOBAL__N_19CustomMinEEEEE10hipError_tPvRmT0_T1_jT2_SS_T4_T3_P12ihipStream_tbEUlT_E_NS1_11comp_targetILNS1_3genE4ELNS1_11target_archE910ELNS1_3gpuE8ELNS1_3repE0EEENS1_30default_config_static_selectorELNS0_4arch9wavefront6targetE0EEEvSR_.private_seg_size, 0
	.set _ZN7rocprim17ROCPRIM_400000_NS6detail17trampoline_kernelINS0_14default_configENS1_32segmented_reduce_config_selectorIN3c108BFloat16EEEZNS1_21segmented_reduce_implIS3_PKS6_PS6_PKlS6_N6hipcub16HIPCUB_304000_NS6detail27convert_result_type_wrapperISA_SB_N2at6native12_GLOBAL__N_19CustomMinEEEEE10hipError_tPvRmT0_T1_jT2_SS_T4_T3_P12ihipStream_tbEUlT_E_NS1_11comp_targetILNS1_3genE4ELNS1_11target_archE910ELNS1_3gpuE8ELNS1_3repE0EEENS1_30default_config_static_selectorELNS0_4arch9wavefront6targetE0EEEvSR_.uses_vcc, 0
	.set _ZN7rocprim17ROCPRIM_400000_NS6detail17trampoline_kernelINS0_14default_configENS1_32segmented_reduce_config_selectorIN3c108BFloat16EEEZNS1_21segmented_reduce_implIS3_PKS6_PS6_PKlS6_N6hipcub16HIPCUB_304000_NS6detail27convert_result_type_wrapperISA_SB_N2at6native12_GLOBAL__N_19CustomMinEEEEE10hipError_tPvRmT0_T1_jT2_SS_T4_T3_P12ihipStream_tbEUlT_E_NS1_11comp_targetILNS1_3genE4ELNS1_11target_archE910ELNS1_3gpuE8ELNS1_3repE0EEENS1_30default_config_static_selectorELNS0_4arch9wavefront6targetE0EEEvSR_.uses_flat_scratch, 0
	.set _ZN7rocprim17ROCPRIM_400000_NS6detail17trampoline_kernelINS0_14default_configENS1_32segmented_reduce_config_selectorIN3c108BFloat16EEEZNS1_21segmented_reduce_implIS3_PKS6_PS6_PKlS6_N6hipcub16HIPCUB_304000_NS6detail27convert_result_type_wrapperISA_SB_N2at6native12_GLOBAL__N_19CustomMinEEEEE10hipError_tPvRmT0_T1_jT2_SS_T4_T3_P12ihipStream_tbEUlT_E_NS1_11comp_targetILNS1_3genE4ELNS1_11target_archE910ELNS1_3gpuE8ELNS1_3repE0EEENS1_30default_config_static_selectorELNS0_4arch9wavefront6targetE0EEEvSR_.has_dyn_sized_stack, 0
	.set _ZN7rocprim17ROCPRIM_400000_NS6detail17trampoline_kernelINS0_14default_configENS1_32segmented_reduce_config_selectorIN3c108BFloat16EEEZNS1_21segmented_reduce_implIS3_PKS6_PS6_PKlS6_N6hipcub16HIPCUB_304000_NS6detail27convert_result_type_wrapperISA_SB_N2at6native12_GLOBAL__N_19CustomMinEEEEE10hipError_tPvRmT0_T1_jT2_SS_T4_T3_P12ihipStream_tbEUlT_E_NS1_11comp_targetILNS1_3genE4ELNS1_11target_archE910ELNS1_3gpuE8ELNS1_3repE0EEENS1_30default_config_static_selectorELNS0_4arch9wavefront6targetE0EEEvSR_.has_recursion, 0
	.set _ZN7rocprim17ROCPRIM_400000_NS6detail17trampoline_kernelINS0_14default_configENS1_32segmented_reduce_config_selectorIN3c108BFloat16EEEZNS1_21segmented_reduce_implIS3_PKS6_PS6_PKlS6_N6hipcub16HIPCUB_304000_NS6detail27convert_result_type_wrapperISA_SB_N2at6native12_GLOBAL__N_19CustomMinEEEEE10hipError_tPvRmT0_T1_jT2_SS_T4_T3_P12ihipStream_tbEUlT_E_NS1_11comp_targetILNS1_3genE4ELNS1_11target_archE910ELNS1_3gpuE8ELNS1_3repE0EEENS1_30default_config_static_selectorELNS0_4arch9wavefront6targetE0EEEvSR_.has_indirect_call, 0
	.section	.AMDGPU.csdata,"",@progbits
; Kernel info:
; codeLenInByte = 0
; TotalNumSgprs: 0
; NumVgprs: 0
; ScratchSize: 0
; MemoryBound: 0
; FloatMode: 240
; IeeeMode: 1
; LDSByteSize: 0 bytes/workgroup (compile time only)
; SGPRBlocks: 0
; VGPRBlocks: 0
; NumSGPRsForWavesPerEU: 1
; NumVGPRsForWavesPerEU: 1
; Occupancy: 16
; WaveLimiterHint : 0
; COMPUTE_PGM_RSRC2:SCRATCH_EN: 0
; COMPUTE_PGM_RSRC2:USER_SGPR: 6
; COMPUTE_PGM_RSRC2:TRAP_HANDLER: 0
; COMPUTE_PGM_RSRC2:TGID_X_EN: 1
; COMPUTE_PGM_RSRC2:TGID_Y_EN: 0
; COMPUTE_PGM_RSRC2:TGID_Z_EN: 0
; COMPUTE_PGM_RSRC2:TIDIG_COMP_CNT: 0
	.section	.text._ZN7rocprim17ROCPRIM_400000_NS6detail17trampoline_kernelINS0_14default_configENS1_32segmented_reduce_config_selectorIN3c108BFloat16EEEZNS1_21segmented_reduce_implIS3_PKS6_PS6_PKlS6_N6hipcub16HIPCUB_304000_NS6detail27convert_result_type_wrapperISA_SB_N2at6native12_GLOBAL__N_19CustomMinEEEEE10hipError_tPvRmT0_T1_jT2_SS_T4_T3_P12ihipStream_tbEUlT_E_NS1_11comp_targetILNS1_3genE3ELNS1_11target_archE908ELNS1_3gpuE7ELNS1_3repE0EEENS1_30default_config_static_selectorELNS0_4arch9wavefront6targetE0EEEvSR_,"axG",@progbits,_ZN7rocprim17ROCPRIM_400000_NS6detail17trampoline_kernelINS0_14default_configENS1_32segmented_reduce_config_selectorIN3c108BFloat16EEEZNS1_21segmented_reduce_implIS3_PKS6_PS6_PKlS6_N6hipcub16HIPCUB_304000_NS6detail27convert_result_type_wrapperISA_SB_N2at6native12_GLOBAL__N_19CustomMinEEEEE10hipError_tPvRmT0_T1_jT2_SS_T4_T3_P12ihipStream_tbEUlT_E_NS1_11comp_targetILNS1_3genE3ELNS1_11target_archE908ELNS1_3gpuE7ELNS1_3repE0EEENS1_30default_config_static_selectorELNS0_4arch9wavefront6targetE0EEEvSR_,comdat
	.globl	_ZN7rocprim17ROCPRIM_400000_NS6detail17trampoline_kernelINS0_14default_configENS1_32segmented_reduce_config_selectorIN3c108BFloat16EEEZNS1_21segmented_reduce_implIS3_PKS6_PS6_PKlS6_N6hipcub16HIPCUB_304000_NS6detail27convert_result_type_wrapperISA_SB_N2at6native12_GLOBAL__N_19CustomMinEEEEE10hipError_tPvRmT0_T1_jT2_SS_T4_T3_P12ihipStream_tbEUlT_E_NS1_11comp_targetILNS1_3genE3ELNS1_11target_archE908ELNS1_3gpuE7ELNS1_3repE0EEENS1_30default_config_static_selectorELNS0_4arch9wavefront6targetE0EEEvSR_ ; -- Begin function _ZN7rocprim17ROCPRIM_400000_NS6detail17trampoline_kernelINS0_14default_configENS1_32segmented_reduce_config_selectorIN3c108BFloat16EEEZNS1_21segmented_reduce_implIS3_PKS6_PS6_PKlS6_N6hipcub16HIPCUB_304000_NS6detail27convert_result_type_wrapperISA_SB_N2at6native12_GLOBAL__N_19CustomMinEEEEE10hipError_tPvRmT0_T1_jT2_SS_T4_T3_P12ihipStream_tbEUlT_E_NS1_11comp_targetILNS1_3genE3ELNS1_11target_archE908ELNS1_3gpuE7ELNS1_3repE0EEENS1_30default_config_static_selectorELNS0_4arch9wavefront6targetE0EEEvSR_
	.p2align	8
	.type	_ZN7rocprim17ROCPRIM_400000_NS6detail17trampoline_kernelINS0_14default_configENS1_32segmented_reduce_config_selectorIN3c108BFloat16EEEZNS1_21segmented_reduce_implIS3_PKS6_PS6_PKlS6_N6hipcub16HIPCUB_304000_NS6detail27convert_result_type_wrapperISA_SB_N2at6native12_GLOBAL__N_19CustomMinEEEEE10hipError_tPvRmT0_T1_jT2_SS_T4_T3_P12ihipStream_tbEUlT_E_NS1_11comp_targetILNS1_3genE3ELNS1_11target_archE908ELNS1_3gpuE7ELNS1_3repE0EEENS1_30default_config_static_selectorELNS0_4arch9wavefront6targetE0EEEvSR_,@function
_ZN7rocprim17ROCPRIM_400000_NS6detail17trampoline_kernelINS0_14default_configENS1_32segmented_reduce_config_selectorIN3c108BFloat16EEEZNS1_21segmented_reduce_implIS3_PKS6_PS6_PKlS6_N6hipcub16HIPCUB_304000_NS6detail27convert_result_type_wrapperISA_SB_N2at6native12_GLOBAL__N_19CustomMinEEEEE10hipError_tPvRmT0_T1_jT2_SS_T4_T3_P12ihipStream_tbEUlT_E_NS1_11comp_targetILNS1_3genE3ELNS1_11target_archE908ELNS1_3gpuE7ELNS1_3repE0EEENS1_30default_config_static_selectorELNS0_4arch9wavefront6targetE0EEEvSR_: ; @_ZN7rocprim17ROCPRIM_400000_NS6detail17trampoline_kernelINS0_14default_configENS1_32segmented_reduce_config_selectorIN3c108BFloat16EEEZNS1_21segmented_reduce_implIS3_PKS6_PS6_PKlS6_N6hipcub16HIPCUB_304000_NS6detail27convert_result_type_wrapperISA_SB_N2at6native12_GLOBAL__N_19CustomMinEEEEE10hipError_tPvRmT0_T1_jT2_SS_T4_T3_P12ihipStream_tbEUlT_E_NS1_11comp_targetILNS1_3genE3ELNS1_11target_archE908ELNS1_3gpuE7ELNS1_3repE0EEENS1_30default_config_static_selectorELNS0_4arch9wavefront6targetE0EEEvSR_
; %bb.0:
	.section	.rodata,"a",@progbits
	.p2align	6, 0x0
	.amdhsa_kernel _ZN7rocprim17ROCPRIM_400000_NS6detail17trampoline_kernelINS0_14default_configENS1_32segmented_reduce_config_selectorIN3c108BFloat16EEEZNS1_21segmented_reduce_implIS3_PKS6_PS6_PKlS6_N6hipcub16HIPCUB_304000_NS6detail27convert_result_type_wrapperISA_SB_N2at6native12_GLOBAL__N_19CustomMinEEEEE10hipError_tPvRmT0_T1_jT2_SS_T4_T3_P12ihipStream_tbEUlT_E_NS1_11comp_targetILNS1_3genE3ELNS1_11target_archE908ELNS1_3gpuE7ELNS1_3repE0EEENS1_30default_config_static_selectorELNS0_4arch9wavefront6targetE0EEEvSR_
		.amdhsa_group_segment_fixed_size 0
		.amdhsa_private_segment_fixed_size 0
		.amdhsa_kernarg_size 48
		.amdhsa_user_sgpr_count 6
		.amdhsa_user_sgpr_private_segment_buffer 1
		.amdhsa_user_sgpr_dispatch_ptr 0
		.amdhsa_user_sgpr_queue_ptr 0
		.amdhsa_user_sgpr_kernarg_segment_ptr 1
		.amdhsa_user_sgpr_dispatch_id 0
		.amdhsa_user_sgpr_flat_scratch_init 0
		.amdhsa_user_sgpr_private_segment_size 0
		.amdhsa_wavefront_size32 1
		.amdhsa_uses_dynamic_stack 0
		.amdhsa_system_sgpr_private_segment_wavefront_offset 0
		.amdhsa_system_sgpr_workgroup_id_x 1
		.amdhsa_system_sgpr_workgroup_id_y 0
		.amdhsa_system_sgpr_workgroup_id_z 0
		.amdhsa_system_sgpr_workgroup_info 0
		.amdhsa_system_vgpr_workitem_id 0
		.amdhsa_next_free_vgpr 1
		.amdhsa_next_free_sgpr 1
		.amdhsa_reserve_vcc 0
		.amdhsa_reserve_flat_scratch 0
		.amdhsa_float_round_mode_32 0
		.amdhsa_float_round_mode_16_64 0
		.amdhsa_float_denorm_mode_32 3
		.amdhsa_float_denorm_mode_16_64 3
		.amdhsa_dx10_clamp 1
		.amdhsa_ieee_mode 1
		.amdhsa_fp16_overflow 0
		.amdhsa_workgroup_processor_mode 1
		.amdhsa_memory_ordered 1
		.amdhsa_forward_progress 1
		.amdhsa_shared_vgpr_count 0
		.amdhsa_exception_fp_ieee_invalid_op 0
		.amdhsa_exception_fp_denorm_src 0
		.amdhsa_exception_fp_ieee_div_zero 0
		.amdhsa_exception_fp_ieee_overflow 0
		.amdhsa_exception_fp_ieee_underflow 0
		.amdhsa_exception_fp_ieee_inexact 0
		.amdhsa_exception_int_div_zero 0
	.end_amdhsa_kernel
	.section	.text._ZN7rocprim17ROCPRIM_400000_NS6detail17trampoline_kernelINS0_14default_configENS1_32segmented_reduce_config_selectorIN3c108BFloat16EEEZNS1_21segmented_reduce_implIS3_PKS6_PS6_PKlS6_N6hipcub16HIPCUB_304000_NS6detail27convert_result_type_wrapperISA_SB_N2at6native12_GLOBAL__N_19CustomMinEEEEE10hipError_tPvRmT0_T1_jT2_SS_T4_T3_P12ihipStream_tbEUlT_E_NS1_11comp_targetILNS1_3genE3ELNS1_11target_archE908ELNS1_3gpuE7ELNS1_3repE0EEENS1_30default_config_static_selectorELNS0_4arch9wavefront6targetE0EEEvSR_,"axG",@progbits,_ZN7rocprim17ROCPRIM_400000_NS6detail17trampoline_kernelINS0_14default_configENS1_32segmented_reduce_config_selectorIN3c108BFloat16EEEZNS1_21segmented_reduce_implIS3_PKS6_PS6_PKlS6_N6hipcub16HIPCUB_304000_NS6detail27convert_result_type_wrapperISA_SB_N2at6native12_GLOBAL__N_19CustomMinEEEEE10hipError_tPvRmT0_T1_jT2_SS_T4_T3_P12ihipStream_tbEUlT_E_NS1_11comp_targetILNS1_3genE3ELNS1_11target_archE908ELNS1_3gpuE7ELNS1_3repE0EEENS1_30default_config_static_selectorELNS0_4arch9wavefront6targetE0EEEvSR_,comdat
.Lfunc_end268:
	.size	_ZN7rocprim17ROCPRIM_400000_NS6detail17trampoline_kernelINS0_14default_configENS1_32segmented_reduce_config_selectorIN3c108BFloat16EEEZNS1_21segmented_reduce_implIS3_PKS6_PS6_PKlS6_N6hipcub16HIPCUB_304000_NS6detail27convert_result_type_wrapperISA_SB_N2at6native12_GLOBAL__N_19CustomMinEEEEE10hipError_tPvRmT0_T1_jT2_SS_T4_T3_P12ihipStream_tbEUlT_E_NS1_11comp_targetILNS1_3genE3ELNS1_11target_archE908ELNS1_3gpuE7ELNS1_3repE0EEENS1_30default_config_static_selectorELNS0_4arch9wavefront6targetE0EEEvSR_, .Lfunc_end268-_ZN7rocprim17ROCPRIM_400000_NS6detail17trampoline_kernelINS0_14default_configENS1_32segmented_reduce_config_selectorIN3c108BFloat16EEEZNS1_21segmented_reduce_implIS3_PKS6_PS6_PKlS6_N6hipcub16HIPCUB_304000_NS6detail27convert_result_type_wrapperISA_SB_N2at6native12_GLOBAL__N_19CustomMinEEEEE10hipError_tPvRmT0_T1_jT2_SS_T4_T3_P12ihipStream_tbEUlT_E_NS1_11comp_targetILNS1_3genE3ELNS1_11target_archE908ELNS1_3gpuE7ELNS1_3repE0EEENS1_30default_config_static_selectorELNS0_4arch9wavefront6targetE0EEEvSR_
                                        ; -- End function
	.set _ZN7rocprim17ROCPRIM_400000_NS6detail17trampoline_kernelINS0_14default_configENS1_32segmented_reduce_config_selectorIN3c108BFloat16EEEZNS1_21segmented_reduce_implIS3_PKS6_PS6_PKlS6_N6hipcub16HIPCUB_304000_NS6detail27convert_result_type_wrapperISA_SB_N2at6native12_GLOBAL__N_19CustomMinEEEEE10hipError_tPvRmT0_T1_jT2_SS_T4_T3_P12ihipStream_tbEUlT_E_NS1_11comp_targetILNS1_3genE3ELNS1_11target_archE908ELNS1_3gpuE7ELNS1_3repE0EEENS1_30default_config_static_selectorELNS0_4arch9wavefront6targetE0EEEvSR_.num_vgpr, 0
	.set _ZN7rocprim17ROCPRIM_400000_NS6detail17trampoline_kernelINS0_14default_configENS1_32segmented_reduce_config_selectorIN3c108BFloat16EEEZNS1_21segmented_reduce_implIS3_PKS6_PS6_PKlS6_N6hipcub16HIPCUB_304000_NS6detail27convert_result_type_wrapperISA_SB_N2at6native12_GLOBAL__N_19CustomMinEEEEE10hipError_tPvRmT0_T1_jT2_SS_T4_T3_P12ihipStream_tbEUlT_E_NS1_11comp_targetILNS1_3genE3ELNS1_11target_archE908ELNS1_3gpuE7ELNS1_3repE0EEENS1_30default_config_static_selectorELNS0_4arch9wavefront6targetE0EEEvSR_.num_agpr, 0
	.set _ZN7rocprim17ROCPRIM_400000_NS6detail17trampoline_kernelINS0_14default_configENS1_32segmented_reduce_config_selectorIN3c108BFloat16EEEZNS1_21segmented_reduce_implIS3_PKS6_PS6_PKlS6_N6hipcub16HIPCUB_304000_NS6detail27convert_result_type_wrapperISA_SB_N2at6native12_GLOBAL__N_19CustomMinEEEEE10hipError_tPvRmT0_T1_jT2_SS_T4_T3_P12ihipStream_tbEUlT_E_NS1_11comp_targetILNS1_3genE3ELNS1_11target_archE908ELNS1_3gpuE7ELNS1_3repE0EEENS1_30default_config_static_selectorELNS0_4arch9wavefront6targetE0EEEvSR_.numbered_sgpr, 0
	.set _ZN7rocprim17ROCPRIM_400000_NS6detail17trampoline_kernelINS0_14default_configENS1_32segmented_reduce_config_selectorIN3c108BFloat16EEEZNS1_21segmented_reduce_implIS3_PKS6_PS6_PKlS6_N6hipcub16HIPCUB_304000_NS6detail27convert_result_type_wrapperISA_SB_N2at6native12_GLOBAL__N_19CustomMinEEEEE10hipError_tPvRmT0_T1_jT2_SS_T4_T3_P12ihipStream_tbEUlT_E_NS1_11comp_targetILNS1_3genE3ELNS1_11target_archE908ELNS1_3gpuE7ELNS1_3repE0EEENS1_30default_config_static_selectorELNS0_4arch9wavefront6targetE0EEEvSR_.num_named_barrier, 0
	.set _ZN7rocprim17ROCPRIM_400000_NS6detail17trampoline_kernelINS0_14default_configENS1_32segmented_reduce_config_selectorIN3c108BFloat16EEEZNS1_21segmented_reduce_implIS3_PKS6_PS6_PKlS6_N6hipcub16HIPCUB_304000_NS6detail27convert_result_type_wrapperISA_SB_N2at6native12_GLOBAL__N_19CustomMinEEEEE10hipError_tPvRmT0_T1_jT2_SS_T4_T3_P12ihipStream_tbEUlT_E_NS1_11comp_targetILNS1_3genE3ELNS1_11target_archE908ELNS1_3gpuE7ELNS1_3repE0EEENS1_30default_config_static_selectorELNS0_4arch9wavefront6targetE0EEEvSR_.private_seg_size, 0
	.set _ZN7rocprim17ROCPRIM_400000_NS6detail17trampoline_kernelINS0_14default_configENS1_32segmented_reduce_config_selectorIN3c108BFloat16EEEZNS1_21segmented_reduce_implIS3_PKS6_PS6_PKlS6_N6hipcub16HIPCUB_304000_NS6detail27convert_result_type_wrapperISA_SB_N2at6native12_GLOBAL__N_19CustomMinEEEEE10hipError_tPvRmT0_T1_jT2_SS_T4_T3_P12ihipStream_tbEUlT_E_NS1_11comp_targetILNS1_3genE3ELNS1_11target_archE908ELNS1_3gpuE7ELNS1_3repE0EEENS1_30default_config_static_selectorELNS0_4arch9wavefront6targetE0EEEvSR_.uses_vcc, 0
	.set _ZN7rocprim17ROCPRIM_400000_NS6detail17trampoline_kernelINS0_14default_configENS1_32segmented_reduce_config_selectorIN3c108BFloat16EEEZNS1_21segmented_reduce_implIS3_PKS6_PS6_PKlS6_N6hipcub16HIPCUB_304000_NS6detail27convert_result_type_wrapperISA_SB_N2at6native12_GLOBAL__N_19CustomMinEEEEE10hipError_tPvRmT0_T1_jT2_SS_T4_T3_P12ihipStream_tbEUlT_E_NS1_11comp_targetILNS1_3genE3ELNS1_11target_archE908ELNS1_3gpuE7ELNS1_3repE0EEENS1_30default_config_static_selectorELNS0_4arch9wavefront6targetE0EEEvSR_.uses_flat_scratch, 0
	.set _ZN7rocprim17ROCPRIM_400000_NS6detail17trampoline_kernelINS0_14default_configENS1_32segmented_reduce_config_selectorIN3c108BFloat16EEEZNS1_21segmented_reduce_implIS3_PKS6_PS6_PKlS6_N6hipcub16HIPCUB_304000_NS6detail27convert_result_type_wrapperISA_SB_N2at6native12_GLOBAL__N_19CustomMinEEEEE10hipError_tPvRmT0_T1_jT2_SS_T4_T3_P12ihipStream_tbEUlT_E_NS1_11comp_targetILNS1_3genE3ELNS1_11target_archE908ELNS1_3gpuE7ELNS1_3repE0EEENS1_30default_config_static_selectorELNS0_4arch9wavefront6targetE0EEEvSR_.has_dyn_sized_stack, 0
	.set _ZN7rocprim17ROCPRIM_400000_NS6detail17trampoline_kernelINS0_14default_configENS1_32segmented_reduce_config_selectorIN3c108BFloat16EEEZNS1_21segmented_reduce_implIS3_PKS6_PS6_PKlS6_N6hipcub16HIPCUB_304000_NS6detail27convert_result_type_wrapperISA_SB_N2at6native12_GLOBAL__N_19CustomMinEEEEE10hipError_tPvRmT0_T1_jT2_SS_T4_T3_P12ihipStream_tbEUlT_E_NS1_11comp_targetILNS1_3genE3ELNS1_11target_archE908ELNS1_3gpuE7ELNS1_3repE0EEENS1_30default_config_static_selectorELNS0_4arch9wavefront6targetE0EEEvSR_.has_recursion, 0
	.set _ZN7rocprim17ROCPRIM_400000_NS6detail17trampoline_kernelINS0_14default_configENS1_32segmented_reduce_config_selectorIN3c108BFloat16EEEZNS1_21segmented_reduce_implIS3_PKS6_PS6_PKlS6_N6hipcub16HIPCUB_304000_NS6detail27convert_result_type_wrapperISA_SB_N2at6native12_GLOBAL__N_19CustomMinEEEEE10hipError_tPvRmT0_T1_jT2_SS_T4_T3_P12ihipStream_tbEUlT_E_NS1_11comp_targetILNS1_3genE3ELNS1_11target_archE908ELNS1_3gpuE7ELNS1_3repE0EEENS1_30default_config_static_selectorELNS0_4arch9wavefront6targetE0EEEvSR_.has_indirect_call, 0
	.section	.AMDGPU.csdata,"",@progbits
; Kernel info:
; codeLenInByte = 0
; TotalNumSgprs: 0
; NumVgprs: 0
; ScratchSize: 0
; MemoryBound: 0
; FloatMode: 240
; IeeeMode: 1
; LDSByteSize: 0 bytes/workgroup (compile time only)
; SGPRBlocks: 0
; VGPRBlocks: 0
; NumSGPRsForWavesPerEU: 1
; NumVGPRsForWavesPerEU: 1
; Occupancy: 16
; WaveLimiterHint : 0
; COMPUTE_PGM_RSRC2:SCRATCH_EN: 0
; COMPUTE_PGM_RSRC2:USER_SGPR: 6
; COMPUTE_PGM_RSRC2:TRAP_HANDLER: 0
; COMPUTE_PGM_RSRC2:TGID_X_EN: 1
; COMPUTE_PGM_RSRC2:TGID_Y_EN: 0
; COMPUTE_PGM_RSRC2:TGID_Z_EN: 0
; COMPUTE_PGM_RSRC2:TIDIG_COMP_CNT: 0
	.section	.text._ZN7rocprim17ROCPRIM_400000_NS6detail17trampoline_kernelINS0_14default_configENS1_32segmented_reduce_config_selectorIN3c108BFloat16EEEZNS1_21segmented_reduce_implIS3_PKS6_PS6_PKlS6_N6hipcub16HIPCUB_304000_NS6detail27convert_result_type_wrapperISA_SB_N2at6native12_GLOBAL__N_19CustomMinEEEEE10hipError_tPvRmT0_T1_jT2_SS_T4_T3_P12ihipStream_tbEUlT_E_NS1_11comp_targetILNS1_3genE2ELNS1_11target_archE906ELNS1_3gpuE6ELNS1_3repE0EEENS1_30default_config_static_selectorELNS0_4arch9wavefront6targetE0EEEvSR_,"axG",@progbits,_ZN7rocprim17ROCPRIM_400000_NS6detail17trampoline_kernelINS0_14default_configENS1_32segmented_reduce_config_selectorIN3c108BFloat16EEEZNS1_21segmented_reduce_implIS3_PKS6_PS6_PKlS6_N6hipcub16HIPCUB_304000_NS6detail27convert_result_type_wrapperISA_SB_N2at6native12_GLOBAL__N_19CustomMinEEEEE10hipError_tPvRmT0_T1_jT2_SS_T4_T3_P12ihipStream_tbEUlT_E_NS1_11comp_targetILNS1_3genE2ELNS1_11target_archE906ELNS1_3gpuE6ELNS1_3repE0EEENS1_30default_config_static_selectorELNS0_4arch9wavefront6targetE0EEEvSR_,comdat
	.globl	_ZN7rocprim17ROCPRIM_400000_NS6detail17trampoline_kernelINS0_14default_configENS1_32segmented_reduce_config_selectorIN3c108BFloat16EEEZNS1_21segmented_reduce_implIS3_PKS6_PS6_PKlS6_N6hipcub16HIPCUB_304000_NS6detail27convert_result_type_wrapperISA_SB_N2at6native12_GLOBAL__N_19CustomMinEEEEE10hipError_tPvRmT0_T1_jT2_SS_T4_T3_P12ihipStream_tbEUlT_E_NS1_11comp_targetILNS1_3genE2ELNS1_11target_archE906ELNS1_3gpuE6ELNS1_3repE0EEENS1_30default_config_static_selectorELNS0_4arch9wavefront6targetE0EEEvSR_ ; -- Begin function _ZN7rocprim17ROCPRIM_400000_NS6detail17trampoline_kernelINS0_14default_configENS1_32segmented_reduce_config_selectorIN3c108BFloat16EEEZNS1_21segmented_reduce_implIS3_PKS6_PS6_PKlS6_N6hipcub16HIPCUB_304000_NS6detail27convert_result_type_wrapperISA_SB_N2at6native12_GLOBAL__N_19CustomMinEEEEE10hipError_tPvRmT0_T1_jT2_SS_T4_T3_P12ihipStream_tbEUlT_E_NS1_11comp_targetILNS1_3genE2ELNS1_11target_archE906ELNS1_3gpuE6ELNS1_3repE0EEENS1_30default_config_static_selectorELNS0_4arch9wavefront6targetE0EEEvSR_
	.p2align	8
	.type	_ZN7rocprim17ROCPRIM_400000_NS6detail17trampoline_kernelINS0_14default_configENS1_32segmented_reduce_config_selectorIN3c108BFloat16EEEZNS1_21segmented_reduce_implIS3_PKS6_PS6_PKlS6_N6hipcub16HIPCUB_304000_NS6detail27convert_result_type_wrapperISA_SB_N2at6native12_GLOBAL__N_19CustomMinEEEEE10hipError_tPvRmT0_T1_jT2_SS_T4_T3_P12ihipStream_tbEUlT_E_NS1_11comp_targetILNS1_3genE2ELNS1_11target_archE906ELNS1_3gpuE6ELNS1_3repE0EEENS1_30default_config_static_selectorELNS0_4arch9wavefront6targetE0EEEvSR_,@function
_ZN7rocprim17ROCPRIM_400000_NS6detail17trampoline_kernelINS0_14default_configENS1_32segmented_reduce_config_selectorIN3c108BFloat16EEEZNS1_21segmented_reduce_implIS3_PKS6_PS6_PKlS6_N6hipcub16HIPCUB_304000_NS6detail27convert_result_type_wrapperISA_SB_N2at6native12_GLOBAL__N_19CustomMinEEEEE10hipError_tPvRmT0_T1_jT2_SS_T4_T3_P12ihipStream_tbEUlT_E_NS1_11comp_targetILNS1_3genE2ELNS1_11target_archE906ELNS1_3gpuE6ELNS1_3repE0EEENS1_30default_config_static_selectorELNS0_4arch9wavefront6targetE0EEEvSR_: ; @_ZN7rocprim17ROCPRIM_400000_NS6detail17trampoline_kernelINS0_14default_configENS1_32segmented_reduce_config_selectorIN3c108BFloat16EEEZNS1_21segmented_reduce_implIS3_PKS6_PS6_PKlS6_N6hipcub16HIPCUB_304000_NS6detail27convert_result_type_wrapperISA_SB_N2at6native12_GLOBAL__N_19CustomMinEEEEE10hipError_tPvRmT0_T1_jT2_SS_T4_T3_P12ihipStream_tbEUlT_E_NS1_11comp_targetILNS1_3genE2ELNS1_11target_archE906ELNS1_3gpuE6ELNS1_3repE0EEENS1_30default_config_static_selectorELNS0_4arch9wavefront6targetE0EEEvSR_
; %bb.0:
	.section	.rodata,"a",@progbits
	.p2align	6, 0x0
	.amdhsa_kernel _ZN7rocprim17ROCPRIM_400000_NS6detail17trampoline_kernelINS0_14default_configENS1_32segmented_reduce_config_selectorIN3c108BFloat16EEEZNS1_21segmented_reduce_implIS3_PKS6_PS6_PKlS6_N6hipcub16HIPCUB_304000_NS6detail27convert_result_type_wrapperISA_SB_N2at6native12_GLOBAL__N_19CustomMinEEEEE10hipError_tPvRmT0_T1_jT2_SS_T4_T3_P12ihipStream_tbEUlT_E_NS1_11comp_targetILNS1_3genE2ELNS1_11target_archE906ELNS1_3gpuE6ELNS1_3repE0EEENS1_30default_config_static_selectorELNS0_4arch9wavefront6targetE0EEEvSR_
		.amdhsa_group_segment_fixed_size 0
		.amdhsa_private_segment_fixed_size 0
		.amdhsa_kernarg_size 48
		.amdhsa_user_sgpr_count 6
		.amdhsa_user_sgpr_private_segment_buffer 1
		.amdhsa_user_sgpr_dispatch_ptr 0
		.amdhsa_user_sgpr_queue_ptr 0
		.amdhsa_user_sgpr_kernarg_segment_ptr 1
		.amdhsa_user_sgpr_dispatch_id 0
		.amdhsa_user_sgpr_flat_scratch_init 0
		.amdhsa_user_sgpr_private_segment_size 0
		.amdhsa_wavefront_size32 1
		.amdhsa_uses_dynamic_stack 0
		.amdhsa_system_sgpr_private_segment_wavefront_offset 0
		.amdhsa_system_sgpr_workgroup_id_x 1
		.amdhsa_system_sgpr_workgroup_id_y 0
		.amdhsa_system_sgpr_workgroup_id_z 0
		.amdhsa_system_sgpr_workgroup_info 0
		.amdhsa_system_vgpr_workitem_id 0
		.amdhsa_next_free_vgpr 1
		.amdhsa_next_free_sgpr 1
		.amdhsa_reserve_vcc 0
		.amdhsa_reserve_flat_scratch 0
		.amdhsa_float_round_mode_32 0
		.amdhsa_float_round_mode_16_64 0
		.amdhsa_float_denorm_mode_32 3
		.amdhsa_float_denorm_mode_16_64 3
		.amdhsa_dx10_clamp 1
		.amdhsa_ieee_mode 1
		.amdhsa_fp16_overflow 0
		.amdhsa_workgroup_processor_mode 1
		.amdhsa_memory_ordered 1
		.amdhsa_forward_progress 1
		.amdhsa_shared_vgpr_count 0
		.amdhsa_exception_fp_ieee_invalid_op 0
		.amdhsa_exception_fp_denorm_src 0
		.amdhsa_exception_fp_ieee_div_zero 0
		.amdhsa_exception_fp_ieee_overflow 0
		.amdhsa_exception_fp_ieee_underflow 0
		.amdhsa_exception_fp_ieee_inexact 0
		.amdhsa_exception_int_div_zero 0
	.end_amdhsa_kernel
	.section	.text._ZN7rocprim17ROCPRIM_400000_NS6detail17trampoline_kernelINS0_14default_configENS1_32segmented_reduce_config_selectorIN3c108BFloat16EEEZNS1_21segmented_reduce_implIS3_PKS6_PS6_PKlS6_N6hipcub16HIPCUB_304000_NS6detail27convert_result_type_wrapperISA_SB_N2at6native12_GLOBAL__N_19CustomMinEEEEE10hipError_tPvRmT0_T1_jT2_SS_T4_T3_P12ihipStream_tbEUlT_E_NS1_11comp_targetILNS1_3genE2ELNS1_11target_archE906ELNS1_3gpuE6ELNS1_3repE0EEENS1_30default_config_static_selectorELNS0_4arch9wavefront6targetE0EEEvSR_,"axG",@progbits,_ZN7rocprim17ROCPRIM_400000_NS6detail17trampoline_kernelINS0_14default_configENS1_32segmented_reduce_config_selectorIN3c108BFloat16EEEZNS1_21segmented_reduce_implIS3_PKS6_PS6_PKlS6_N6hipcub16HIPCUB_304000_NS6detail27convert_result_type_wrapperISA_SB_N2at6native12_GLOBAL__N_19CustomMinEEEEE10hipError_tPvRmT0_T1_jT2_SS_T4_T3_P12ihipStream_tbEUlT_E_NS1_11comp_targetILNS1_3genE2ELNS1_11target_archE906ELNS1_3gpuE6ELNS1_3repE0EEENS1_30default_config_static_selectorELNS0_4arch9wavefront6targetE0EEEvSR_,comdat
.Lfunc_end269:
	.size	_ZN7rocprim17ROCPRIM_400000_NS6detail17trampoline_kernelINS0_14default_configENS1_32segmented_reduce_config_selectorIN3c108BFloat16EEEZNS1_21segmented_reduce_implIS3_PKS6_PS6_PKlS6_N6hipcub16HIPCUB_304000_NS6detail27convert_result_type_wrapperISA_SB_N2at6native12_GLOBAL__N_19CustomMinEEEEE10hipError_tPvRmT0_T1_jT2_SS_T4_T3_P12ihipStream_tbEUlT_E_NS1_11comp_targetILNS1_3genE2ELNS1_11target_archE906ELNS1_3gpuE6ELNS1_3repE0EEENS1_30default_config_static_selectorELNS0_4arch9wavefront6targetE0EEEvSR_, .Lfunc_end269-_ZN7rocprim17ROCPRIM_400000_NS6detail17trampoline_kernelINS0_14default_configENS1_32segmented_reduce_config_selectorIN3c108BFloat16EEEZNS1_21segmented_reduce_implIS3_PKS6_PS6_PKlS6_N6hipcub16HIPCUB_304000_NS6detail27convert_result_type_wrapperISA_SB_N2at6native12_GLOBAL__N_19CustomMinEEEEE10hipError_tPvRmT0_T1_jT2_SS_T4_T3_P12ihipStream_tbEUlT_E_NS1_11comp_targetILNS1_3genE2ELNS1_11target_archE906ELNS1_3gpuE6ELNS1_3repE0EEENS1_30default_config_static_selectorELNS0_4arch9wavefront6targetE0EEEvSR_
                                        ; -- End function
	.set _ZN7rocprim17ROCPRIM_400000_NS6detail17trampoline_kernelINS0_14default_configENS1_32segmented_reduce_config_selectorIN3c108BFloat16EEEZNS1_21segmented_reduce_implIS3_PKS6_PS6_PKlS6_N6hipcub16HIPCUB_304000_NS6detail27convert_result_type_wrapperISA_SB_N2at6native12_GLOBAL__N_19CustomMinEEEEE10hipError_tPvRmT0_T1_jT2_SS_T4_T3_P12ihipStream_tbEUlT_E_NS1_11comp_targetILNS1_3genE2ELNS1_11target_archE906ELNS1_3gpuE6ELNS1_3repE0EEENS1_30default_config_static_selectorELNS0_4arch9wavefront6targetE0EEEvSR_.num_vgpr, 0
	.set _ZN7rocprim17ROCPRIM_400000_NS6detail17trampoline_kernelINS0_14default_configENS1_32segmented_reduce_config_selectorIN3c108BFloat16EEEZNS1_21segmented_reduce_implIS3_PKS6_PS6_PKlS6_N6hipcub16HIPCUB_304000_NS6detail27convert_result_type_wrapperISA_SB_N2at6native12_GLOBAL__N_19CustomMinEEEEE10hipError_tPvRmT0_T1_jT2_SS_T4_T3_P12ihipStream_tbEUlT_E_NS1_11comp_targetILNS1_3genE2ELNS1_11target_archE906ELNS1_3gpuE6ELNS1_3repE0EEENS1_30default_config_static_selectorELNS0_4arch9wavefront6targetE0EEEvSR_.num_agpr, 0
	.set _ZN7rocprim17ROCPRIM_400000_NS6detail17trampoline_kernelINS0_14default_configENS1_32segmented_reduce_config_selectorIN3c108BFloat16EEEZNS1_21segmented_reduce_implIS3_PKS6_PS6_PKlS6_N6hipcub16HIPCUB_304000_NS6detail27convert_result_type_wrapperISA_SB_N2at6native12_GLOBAL__N_19CustomMinEEEEE10hipError_tPvRmT0_T1_jT2_SS_T4_T3_P12ihipStream_tbEUlT_E_NS1_11comp_targetILNS1_3genE2ELNS1_11target_archE906ELNS1_3gpuE6ELNS1_3repE0EEENS1_30default_config_static_selectorELNS0_4arch9wavefront6targetE0EEEvSR_.numbered_sgpr, 0
	.set _ZN7rocprim17ROCPRIM_400000_NS6detail17trampoline_kernelINS0_14default_configENS1_32segmented_reduce_config_selectorIN3c108BFloat16EEEZNS1_21segmented_reduce_implIS3_PKS6_PS6_PKlS6_N6hipcub16HIPCUB_304000_NS6detail27convert_result_type_wrapperISA_SB_N2at6native12_GLOBAL__N_19CustomMinEEEEE10hipError_tPvRmT0_T1_jT2_SS_T4_T3_P12ihipStream_tbEUlT_E_NS1_11comp_targetILNS1_3genE2ELNS1_11target_archE906ELNS1_3gpuE6ELNS1_3repE0EEENS1_30default_config_static_selectorELNS0_4arch9wavefront6targetE0EEEvSR_.num_named_barrier, 0
	.set _ZN7rocprim17ROCPRIM_400000_NS6detail17trampoline_kernelINS0_14default_configENS1_32segmented_reduce_config_selectorIN3c108BFloat16EEEZNS1_21segmented_reduce_implIS3_PKS6_PS6_PKlS6_N6hipcub16HIPCUB_304000_NS6detail27convert_result_type_wrapperISA_SB_N2at6native12_GLOBAL__N_19CustomMinEEEEE10hipError_tPvRmT0_T1_jT2_SS_T4_T3_P12ihipStream_tbEUlT_E_NS1_11comp_targetILNS1_3genE2ELNS1_11target_archE906ELNS1_3gpuE6ELNS1_3repE0EEENS1_30default_config_static_selectorELNS0_4arch9wavefront6targetE0EEEvSR_.private_seg_size, 0
	.set _ZN7rocprim17ROCPRIM_400000_NS6detail17trampoline_kernelINS0_14default_configENS1_32segmented_reduce_config_selectorIN3c108BFloat16EEEZNS1_21segmented_reduce_implIS3_PKS6_PS6_PKlS6_N6hipcub16HIPCUB_304000_NS6detail27convert_result_type_wrapperISA_SB_N2at6native12_GLOBAL__N_19CustomMinEEEEE10hipError_tPvRmT0_T1_jT2_SS_T4_T3_P12ihipStream_tbEUlT_E_NS1_11comp_targetILNS1_3genE2ELNS1_11target_archE906ELNS1_3gpuE6ELNS1_3repE0EEENS1_30default_config_static_selectorELNS0_4arch9wavefront6targetE0EEEvSR_.uses_vcc, 0
	.set _ZN7rocprim17ROCPRIM_400000_NS6detail17trampoline_kernelINS0_14default_configENS1_32segmented_reduce_config_selectorIN3c108BFloat16EEEZNS1_21segmented_reduce_implIS3_PKS6_PS6_PKlS6_N6hipcub16HIPCUB_304000_NS6detail27convert_result_type_wrapperISA_SB_N2at6native12_GLOBAL__N_19CustomMinEEEEE10hipError_tPvRmT0_T1_jT2_SS_T4_T3_P12ihipStream_tbEUlT_E_NS1_11comp_targetILNS1_3genE2ELNS1_11target_archE906ELNS1_3gpuE6ELNS1_3repE0EEENS1_30default_config_static_selectorELNS0_4arch9wavefront6targetE0EEEvSR_.uses_flat_scratch, 0
	.set _ZN7rocprim17ROCPRIM_400000_NS6detail17trampoline_kernelINS0_14default_configENS1_32segmented_reduce_config_selectorIN3c108BFloat16EEEZNS1_21segmented_reduce_implIS3_PKS6_PS6_PKlS6_N6hipcub16HIPCUB_304000_NS6detail27convert_result_type_wrapperISA_SB_N2at6native12_GLOBAL__N_19CustomMinEEEEE10hipError_tPvRmT0_T1_jT2_SS_T4_T3_P12ihipStream_tbEUlT_E_NS1_11comp_targetILNS1_3genE2ELNS1_11target_archE906ELNS1_3gpuE6ELNS1_3repE0EEENS1_30default_config_static_selectorELNS0_4arch9wavefront6targetE0EEEvSR_.has_dyn_sized_stack, 0
	.set _ZN7rocprim17ROCPRIM_400000_NS6detail17trampoline_kernelINS0_14default_configENS1_32segmented_reduce_config_selectorIN3c108BFloat16EEEZNS1_21segmented_reduce_implIS3_PKS6_PS6_PKlS6_N6hipcub16HIPCUB_304000_NS6detail27convert_result_type_wrapperISA_SB_N2at6native12_GLOBAL__N_19CustomMinEEEEE10hipError_tPvRmT0_T1_jT2_SS_T4_T3_P12ihipStream_tbEUlT_E_NS1_11comp_targetILNS1_3genE2ELNS1_11target_archE906ELNS1_3gpuE6ELNS1_3repE0EEENS1_30default_config_static_selectorELNS0_4arch9wavefront6targetE0EEEvSR_.has_recursion, 0
	.set _ZN7rocprim17ROCPRIM_400000_NS6detail17trampoline_kernelINS0_14default_configENS1_32segmented_reduce_config_selectorIN3c108BFloat16EEEZNS1_21segmented_reduce_implIS3_PKS6_PS6_PKlS6_N6hipcub16HIPCUB_304000_NS6detail27convert_result_type_wrapperISA_SB_N2at6native12_GLOBAL__N_19CustomMinEEEEE10hipError_tPvRmT0_T1_jT2_SS_T4_T3_P12ihipStream_tbEUlT_E_NS1_11comp_targetILNS1_3genE2ELNS1_11target_archE906ELNS1_3gpuE6ELNS1_3repE0EEENS1_30default_config_static_selectorELNS0_4arch9wavefront6targetE0EEEvSR_.has_indirect_call, 0
	.section	.AMDGPU.csdata,"",@progbits
; Kernel info:
; codeLenInByte = 0
; TotalNumSgprs: 0
; NumVgprs: 0
; ScratchSize: 0
; MemoryBound: 0
; FloatMode: 240
; IeeeMode: 1
; LDSByteSize: 0 bytes/workgroup (compile time only)
; SGPRBlocks: 0
; VGPRBlocks: 0
; NumSGPRsForWavesPerEU: 1
; NumVGPRsForWavesPerEU: 1
; Occupancy: 16
; WaveLimiterHint : 0
; COMPUTE_PGM_RSRC2:SCRATCH_EN: 0
; COMPUTE_PGM_RSRC2:USER_SGPR: 6
; COMPUTE_PGM_RSRC2:TRAP_HANDLER: 0
; COMPUTE_PGM_RSRC2:TGID_X_EN: 1
; COMPUTE_PGM_RSRC2:TGID_Y_EN: 0
; COMPUTE_PGM_RSRC2:TGID_Z_EN: 0
; COMPUTE_PGM_RSRC2:TIDIG_COMP_CNT: 0
	.section	.text._ZN7rocprim17ROCPRIM_400000_NS6detail17trampoline_kernelINS0_14default_configENS1_32segmented_reduce_config_selectorIN3c108BFloat16EEEZNS1_21segmented_reduce_implIS3_PKS6_PS6_PKlS6_N6hipcub16HIPCUB_304000_NS6detail27convert_result_type_wrapperISA_SB_N2at6native12_GLOBAL__N_19CustomMinEEEEE10hipError_tPvRmT0_T1_jT2_SS_T4_T3_P12ihipStream_tbEUlT_E_NS1_11comp_targetILNS1_3genE9ELNS1_11target_archE1100ELNS1_3gpuE3ELNS1_3repE0EEENS1_30default_config_static_selectorELNS0_4arch9wavefront6targetE0EEEvSR_,"axG",@progbits,_ZN7rocprim17ROCPRIM_400000_NS6detail17trampoline_kernelINS0_14default_configENS1_32segmented_reduce_config_selectorIN3c108BFloat16EEEZNS1_21segmented_reduce_implIS3_PKS6_PS6_PKlS6_N6hipcub16HIPCUB_304000_NS6detail27convert_result_type_wrapperISA_SB_N2at6native12_GLOBAL__N_19CustomMinEEEEE10hipError_tPvRmT0_T1_jT2_SS_T4_T3_P12ihipStream_tbEUlT_E_NS1_11comp_targetILNS1_3genE9ELNS1_11target_archE1100ELNS1_3gpuE3ELNS1_3repE0EEENS1_30default_config_static_selectorELNS0_4arch9wavefront6targetE0EEEvSR_,comdat
	.globl	_ZN7rocprim17ROCPRIM_400000_NS6detail17trampoline_kernelINS0_14default_configENS1_32segmented_reduce_config_selectorIN3c108BFloat16EEEZNS1_21segmented_reduce_implIS3_PKS6_PS6_PKlS6_N6hipcub16HIPCUB_304000_NS6detail27convert_result_type_wrapperISA_SB_N2at6native12_GLOBAL__N_19CustomMinEEEEE10hipError_tPvRmT0_T1_jT2_SS_T4_T3_P12ihipStream_tbEUlT_E_NS1_11comp_targetILNS1_3genE9ELNS1_11target_archE1100ELNS1_3gpuE3ELNS1_3repE0EEENS1_30default_config_static_selectorELNS0_4arch9wavefront6targetE0EEEvSR_ ; -- Begin function _ZN7rocprim17ROCPRIM_400000_NS6detail17trampoline_kernelINS0_14default_configENS1_32segmented_reduce_config_selectorIN3c108BFloat16EEEZNS1_21segmented_reduce_implIS3_PKS6_PS6_PKlS6_N6hipcub16HIPCUB_304000_NS6detail27convert_result_type_wrapperISA_SB_N2at6native12_GLOBAL__N_19CustomMinEEEEE10hipError_tPvRmT0_T1_jT2_SS_T4_T3_P12ihipStream_tbEUlT_E_NS1_11comp_targetILNS1_3genE9ELNS1_11target_archE1100ELNS1_3gpuE3ELNS1_3repE0EEENS1_30default_config_static_selectorELNS0_4arch9wavefront6targetE0EEEvSR_
	.p2align	8
	.type	_ZN7rocprim17ROCPRIM_400000_NS6detail17trampoline_kernelINS0_14default_configENS1_32segmented_reduce_config_selectorIN3c108BFloat16EEEZNS1_21segmented_reduce_implIS3_PKS6_PS6_PKlS6_N6hipcub16HIPCUB_304000_NS6detail27convert_result_type_wrapperISA_SB_N2at6native12_GLOBAL__N_19CustomMinEEEEE10hipError_tPvRmT0_T1_jT2_SS_T4_T3_P12ihipStream_tbEUlT_E_NS1_11comp_targetILNS1_3genE9ELNS1_11target_archE1100ELNS1_3gpuE3ELNS1_3repE0EEENS1_30default_config_static_selectorELNS0_4arch9wavefront6targetE0EEEvSR_,@function
_ZN7rocprim17ROCPRIM_400000_NS6detail17trampoline_kernelINS0_14default_configENS1_32segmented_reduce_config_selectorIN3c108BFloat16EEEZNS1_21segmented_reduce_implIS3_PKS6_PS6_PKlS6_N6hipcub16HIPCUB_304000_NS6detail27convert_result_type_wrapperISA_SB_N2at6native12_GLOBAL__N_19CustomMinEEEEE10hipError_tPvRmT0_T1_jT2_SS_T4_T3_P12ihipStream_tbEUlT_E_NS1_11comp_targetILNS1_3genE9ELNS1_11target_archE1100ELNS1_3gpuE3ELNS1_3repE0EEENS1_30default_config_static_selectorELNS0_4arch9wavefront6targetE0EEEvSR_: ; @_ZN7rocprim17ROCPRIM_400000_NS6detail17trampoline_kernelINS0_14default_configENS1_32segmented_reduce_config_selectorIN3c108BFloat16EEEZNS1_21segmented_reduce_implIS3_PKS6_PS6_PKlS6_N6hipcub16HIPCUB_304000_NS6detail27convert_result_type_wrapperISA_SB_N2at6native12_GLOBAL__N_19CustomMinEEEEE10hipError_tPvRmT0_T1_jT2_SS_T4_T3_P12ihipStream_tbEUlT_E_NS1_11comp_targetILNS1_3genE9ELNS1_11target_archE1100ELNS1_3gpuE3ELNS1_3repE0EEENS1_30default_config_static_selectorELNS0_4arch9wavefront6targetE0EEEvSR_
; %bb.0:
	.section	.rodata,"a",@progbits
	.p2align	6, 0x0
	.amdhsa_kernel _ZN7rocprim17ROCPRIM_400000_NS6detail17trampoline_kernelINS0_14default_configENS1_32segmented_reduce_config_selectorIN3c108BFloat16EEEZNS1_21segmented_reduce_implIS3_PKS6_PS6_PKlS6_N6hipcub16HIPCUB_304000_NS6detail27convert_result_type_wrapperISA_SB_N2at6native12_GLOBAL__N_19CustomMinEEEEE10hipError_tPvRmT0_T1_jT2_SS_T4_T3_P12ihipStream_tbEUlT_E_NS1_11comp_targetILNS1_3genE9ELNS1_11target_archE1100ELNS1_3gpuE3ELNS1_3repE0EEENS1_30default_config_static_selectorELNS0_4arch9wavefront6targetE0EEEvSR_
		.amdhsa_group_segment_fixed_size 0
		.amdhsa_private_segment_fixed_size 0
		.amdhsa_kernarg_size 48
		.amdhsa_user_sgpr_count 6
		.amdhsa_user_sgpr_private_segment_buffer 1
		.amdhsa_user_sgpr_dispatch_ptr 0
		.amdhsa_user_sgpr_queue_ptr 0
		.amdhsa_user_sgpr_kernarg_segment_ptr 1
		.amdhsa_user_sgpr_dispatch_id 0
		.amdhsa_user_sgpr_flat_scratch_init 0
		.amdhsa_user_sgpr_private_segment_size 0
		.amdhsa_wavefront_size32 1
		.amdhsa_uses_dynamic_stack 0
		.amdhsa_system_sgpr_private_segment_wavefront_offset 0
		.amdhsa_system_sgpr_workgroup_id_x 1
		.amdhsa_system_sgpr_workgroup_id_y 0
		.amdhsa_system_sgpr_workgroup_id_z 0
		.amdhsa_system_sgpr_workgroup_info 0
		.amdhsa_system_vgpr_workitem_id 0
		.amdhsa_next_free_vgpr 1
		.amdhsa_next_free_sgpr 1
		.amdhsa_reserve_vcc 0
		.amdhsa_reserve_flat_scratch 0
		.amdhsa_float_round_mode_32 0
		.amdhsa_float_round_mode_16_64 0
		.amdhsa_float_denorm_mode_32 3
		.amdhsa_float_denorm_mode_16_64 3
		.amdhsa_dx10_clamp 1
		.amdhsa_ieee_mode 1
		.amdhsa_fp16_overflow 0
		.amdhsa_workgroup_processor_mode 1
		.amdhsa_memory_ordered 1
		.amdhsa_forward_progress 1
		.amdhsa_shared_vgpr_count 0
		.amdhsa_exception_fp_ieee_invalid_op 0
		.amdhsa_exception_fp_denorm_src 0
		.amdhsa_exception_fp_ieee_div_zero 0
		.amdhsa_exception_fp_ieee_overflow 0
		.amdhsa_exception_fp_ieee_underflow 0
		.amdhsa_exception_fp_ieee_inexact 0
		.amdhsa_exception_int_div_zero 0
	.end_amdhsa_kernel
	.section	.text._ZN7rocprim17ROCPRIM_400000_NS6detail17trampoline_kernelINS0_14default_configENS1_32segmented_reduce_config_selectorIN3c108BFloat16EEEZNS1_21segmented_reduce_implIS3_PKS6_PS6_PKlS6_N6hipcub16HIPCUB_304000_NS6detail27convert_result_type_wrapperISA_SB_N2at6native12_GLOBAL__N_19CustomMinEEEEE10hipError_tPvRmT0_T1_jT2_SS_T4_T3_P12ihipStream_tbEUlT_E_NS1_11comp_targetILNS1_3genE9ELNS1_11target_archE1100ELNS1_3gpuE3ELNS1_3repE0EEENS1_30default_config_static_selectorELNS0_4arch9wavefront6targetE0EEEvSR_,"axG",@progbits,_ZN7rocprim17ROCPRIM_400000_NS6detail17trampoline_kernelINS0_14default_configENS1_32segmented_reduce_config_selectorIN3c108BFloat16EEEZNS1_21segmented_reduce_implIS3_PKS6_PS6_PKlS6_N6hipcub16HIPCUB_304000_NS6detail27convert_result_type_wrapperISA_SB_N2at6native12_GLOBAL__N_19CustomMinEEEEE10hipError_tPvRmT0_T1_jT2_SS_T4_T3_P12ihipStream_tbEUlT_E_NS1_11comp_targetILNS1_3genE9ELNS1_11target_archE1100ELNS1_3gpuE3ELNS1_3repE0EEENS1_30default_config_static_selectorELNS0_4arch9wavefront6targetE0EEEvSR_,comdat
.Lfunc_end270:
	.size	_ZN7rocprim17ROCPRIM_400000_NS6detail17trampoline_kernelINS0_14default_configENS1_32segmented_reduce_config_selectorIN3c108BFloat16EEEZNS1_21segmented_reduce_implIS3_PKS6_PS6_PKlS6_N6hipcub16HIPCUB_304000_NS6detail27convert_result_type_wrapperISA_SB_N2at6native12_GLOBAL__N_19CustomMinEEEEE10hipError_tPvRmT0_T1_jT2_SS_T4_T3_P12ihipStream_tbEUlT_E_NS1_11comp_targetILNS1_3genE9ELNS1_11target_archE1100ELNS1_3gpuE3ELNS1_3repE0EEENS1_30default_config_static_selectorELNS0_4arch9wavefront6targetE0EEEvSR_, .Lfunc_end270-_ZN7rocprim17ROCPRIM_400000_NS6detail17trampoline_kernelINS0_14default_configENS1_32segmented_reduce_config_selectorIN3c108BFloat16EEEZNS1_21segmented_reduce_implIS3_PKS6_PS6_PKlS6_N6hipcub16HIPCUB_304000_NS6detail27convert_result_type_wrapperISA_SB_N2at6native12_GLOBAL__N_19CustomMinEEEEE10hipError_tPvRmT0_T1_jT2_SS_T4_T3_P12ihipStream_tbEUlT_E_NS1_11comp_targetILNS1_3genE9ELNS1_11target_archE1100ELNS1_3gpuE3ELNS1_3repE0EEENS1_30default_config_static_selectorELNS0_4arch9wavefront6targetE0EEEvSR_
                                        ; -- End function
	.set _ZN7rocprim17ROCPRIM_400000_NS6detail17trampoline_kernelINS0_14default_configENS1_32segmented_reduce_config_selectorIN3c108BFloat16EEEZNS1_21segmented_reduce_implIS3_PKS6_PS6_PKlS6_N6hipcub16HIPCUB_304000_NS6detail27convert_result_type_wrapperISA_SB_N2at6native12_GLOBAL__N_19CustomMinEEEEE10hipError_tPvRmT0_T1_jT2_SS_T4_T3_P12ihipStream_tbEUlT_E_NS1_11comp_targetILNS1_3genE9ELNS1_11target_archE1100ELNS1_3gpuE3ELNS1_3repE0EEENS1_30default_config_static_selectorELNS0_4arch9wavefront6targetE0EEEvSR_.num_vgpr, 0
	.set _ZN7rocprim17ROCPRIM_400000_NS6detail17trampoline_kernelINS0_14default_configENS1_32segmented_reduce_config_selectorIN3c108BFloat16EEEZNS1_21segmented_reduce_implIS3_PKS6_PS6_PKlS6_N6hipcub16HIPCUB_304000_NS6detail27convert_result_type_wrapperISA_SB_N2at6native12_GLOBAL__N_19CustomMinEEEEE10hipError_tPvRmT0_T1_jT2_SS_T4_T3_P12ihipStream_tbEUlT_E_NS1_11comp_targetILNS1_3genE9ELNS1_11target_archE1100ELNS1_3gpuE3ELNS1_3repE0EEENS1_30default_config_static_selectorELNS0_4arch9wavefront6targetE0EEEvSR_.num_agpr, 0
	.set _ZN7rocprim17ROCPRIM_400000_NS6detail17trampoline_kernelINS0_14default_configENS1_32segmented_reduce_config_selectorIN3c108BFloat16EEEZNS1_21segmented_reduce_implIS3_PKS6_PS6_PKlS6_N6hipcub16HIPCUB_304000_NS6detail27convert_result_type_wrapperISA_SB_N2at6native12_GLOBAL__N_19CustomMinEEEEE10hipError_tPvRmT0_T1_jT2_SS_T4_T3_P12ihipStream_tbEUlT_E_NS1_11comp_targetILNS1_3genE9ELNS1_11target_archE1100ELNS1_3gpuE3ELNS1_3repE0EEENS1_30default_config_static_selectorELNS0_4arch9wavefront6targetE0EEEvSR_.numbered_sgpr, 0
	.set _ZN7rocprim17ROCPRIM_400000_NS6detail17trampoline_kernelINS0_14default_configENS1_32segmented_reduce_config_selectorIN3c108BFloat16EEEZNS1_21segmented_reduce_implIS3_PKS6_PS6_PKlS6_N6hipcub16HIPCUB_304000_NS6detail27convert_result_type_wrapperISA_SB_N2at6native12_GLOBAL__N_19CustomMinEEEEE10hipError_tPvRmT0_T1_jT2_SS_T4_T3_P12ihipStream_tbEUlT_E_NS1_11comp_targetILNS1_3genE9ELNS1_11target_archE1100ELNS1_3gpuE3ELNS1_3repE0EEENS1_30default_config_static_selectorELNS0_4arch9wavefront6targetE0EEEvSR_.num_named_barrier, 0
	.set _ZN7rocprim17ROCPRIM_400000_NS6detail17trampoline_kernelINS0_14default_configENS1_32segmented_reduce_config_selectorIN3c108BFloat16EEEZNS1_21segmented_reduce_implIS3_PKS6_PS6_PKlS6_N6hipcub16HIPCUB_304000_NS6detail27convert_result_type_wrapperISA_SB_N2at6native12_GLOBAL__N_19CustomMinEEEEE10hipError_tPvRmT0_T1_jT2_SS_T4_T3_P12ihipStream_tbEUlT_E_NS1_11comp_targetILNS1_3genE9ELNS1_11target_archE1100ELNS1_3gpuE3ELNS1_3repE0EEENS1_30default_config_static_selectorELNS0_4arch9wavefront6targetE0EEEvSR_.private_seg_size, 0
	.set _ZN7rocprim17ROCPRIM_400000_NS6detail17trampoline_kernelINS0_14default_configENS1_32segmented_reduce_config_selectorIN3c108BFloat16EEEZNS1_21segmented_reduce_implIS3_PKS6_PS6_PKlS6_N6hipcub16HIPCUB_304000_NS6detail27convert_result_type_wrapperISA_SB_N2at6native12_GLOBAL__N_19CustomMinEEEEE10hipError_tPvRmT0_T1_jT2_SS_T4_T3_P12ihipStream_tbEUlT_E_NS1_11comp_targetILNS1_3genE9ELNS1_11target_archE1100ELNS1_3gpuE3ELNS1_3repE0EEENS1_30default_config_static_selectorELNS0_4arch9wavefront6targetE0EEEvSR_.uses_vcc, 0
	.set _ZN7rocprim17ROCPRIM_400000_NS6detail17trampoline_kernelINS0_14default_configENS1_32segmented_reduce_config_selectorIN3c108BFloat16EEEZNS1_21segmented_reduce_implIS3_PKS6_PS6_PKlS6_N6hipcub16HIPCUB_304000_NS6detail27convert_result_type_wrapperISA_SB_N2at6native12_GLOBAL__N_19CustomMinEEEEE10hipError_tPvRmT0_T1_jT2_SS_T4_T3_P12ihipStream_tbEUlT_E_NS1_11comp_targetILNS1_3genE9ELNS1_11target_archE1100ELNS1_3gpuE3ELNS1_3repE0EEENS1_30default_config_static_selectorELNS0_4arch9wavefront6targetE0EEEvSR_.uses_flat_scratch, 0
	.set _ZN7rocprim17ROCPRIM_400000_NS6detail17trampoline_kernelINS0_14default_configENS1_32segmented_reduce_config_selectorIN3c108BFloat16EEEZNS1_21segmented_reduce_implIS3_PKS6_PS6_PKlS6_N6hipcub16HIPCUB_304000_NS6detail27convert_result_type_wrapperISA_SB_N2at6native12_GLOBAL__N_19CustomMinEEEEE10hipError_tPvRmT0_T1_jT2_SS_T4_T3_P12ihipStream_tbEUlT_E_NS1_11comp_targetILNS1_3genE9ELNS1_11target_archE1100ELNS1_3gpuE3ELNS1_3repE0EEENS1_30default_config_static_selectorELNS0_4arch9wavefront6targetE0EEEvSR_.has_dyn_sized_stack, 0
	.set _ZN7rocprim17ROCPRIM_400000_NS6detail17trampoline_kernelINS0_14default_configENS1_32segmented_reduce_config_selectorIN3c108BFloat16EEEZNS1_21segmented_reduce_implIS3_PKS6_PS6_PKlS6_N6hipcub16HIPCUB_304000_NS6detail27convert_result_type_wrapperISA_SB_N2at6native12_GLOBAL__N_19CustomMinEEEEE10hipError_tPvRmT0_T1_jT2_SS_T4_T3_P12ihipStream_tbEUlT_E_NS1_11comp_targetILNS1_3genE9ELNS1_11target_archE1100ELNS1_3gpuE3ELNS1_3repE0EEENS1_30default_config_static_selectorELNS0_4arch9wavefront6targetE0EEEvSR_.has_recursion, 0
	.set _ZN7rocprim17ROCPRIM_400000_NS6detail17trampoline_kernelINS0_14default_configENS1_32segmented_reduce_config_selectorIN3c108BFloat16EEEZNS1_21segmented_reduce_implIS3_PKS6_PS6_PKlS6_N6hipcub16HIPCUB_304000_NS6detail27convert_result_type_wrapperISA_SB_N2at6native12_GLOBAL__N_19CustomMinEEEEE10hipError_tPvRmT0_T1_jT2_SS_T4_T3_P12ihipStream_tbEUlT_E_NS1_11comp_targetILNS1_3genE9ELNS1_11target_archE1100ELNS1_3gpuE3ELNS1_3repE0EEENS1_30default_config_static_selectorELNS0_4arch9wavefront6targetE0EEEvSR_.has_indirect_call, 0
	.section	.AMDGPU.csdata,"",@progbits
; Kernel info:
; codeLenInByte = 0
; TotalNumSgprs: 0
; NumVgprs: 0
; ScratchSize: 0
; MemoryBound: 0
; FloatMode: 240
; IeeeMode: 1
; LDSByteSize: 0 bytes/workgroup (compile time only)
; SGPRBlocks: 0
; VGPRBlocks: 0
; NumSGPRsForWavesPerEU: 1
; NumVGPRsForWavesPerEU: 1
; Occupancy: 16
; WaveLimiterHint : 0
; COMPUTE_PGM_RSRC2:SCRATCH_EN: 0
; COMPUTE_PGM_RSRC2:USER_SGPR: 6
; COMPUTE_PGM_RSRC2:TRAP_HANDLER: 0
; COMPUTE_PGM_RSRC2:TGID_X_EN: 1
; COMPUTE_PGM_RSRC2:TGID_Y_EN: 0
; COMPUTE_PGM_RSRC2:TGID_Z_EN: 0
; COMPUTE_PGM_RSRC2:TIDIG_COMP_CNT: 0
	.section	.text._ZN7rocprim17ROCPRIM_400000_NS6detail17trampoline_kernelINS0_14default_configENS1_32segmented_reduce_config_selectorIN3c108BFloat16EEEZNS1_21segmented_reduce_implIS3_PKS6_PS6_PKlS6_N6hipcub16HIPCUB_304000_NS6detail27convert_result_type_wrapperISA_SB_N2at6native12_GLOBAL__N_19CustomMinEEEEE10hipError_tPvRmT0_T1_jT2_SS_T4_T3_P12ihipStream_tbEUlT_E_NS1_11comp_targetILNS1_3genE8ELNS1_11target_archE1030ELNS1_3gpuE2ELNS1_3repE0EEENS1_30default_config_static_selectorELNS0_4arch9wavefront6targetE0EEEvSR_,"axG",@progbits,_ZN7rocprim17ROCPRIM_400000_NS6detail17trampoline_kernelINS0_14default_configENS1_32segmented_reduce_config_selectorIN3c108BFloat16EEEZNS1_21segmented_reduce_implIS3_PKS6_PS6_PKlS6_N6hipcub16HIPCUB_304000_NS6detail27convert_result_type_wrapperISA_SB_N2at6native12_GLOBAL__N_19CustomMinEEEEE10hipError_tPvRmT0_T1_jT2_SS_T4_T3_P12ihipStream_tbEUlT_E_NS1_11comp_targetILNS1_3genE8ELNS1_11target_archE1030ELNS1_3gpuE2ELNS1_3repE0EEENS1_30default_config_static_selectorELNS0_4arch9wavefront6targetE0EEEvSR_,comdat
	.globl	_ZN7rocprim17ROCPRIM_400000_NS6detail17trampoline_kernelINS0_14default_configENS1_32segmented_reduce_config_selectorIN3c108BFloat16EEEZNS1_21segmented_reduce_implIS3_PKS6_PS6_PKlS6_N6hipcub16HIPCUB_304000_NS6detail27convert_result_type_wrapperISA_SB_N2at6native12_GLOBAL__N_19CustomMinEEEEE10hipError_tPvRmT0_T1_jT2_SS_T4_T3_P12ihipStream_tbEUlT_E_NS1_11comp_targetILNS1_3genE8ELNS1_11target_archE1030ELNS1_3gpuE2ELNS1_3repE0EEENS1_30default_config_static_selectorELNS0_4arch9wavefront6targetE0EEEvSR_ ; -- Begin function _ZN7rocprim17ROCPRIM_400000_NS6detail17trampoline_kernelINS0_14default_configENS1_32segmented_reduce_config_selectorIN3c108BFloat16EEEZNS1_21segmented_reduce_implIS3_PKS6_PS6_PKlS6_N6hipcub16HIPCUB_304000_NS6detail27convert_result_type_wrapperISA_SB_N2at6native12_GLOBAL__N_19CustomMinEEEEE10hipError_tPvRmT0_T1_jT2_SS_T4_T3_P12ihipStream_tbEUlT_E_NS1_11comp_targetILNS1_3genE8ELNS1_11target_archE1030ELNS1_3gpuE2ELNS1_3repE0EEENS1_30default_config_static_selectorELNS0_4arch9wavefront6targetE0EEEvSR_
	.p2align	8
	.type	_ZN7rocprim17ROCPRIM_400000_NS6detail17trampoline_kernelINS0_14default_configENS1_32segmented_reduce_config_selectorIN3c108BFloat16EEEZNS1_21segmented_reduce_implIS3_PKS6_PS6_PKlS6_N6hipcub16HIPCUB_304000_NS6detail27convert_result_type_wrapperISA_SB_N2at6native12_GLOBAL__N_19CustomMinEEEEE10hipError_tPvRmT0_T1_jT2_SS_T4_T3_P12ihipStream_tbEUlT_E_NS1_11comp_targetILNS1_3genE8ELNS1_11target_archE1030ELNS1_3gpuE2ELNS1_3repE0EEENS1_30default_config_static_selectorELNS0_4arch9wavefront6targetE0EEEvSR_,@function
_ZN7rocprim17ROCPRIM_400000_NS6detail17trampoline_kernelINS0_14default_configENS1_32segmented_reduce_config_selectorIN3c108BFloat16EEEZNS1_21segmented_reduce_implIS3_PKS6_PS6_PKlS6_N6hipcub16HIPCUB_304000_NS6detail27convert_result_type_wrapperISA_SB_N2at6native12_GLOBAL__N_19CustomMinEEEEE10hipError_tPvRmT0_T1_jT2_SS_T4_T3_P12ihipStream_tbEUlT_E_NS1_11comp_targetILNS1_3genE8ELNS1_11target_archE1030ELNS1_3gpuE2ELNS1_3repE0EEENS1_30default_config_static_selectorELNS0_4arch9wavefront6targetE0EEEvSR_: ; @_ZN7rocprim17ROCPRIM_400000_NS6detail17trampoline_kernelINS0_14default_configENS1_32segmented_reduce_config_selectorIN3c108BFloat16EEEZNS1_21segmented_reduce_implIS3_PKS6_PS6_PKlS6_N6hipcub16HIPCUB_304000_NS6detail27convert_result_type_wrapperISA_SB_N2at6native12_GLOBAL__N_19CustomMinEEEEE10hipError_tPvRmT0_T1_jT2_SS_T4_T3_P12ihipStream_tbEUlT_E_NS1_11comp_targetILNS1_3genE8ELNS1_11target_archE1030ELNS1_3gpuE2ELNS1_3repE0EEENS1_30default_config_static_selectorELNS0_4arch9wavefront6targetE0EEEvSR_
; %bb.0:
	s_clause 0x2
	s_load_dwordx8 s[12:19], s[4:5], 0x0
	s_load_dword s8, s[4:5], 0x28
	s_load_dwordx2 s[0:1], s[4:5], 0x20
	s_mov_b32 s7, 0
	s_mov_b32 s22, s7
	s_waitcnt lgkmcnt(0)
	s_lshl_b64 s[2:3], s[16:17], 3
	s_lshr_b32 s9, s8, 16
	s_add_u32 s4, s18, s2
	s_addc_u32 s5, s19, s3
	s_add_u32 s8, s0, s2
	s_addc_u32 s10, s1, s3
	s_lshl_b64 s[0:1], s[6:7], 3
	s_add_u32 s2, s4, s0
	s_addc_u32 s3, s5, s1
	s_add_u32 s0, s8, s0
	s_addc_u32 s1, s10, s1
	s_load_dwordx2 s[18:19], s[2:3], 0x0
	s_load_dwordx2 s[10:11], s[0:1], 0x0
	s_mov_b32 s1, -1
	s_waitcnt lgkmcnt(0)
	v_cmp_gt_i64_e64 s0, s[10:11], s[18:19]
	s_and_b32 vcc_lo, exec_lo, s0
	v_cmp_eq_u32_e64 s0, 0, v0
	s_cbranch_vccnz .LBB271_2
; %bb.1:
	s_mov_b32 s1, 0
	s_and_b32 s22, s0, exec_lo
.LBB271_2:
	s_andn2_b32 vcc_lo, exec_lo, s1
	s_cbranch_vccnz .LBB271_68
; %bb.3:
	s_add_u32 s0, s18, 0x800
	s_addc_u32 s1, s19, 0
	v_cmp_le_i64_e64 s2, s[0:1], s[10:11]
	s_and_b32 vcc_lo, exec_lo, s2
	s_cbranch_vccz .LBB271_69
; %bb.4:
	v_lshlrev_b32_e32 v12, 1, v0
	s_lshl_b64 s[2:3], s[18:19], 1
	s_add_u32 s4, s12, s2
	s_addc_u32 s5, s13, s3
	v_add_co_u32 v1, s8, s4, v12
	v_add_co_ci_u32_e64 v2, null, s5, 0, s8
	global_load_ushort v11, v12, s[4:5]
	v_add_co_u32 v1, vcc_lo, 0x800, v1
	v_add_co_ci_u32_e64 v2, null, 0, v2, vcc_lo
	s_clause 0x6
	global_load_ushort v10, v12, s[4:5] offset:512
	global_load_ushort v9, v12, s[4:5] offset:1024
	;; [unrolled: 1-line block ×3, first 2 shown]
	global_load_ushort v7, v[1:2], off
	global_load_ushort v5, v[1:2], off offset:512
	global_load_ushort v4, v[1:2], off offset:1024
	;; [unrolled: 1-line block ×3, first 2 shown]
	s_mov_b32 s4, exec_lo
	s_waitcnt vmcnt(7)
	v_lshlrev_b32_e32 v1, 16, v11
	v_mov_b32_e32 v6, v11
	v_cmpx_o_f32_e32 v1, v1
	s_cbranch_execz .LBB271_8
; %bb.5:
	s_waitcnt vmcnt(6)
	v_lshlrev_b32_e32 v2, 16, v10
	v_mov_b32_e32 v6, v10
	s_mov_b32 s5, exec_lo
	v_cmpx_o_f32_e32 v2, v2
; %bb.6:
	v_cmp_lt_f32_e32 vcc_lo, v2, v1
	v_cndmask_b32_e32 v6, v11, v10, vcc_lo
	v_lshlrev_b32_e32 v2, 16, v6
; %bb.7:
	s_or_b32 exec_lo, exec_lo, s5
	v_mov_b32_e32 v1, v2
.LBB271_8:
	s_or_b32 exec_lo, exec_lo, s4
	s_mov_b32 s4, exec_lo
	v_cmpx_o_f32_e32 v1, v1
	s_cbranch_execz .LBB271_12
; %bb.9:
	s_waitcnt vmcnt(5)
	v_lshlrev_b32_e32 v2, 16, v9
	v_mov_b32_e32 v13, v9
	s_mov_b32 s5, exec_lo
	v_cmpx_o_f32_e32 v2, v2
; %bb.10:
	v_cmp_gt_f32_e32 vcc_lo, v1, v2
	v_cndmask_b32_e32 v13, v6, v9, vcc_lo
	v_lshlrev_b32_e32 v2, 16, v13
; %bb.11:
	s_or_b32 exec_lo, exec_lo, s5
	v_mov_b32_e32 v1, v2
	v_mov_b32_e32 v6, v13
.LBB271_12:
	s_or_b32 exec_lo, exec_lo, s4
	s_mov_b32 s4, exec_lo
	v_cmpx_o_f32_e32 v1, v1
	s_cbranch_execz .LBB271_16
; %bb.13:
	s_waitcnt vmcnt(4)
	v_lshlrev_b32_e32 v2, 16, v8
	v_mov_b32_e32 v13, v8
	s_mov_b32 s5, exec_lo
	v_cmpx_o_f32_e32 v2, v2
; %bb.14:
	v_cmp_gt_f32_e32 vcc_lo, v1, v2
	v_cndmask_b32_e32 v13, v6, v8, vcc_lo
	v_lshlrev_b32_e32 v2, 16, v13
; %bb.15:
	s_or_b32 exec_lo, exec_lo, s5
	v_mov_b32_e32 v1, v2
	v_mov_b32_e32 v6, v13
.LBB271_16:
	;; [unrolled: 19-line block ×5, first 2 shown]
	s_or_b32 exec_lo, exec_lo, s4
	s_mov_b32 s4, exec_lo
	v_cmpx_o_f32_e32 v1, v1
	s_cbranch_execz .LBB271_32
; %bb.29:
	s_waitcnt vmcnt(0)
	v_lshlrev_b32_e32 v13, 16, v3
	v_mov_b32_e32 v2, v3
	s_mov_b32 s5, exec_lo
	v_cmpx_o_f32_e32 v13, v13
; %bb.30:
	v_cmp_gt_f32_e32 vcc_lo, v1, v13
	v_cndmask_b32_e32 v2, v6, v3, vcc_lo
; %bb.31:
	s_or_b32 exec_lo, exec_lo, s5
	v_mov_b32_e32 v6, v2
.LBB271_32:
	s_or_b32 exec_lo, exec_lo, s4
	s_add_u32 s4, s18, 0x1000
	s_addc_u32 s5, s19, 0
	v_cmp_ge_i64_e64 s4, s[4:5], s[10:11]
	s_and_b32 vcc_lo, exec_lo, s4
	s_cbranch_vccnz .LBB271_70
; %bb.33:
	s_add_u32 s2, s12, s2
	s_addc_u32 s3, s13, s3
	v_add_co_u32 v1, s2, s2, v12
	v_add_co_ci_u32_e64 v2, null, s3, 0, s2
	v_add_co_u32 v1, vcc_lo, 0x1000, v1
	v_add_co_ci_u32_e64 v2, null, 0, v2, vcc_lo
.LBB271_34:                             ; =>This Inner Loop Header: Depth=1
	v_add_co_u32 v13, vcc_lo, 0x800, v1
	v_add_co_ci_u32_e64 v14, null, 0, v2, vcc_lo
	s_clause 0x7
	global_load_ushort v11, v[1:2], off
	global_load_ushort v10, v[1:2], off offset:512
	global_load_ushort v9, v[1:2], off offset:1024
	;; [unrolled: 1-line block ×3, first 2 shown]
	global_load_ushort v7, v[13:14], off
	global_load_ushort v5, v[13:14], off offset:512
	global_load_ushort v4, v[13:14], off offset:1024
	;; [unrolled: 1-line block ×3, first 2 shown]
	v_lshlrev_b32_e32 v13, 16, v6
	s_mov_b32 s2, exec_lo
	v_cmpx_o_f32_e32 v13, v13
	s_cbranch_execz .LBB271_38
; %bb.35:                               ;   in Loop: Header=BB271_34 Depth=1
	s_waitcnt vmcnt(7)
	v_lshlrev_b32_e32 v14, 16, v11
	v_mov_b32_e32 v15, v11
	s_mov_b32 s3, exec_lo
	v_cmpx_o_f32_e32 v14, v14
; %bb.36:                               ;   in Loop: Header=BB271_34 Depth=1
	v_cmp_lt_f32_e32 vcc_lo, v14, v13
	v_cndmask_b32_e32 v15, v6, v11, vcc_lo
	v_lshlrev_b32_e32 v14, 16, v15
; %bb.37:                               ;   in Loop: Header=BB271_34 Depth=1
	s_or_b32 exec_lo, exec_lo, s3
	v_mov_b32_e32 v13, v14
	v_mov_b32_e32 v6, v15
.LBB271_38:                             ;   in Loop: Header=BB271_34 Depth=1
	s_or_b32 exec_lo, exec_lo, s2
	s_mov_b32 s2, exec_lo
	v_cmpx_o_f32_e32 v13, v13
	s_cbranch_execz .LBB271_42
; %bb.39:                               ;   in Loop: Header=BB271_34 Depth=1
	s_waitcnt vmcnt(6)
	v_lshlrev_b32_e32 v14, 16, v10
	v_mov_b32_e32 v15, v10
	s_mov_b32 s3, exec_lo
	v_cmpx_o_f32_e32 v14, v14
; %bb.40:                               ;   in Loop: Header=BB271_34 Depth=1
	v_cmp_gt_f32_e32 vcc_lo, v13, v14
	v_cndmask_b32_e32 v15, v6, v10, vcc_lo
	v_lshlrev_b32_e32 v14, 16, v15
; %bb.41:                               ;   in Loop: Header=BB271_34 Depth=1
	s_or_b32 exec_lo, exec_lo, s3
	v_mov_b32_e32 v13, v14
	v_mov_b32_e32 v6, v15
.LBB271_42:                             ;   in Loop: Header=BB271_34 Depth=1
	s_or_b32 exec_lo, exec_lo, s2
	s_mov_b32 s2, exec_lo
	v_cmpx_o_f32_e32 v13, v13
	s_cbranch_execz .LBB271_46
; %bb.43:                               ;   in Loop: Header=BB271_34 Depth=1
	s_waitcnt vmcnt(5)
	v_lshlrev_b32_e32 v14, 16, v9
	v_mov_b32_e32 v15, v9
	s_mov_b32 s3, exec_lo
	v_cmpx_o_f32_e32 v14, v14
; %bb.44:                               ;   in Loop: Header=BB271_34 Depth=1
	v_cmp_gt_f32_e32 vcc_lo, v13, v14
	v_cndmask_b32_e32 v15, v6, v9, vcc_lo
	v_lshlrev_b32_e32 v14, 16, v15
; %bb.45:                               ;   in Loop: Header=BB271_34 Depth=1
	s_or_b32 exec_lo, exec_lo, s3
	v_mov_b32_e32 v13, v14
	v_mov_b32_e32 v6, v15
.LBB271_46:                             ;   in Loop: Header=BB271_34 Depth=1
	;; [unrolled: 19-line block ×6, first 2 shown]
	s_or_b32 exec_lo, exec_lo, s2
	s_mov_b32 s2, exec_lo
	v_cmpx_o_f32_e32 v13, v13
	s_cbranch_execz .LBB271_66
; %bb.63:                               ;   in Loop: Header=BB271_34 Depth=1
	s_waitcnt vmcnt(0)
	v_lshlrev_b32_e32 v15, 16, v3
	v_mov_b32_e32 v14, v3
	s_mov_b32 s3, exec_lo
	v_cmpx_o_f32_e32 v15, v15
; %bb.64:                               ;   in Loop: Header=BB271_34 Depth=1
	v_cmp_gt_f32_e32 vcc_lo, v13, v15
	v_cndmask_b32_e32 v14, v6, v3, vcc_lo
; %bb.65:                               ;   in Loop: Header=BB271_34 Depth=1
	s_or_b32 exec_lo, exec_lo, s3
	v_mov_b32_e32 v6, v14
.LBB271_66:                             ;   in Loop: Header=BB271_34 Depth=1
	s_or_b32 exec_lo, exec_lo, s2
	s_add_u32 s2, s0, 0x800
	s_addc_u32 s3, s1, 0
	s_add_u32 s0, s0, 0x1000
	s_addc_u32 s1, s1, 0
	v_add_co_u32 v1, vcc_lo, 0x1000, v1
	v_cmp_lt_i64_e64 s0, s[0:1], s[10:11]
	v_add_co_ci_u32_e64 v2, null, 0, v2, vcc_lo
	s_and_b32 vcc_lo, exec_lo, s0
	s_cbranch_vccz .LBB271_71
; %bb.67:                               ;   in Loop: Header=BB271_34 Depth=1
	s_mov_b64 s[0:1], s[2:3]
	s_branch .LBB271_34
.LBB271_68:
	v_mov_b32_e32 v1, s9
	s_and_saveexec_b32 s0, s22
	s_cbranch_execnz .LBB271_281
	s_branch .LBB271_282
.LBB271_69:
                                        ; implicit-def: $vgpr2
	s_cbranch_execnz .LBB271_172
	s_branch .LBB271_274
.LBB271_70:
	s_mov_b64 s[2:3], s[0:1]
.LBB271_71:
	s_sub_i32 s23, s10, s2
	s_lshl_b64 s[0:1], s[2:3], 1
	v_cmp_gt_u32_e64 s8, s23, v0
	s_add_u32 s20, s12, s0
	s_addc_u32 s21, s13, s1
	s_and_saveexec_b32 s0, s8
	s_cbranch_execz .LBB271_73
; %bb.72:
	global_load_ushort v11, v12, s[20:21]
.LBB271_73:
	s_or_b32 exec_lo, exec_lo, s0
	v_or_b32_e32 v1, 0x100, v0
	v_cmp_gt_u32_e64 s5, s23, v1
	s_and_saveexec_b32 s0, s5
	s_cbranch_execz .LBB271_75
; %bb.74:
	global_load_ushort v10, v12, s[20:21] offset:512
.LBB271_75:
	s_or_b32 exec_lo, exec_lo, s0
	v_or_b32_e32 v1, 0x200, v0
	v_cmp_gt_u32_e64 s4, s23, v1
	s_and_saveexec_b32 s0, s4
	s_cbranch_execz .LBB271_77
; %bb.76:
	global_load_ushort v9, v12, s[20:21] offset:1024
.LBB271_77:
	;; [unrolled: 8-line block ×3, first 2 shown]
	s_or_b32 exec_lo, exec_lo, s0
	v_or_b32_e32 v1, 0x400, v0
	v_cmp_gt_u32_e64 s2, s23, v1
	s_and_saveexec_b32 s0, s2
	s_cbranch_execz .LBB271_81
; %bb.80:
	v_lshlrev_b32_e32 v1, 1, v1
	global_load_ushort v7, v1, s[20:21]
.LBB271_81:
	s_or_b32 exec_lo, exec_lo, s0
	v_or_b32_e32 v1, 0x500, v0
	v_cmp_gt_u32_e64 s1, s23, v1
	s_and_saveexec_b32 s0, s1
	s_cbranch_execz .LBB271_83
; %bb.82:
	v_lshlrev_b32_e32 v1, 1, v1
	global_load_ushort v5, v1, s[20:21]
.LBB271_83:
	s_or_b32 exec_lo, exec_lo, s0
	v_or_b32_e32 v1, 0x600, v0
	v_cmp_gt_u32_e64 s0, s23, v1
	s_and_saveexec_b32 s24, s0
	s_cbranch_execz .LBB271_85
; %bb.84:
	v_lshlrev_b32_e32 v1, 1, v1
	global_load_ushort v4, v1, s[20:21]
.LBB271_85:
	s_or_b32 exec_lo, exec_lo, s24
	v_or_b32_e32 v1, 0x700, v0
	v_cmp_gt_u32_e32 vcc_lo, s23, v1
	s_and_saveexec_b32 s23, vcc_lo
	s_cbranch_execnz .LBB271_94
; %bb.86:
	s_or_b32 exec_lo, exec_lo, s23
	s_and_saveexec_b32 s20, s8
	s_cbranch_execnz .LBB271_95
.LBB271_87:
	s_or_b32 exec_lo, exec_lo, s20
	s_and_saveexec_b32 s8, s5
	s_cbranch_execnz .LBB271_100
.LBB271_88:
	s_or_b32 exec_lo, exec_lo, s8
	s_and_saveexec_b32 s5, s4
	s_cbranch_execnz .LBB271_105
.LBB271_89:
	s_or_b32 exec_lo, exec_lo, s5
	s_and_saveexec_b32 s4, s3
	s_cbranch_execnz .LBB271_110
.LBB271_90:
	s_or_b32 exec_lo, exec_lo, s4
	s_and_saveexec_b32 s3, s2
	s_cbranch_execnz .LBB271_115
.LBB271_91:
	s_or_b32 exec_lo, exec_lo, s3
	s_and_saveexec_b32 s2, s1
	s_cbranch_execnz .LBB271_120
.LBB271_92:
	s_or_b32 exec_lo, exec_lo, s2
	s_and_saveexec_b32 s1, s0
	s_cbranch_execnz .LBB271_125
.LBB271_93:
	s_or_b32 exec_lo, exec_lo, s1
	s_and_saveexec_b32 s0, vcc_lo
	s_cbranch_execnz .LBB271_130
	s_branch .LBB271_135
.LBB271_94:
	v_lshlrev_b32_e32 v1, 1, v1
	global_load_ushort v3, v1, s[20:21]
	s_or_b32 exec_lo, exec_lo, s23
	s_and_saveexec_b32 s20, s8
	s_cbranch_execz .LBB271_87
.LBB271_95:
	v_lshlrev_b32_e32 v1, 16, v6
	s_mov_b32 s21, exec_lo
	v_cmpx_o_f32_e32 v1, v1
	s_cbranch_execz .LBB271_99
; %bb.96:
	s_waitcnt vmcnt(0)
	v_lshlrev_b32_e32 v2, 16, v11
	s_mov_b32 s23, exec_lo
	v_cmpx_o_f32_e32 v2, v2
; %bb.97:
	v_cmp_lt_f32_e64 s8, v2, v1
	v_cndmask_b32_e64 v11, v6, v11, s8
; %bb.98:
	s_or_b32 exec_lo, exec_lo, s23
	v_mov_b32_e32 v6, v11
.LBB271_99:
	s_or_b32 exec_lo, exec_lo, s21
	s_or_b32 exec_lo, exec_lo, s20
	s_and_saveexec_b32 s8, s5
	s_cbranch_execz .LBB271_88
.LBB271_100:
	v_lshlrev_b32_e32 v1, 16, v6
	s_mov_b32 s20, exec_lo
	v_cmpx_o_f32_e32 v1, v1
	s_cbranch_execz .LBB271_104
; %bb.101:
	s_waitcnt vmcnt(0)
	v_lshlrev_b32_e32 v2, 16, v10
	s_mov_b32 s21, exec_lo
	v_cmpx_o_f32_e32 v2, v2
; %bb.102:
	v_cmp_lt_f32_e64 s5, v2, v1
	v_cndmask_b32_e64 v10, v6, v10, s5
; %bb.103:
	s_or_b32 exec_lo, exec_lo, s21
	v_mov_b32_e32 v6, v10
.LBB271_104:
	s_or_b32 exec_lo, exec_lo, s20
	s_or_b32 exec_lo, exec_lo, s8
	s_and_saveexec_b32 s5, s4
	s_cbranch_execz .LBB271_89
.LBB271_105:
	v_lshlrev_b32_e32 v1, 16, v6
	s_mov_b32 s8, exec_lo
	v_cmpx_o_f32_e32 v1, v1
	s_cbranch_execz .LBB271_109
; %bb.106:
	s_waitcnt vmcnt(0)
	v_lshlrev_b32_e32 v2, 16, v9
	s_mov_b32 s20, exec_lo
	v_cmpx_o_f32_e32 v2, v2
; %bb.107:
	v_cmp_lt_f32_e64 s4, v2, v1
	v_cndmask_b32_e64 v9, v6, v9, s4
; %bb.108:
	s_or_b32 exec_lo, exec_lo, s20
	v_mov_b32_e32 v6, v9
.LBB271_109:
	s_or_b32 exec_lo, exec_lo, s8
	s_or_b32 exec_lo, exec_lo, s5
	s_and_saveexec_b32 s4, s3
	s_cbranch_execz .LBB271_90
.LBB271_110:
	v_lshlrev_b32_e32 v1, 16, v6
	s_mov_b32 s5, exec_lo
	v_cmpx_o_f32_e32 v1, v1
	s_cbranch_execz .LBB271_114
; %bb.111:
	s_waitcnt vmcnt(0)
	v_lshlrev_b32_e32 v2, 16, v8
	s_mov_b32 s8, exec_lo
	v_cmpx_o_f32_e32 v2, v2
; %bb.112:
	v_cmp_lt_f32_e64 s3, v2, v1
	v_cndmask_b32_e64 v8, v6, v8, s3
; %bb.113:
	s_or_b32 exec_lo, exec_lo, s8
	v_mov_b32_e32 v6, v8
.LBB271_114:
	s_or_b32 exec_lo, exec_lo, s5
	s_or_b32 exec_lo, exec_lo, s4
	s_and_saveexec_b32 s3, s2
	s_cbranch_execz .LBB271_91
.LBB271_115:
	v_lshlrev_b32_e32 v1, 16, v6
	s_mov_b32 s4, exec_lo
	v_cmpx_o_f32_e32 v1, v1
	s_cbranch_execz .LBB271_119
; %bb.116:
	s_waitcnt vmcnt(0)
	v_lshlrev_b32_e32 v2, 16, v7
	s_mov_b32 s5, exec_lo
	v_cmpx_o_f32_e32 v2, v2
; %bb.117:
	v_cmp_lt_f32_e64 s2, v2, v1
	v_cndmask_b32_e64 v7, v6, v7, s2
; %bb.118:
	s_or_b32 exec_lo, exec_lo, s5
	v_mov_b32_e32 v6, v7
.LBB271_119:
	s_or_b32 exec_lo, exec_lo, s4
	s_or_b32 exec_lo, exec_lo, s3
	s_and_saveexec_b32 s2, s1
	s_cbranch_execz .LBB271_92
.LBB271_120:
	v_lshlrev_b32_e32 v1, 16, v6
	s_mov_b32 s3, exec_lo
	v_cmpx_o_f32_e32 v1, v1
	s_cbranch_execz .LBB271_124
; %bb.121:
	s_waitcnt vmcnt(0)
	v_lshlrev_b32_e32 v2, 16, v5
	s_mov_b32 s4, exec_lo
	v_cmpx_o_f32_e32 v2, v2
; %bb.122:
	v_cmp_lt_f32_e64 s1, v2, v1
	v_cndmask_b32_e64 v5, v6, v5, s1
; %bb.123:
	s_or_b32 exec_lo, exec_lo, s4
	v_mov_b32_e32 v6, v5
.LBB271_124:
	s_or_b32 exec_lo, exec_lo, s3
	s_or_b32 exec_lo, exec_lo, s2
	s_and_saveexec_b32 s1, s0
	s_cbranch_execz .LBB271_93
.LBB271_125:
	v_lshlrev_b32_e32 v1, 16, v6
	s_mov_b32 s2, exec_lo
	v_cmpx_o_f32_e32 v1, v1
	s_cbranch_execz .LBB271_129
; %bb.126:
	s_waitcnt vmcnt(0)
	v_lshlrev_b32_e32 v2, 16, v4
	s_mov_b32 s3, exec_lo
	v_cmpx_o_f32_e32 v2, v2
; %bb.127:
	v_cmp_lt_f32_e64 s0, v2, v1
	v_cndmask_b32_e64 v4, v6, v4, s0
; %bb.128:
	s_or_b32 exec_lo, exec_lo, s3
	v_mov_b32_e32 v6, v4
.LBB271_129:
	s_or_b32 exec_lo, exec_lo, s2
	s_or_b32 exec_lo, exec_lo, s1
	s_and_saveexec_b32 s0, vcc_lo
	s_cbranch_execz .LBB271_135
.LBB271_130:
	v_lshlrev_b32_e32 v1, 16, v6
	s_mov_b32 s1, exec_lo
	v_cmpx_o_f32_e32 v1, v1
	s_cbranch_execz .LBB271_134
; %bb.131:
	s_waitcnt vmcnt(0)
	v_lshlrev_b32_e32 v2, 16, v3
	s_mov_b32 s2, exec_lo
	v_cmpx_o_f32_e32 v2, v2
; %bb.132:
	v_cmp_lt_f32_e32 vcc_lo, v2, v1
	v_cndmask_b32_e32 v3, v6, v3, vcc_lo
; %bb.133:
	s_or_b32 exec_lo, exec_lo, s2
	v_mov_b32_e32 v6, v3
.LBB271_134:
	s_or_b32 exec_lo, exec_lo, s1
.LBB271_135:
	s_or_b32 exec_lo, exec_lo, s0
	s_waitcnt vmcnt(0)
	v_and_b32_e32 v3, 0xffff, v6
	s_mov_b32 s0, exec_lo
	v_mov_b32_dpp v1, v3 quad_perm:[1,0,3,2] row_mask:0xf bank_mask:0xf
	v_lshlrev_b32_e32 v2, 16, v1
	v_cmpx_o_f32_e32 v2, v2
	s_xor_b32 s0, exec_lo, s0
	s_cbranch_execz .LBB271_139
; %bb.136:
	v_lshlrev_b32_e32 v3, 16, v3
	s_mov_b32 s1, exec_lo
	v_cmpx_o_f32_e32 v3, v3
; %bb.137:
	v_cmp_lt_f32_e32 vcc_lo, v3, v2
	v_cndmask_b32_e32 v6, v1, v6, vcc_lo
; %bb.138:
	s_or_b32 exec_lo, exec_lo, s1
	v_mov_b32_e32 v1, v6
.LBB271_139:
	s_or_b32 exec_lo, exec_lo, s0
	v_and_b32_e32 v4, 0xffff, v1
	s_mov_b32 s0, exec_lo
	v_mov_b32_dpp v2, v4 quad_perm:[2,3,0,1] row_mask:0xf bank_mask:0xf
	v_lshlrev_b32_e32 v3, 16, v2
	v_cmpx_o_f32_e32 v3, v3
	s_cbranch_execz .LBB271_143
; %bb.140:
	v_lshlrev_b32_e32 v4, 16, v4
	s_mov_b32 s1, exec_lo
	v_cmpx_o_f32_e32 v4, v4
; %bb.141:
	v_cmp_lt_f32_e32 vcc_lo, v4, v3
	v_cndmask_b32_e32 v1, v2, v1, vcc_lo
; %bb.142:
	s_or_b32 exec_lo, exec_lo, s1
	v_mov_b32_e32 v2, v1
.LBB271_143:
	s_or_b32 exec_lo, exec_lo, s0
	v_and_b32_e32 v4, 0xffff, v2
	s_mov_b32 s0, exec_lo
	v_mov_b32_dpp v1, v4 row_ror:4 row_mask:0xf bank_mask:0xf
	v_lshlrev_b32_e32 v3, 16, v1
	v_cmpx_o_f32_e32 v3, v3
	s_cbranch_execz .LBB271_147
; %bb.144:
	v_lshlrev_b32_e32 v4, 16, v4
	s_mov_b32 s1, exec_lo
	v_cmpx_o_f32_e32 v4, v4
; %bb.145:
	v_cmp_lt_f32_e32 vcc_lo, v4, v3
	v_cndmask_b32_e32 v2, v1, v2, vcc_lo
; %bb.146:
	s_or_b32 exec_lo, exec_lo, s1
	v_mov_b32_e32 v1, v2
.LBB271_147:
	s_or_b32 exec_lo, exec_lo, s0
	v_and_b32_e32 v4, 0xffff, v1
	s_mov_b32 s0, exec_lo
	v_mov_b32_dpp v2, v4 row_ror:8 row_mask:0xf bank_mask:0xf
	v_lshlrev_b32_e32 v3, 16, v2
	v_cmpx_o_f32_e32 v3, v3
	s_cbranch_execz .LBB271_151
; %bb.148:
	v_lshlrev_b32_e32 v4, 16, v4
	s_mov_b32 s1, exec_lo
	v_cmpx_o_f32_e32 v4, v4
; %bb.149:
	v_cmp_lt_f32_e32 vcc_lo, v4, v3
	v_cndmask_b32_e32 v1, v2, v1, vcc_lo
; %bb.150:
	s_or_b32 exec_lo, exec_lo, s1
	v_mov_b32_e32 v2, v1
.LBB271_151:
	s_or_b32 exec_lo, exec_lo, s0
	v_and_b32_e32 v4, 0xffff, v2
	s_mov_b32 s0, exec_lo
	ds_swizzle_b32 v1, v4 offset:swizzle(BROADCAST,32,15)
	s_waitcnt lgkmcnt(0)
	v_lshlrev_b32_e32 v3, 16, v1
	v_cmpx_o_f32_e32 v3, v3
	s_cbranch_execz .LBB271_155
; %bb.152:
	v_lshlrev_b32_e32 v4, 16, v4
	s_mov_b32 s1, exec_lo
	v_cmpx_o_f32_e32 v4, v4
; %bb.153:
	v_cmp_lt_f32_e32 vcc_lo, v4, v3
	v_cndmask_b32_e32 v2, v1, v2, vcc_lo
; %bb.154:
	s_or_b32 exec_lo, exec_lo, s1
	v_mov_b32_e32 v1, v2
.LBB271_155:
	s_or_b32 exec_lo, exec_lo, s0
	v_and_b32_e32 v1, 0xffff, v1
	v_mov_b32_e32 v2, 0
	s_mov_b32 s0, exec_lo
	ds_bpermute_b32 v2, v2, v1 offset:124
	v_mbcnt_lo_u32_b32 v1, -1, 0
	v_cmpx_eq_u32_e32 0, v1
	s_cbranch_execz .LBB271_157
; %bb.156:
	v_lshrrev_b32_e32 v3, 4, v0
	v_and_b32_e32 v3, 14, v3
	s_waitcnt lgkmcnt(0)
	ds_write_b16 v3, v2
.LBB271_157:
	s_or_b32 exec_lo, exec_lo, s0
	s_mov_b32 s0, exec_lo
	s_waitcnt lgkmcnt(0)
	s_barrier
	buffer_gl0_inv
	v_cmpx_gt_u32_e32 32, v0
	s_cbranch_execz .LBB271_171
; %bb.158:
	v_and_b32_e32 v3, 7, v1
	s_mov_b32 s1, exec_lo
	v_lshlrev_b32_e32 v2, 1, v3
	v_cmp_ne_u32_e32 vcc_lo, 7, v3
	ds_read_u16 v2, v2
	v_add_co_ci_u32_e64 v4, null, 0, v1, vcc_lo
	v_lshlrev_b32_e32 v4, 2, v4
	s_waitcnt lgkmcnt(0)
	v_and_b32_e32 v5, 0xffff, v2
	ds_bpermute_b32 v4, v4, v5
	v_lshlrev_b32_e32 v5, 16, v2
	v_cmpx_o_f32_e32 v5, v5
	s_cbranch_execz .LBB271_162
; %bb.159:
	s_waitcnt lgkmcnt(0)
	v_lshlrev_b32_e32 v6, 16, v4
	s_mov_b32 s2, exec_lo
	v_cmpx_o_f32_e32 v6, v6
; %bb.160:
	v_cmp_lt_f32_e32 vcc_lo, v6, v5
	v_cndmask_b32_e32 v4, v2, v4, vcc_lo
; %bb.161:
	s_or_b32 exec_lo, exec_lo, s2
	v_mov_b32_e32 v2, v4
.LBB271_162:
	s_or_b32 exec_lo, exec_lo, s1
	v_cmp_gt_u32_e32 vcc_lo, 6, v3
	s_waitcnt lgkmcnt(0)
	v_and_b32_e32 v4, 0xffff, v2
	s_mov_b32 s1, exec_lo
	v_cndmask_b32_e64 v3, 0, 2, vcc_lo
	v_add_lshl_u32 v3, v3, v1, 2
	v_lshlrev_b32_e32 v1, 2, v1
	ds_bpermute_b32 v3, v3, v4
	v_lshlrev_b32_e32 v4, 16, v2
	v_cmpx_o_f32_e32 v4, v4
	s_cbranch_execz .LBB271_166
; %bb.163:
	s_waitcnt lgkmcnt(0)
	v_lshlrev_b32_e32 v5, 16, v3
	s_mov_b32 s2, exec_lo
	v_cmpx_o_f32_e32 v5, v5
; %bb.164:
	v_cmp_lt_f32_e32 vcc_lo, v5, v4
	v_cndmask_b32_e32 v3, v2, v3, vcc_lo
; %bb.165:
	s_or_b32 exec_lo, exec_lo, s2
	v_mov_b32_e32 v2, v3
.LBB271_166:
	s_or_b32 exec_lo, exec_lo, s1
	v_or_b32_e32 v1, 16, v1
	s_waitcnt lgkmcnt(0)
	v_and_b32_e32 v3, 0xffff, v2
	s_mov_b32 s1, exec_lo
	ds_bpermute_b32 v1, v1, v3
	v_lshlrev_b32_e32 v3, 16, v2
	v_cmpx_o_f32_e32 v3, v3
	s_cbranch_execz .LBB271_170
; %bb.167:
	s_waitcnt lgkmcnt(0)
	v_lshlrev_b32_e32 v4, 16, v1
	s_mov_b32 s2, exec_lo
	v_cmpx_o_f32_e32 v4, v4
; %bb.168:
	v_cmp_lt_f32_e32 vcc_lo, v4, v3
	v_cndmask_b32_e32 v1, v2, v1, vcc_lo
; %bb.169:
	s_or_b32 exec_lo, exec_lo, s2
	v_mov_b32_e32 v2, v1
.LBB271_170:
	s_or_b32 exec_lo, exec_lo, s1
.LBB271_171:
	s_or_b32 exec_lo, exec_lo, s0
	s_branch .LBB271_274
.LBB271_172:
	s_sub_i32 s1, s10, s18
	s_mov_b32 s2, exec_lo
                                        ; implicit-def: $vgpr5
	v_cmpx_gt_u32_e64 s1, v0
	s_cbranch_execz .LBB271_182
; %bb.173:
	s_waitcnt lgkmcnt(0)
	v_add_co_u32 v1, s0, s18, v0
	v_add_co_ci_u32_e64 v2, null, s19, 0, s0
	s_mov_b32 s3, exec_lo
	v_lshlrev_b64 v[3:4], 1, v[1:2]
	v_add_co_u32 v3, vcc_lo, s12, v3
	v_add_co_ci_u32_e64 v4, null, s13, v4, vcc_lo
	v_add_co_u32 v1, vcc_lo, 0x100, v1
	v_add_co_ci_u32_e64 v2, null, 0, v2, vcc_lo
	global_load_ushort v5, v[3:4], off
	v_cmpx_gt_i64_e64 s[10:11], v[1:2]
	s_cbranch_execz .LBB271_181
; %bb.174:
	v_add_co_u32 v3, vcc_lo, 0x200, v3
	v_add_co_ci_u32_e64 v4, null, 0, v4, vcc_lo
	s_mov_b32 s4, 0
	s_inst_prefetch 0x1
	s_branch .LBB271_177
	.p2align	6
.LBB271_175:                            ;   in Loop: Header=BB271_177 Depth=1
	s_or_b32 exec_lo, exec_lo, s5
	v_mov_b32_e32 v5, v7
.LBB271_176:                            ;   in Loop: Header=BB271_177 Depth=1
	s_or_b32 exec_lo, exec_lo, s0
	v_add_co_u32 v1, vcc_lo, 0x100, v1
	v_add_co_ci_u32_e64 v2, null, 0, v2, vcc_lo
	v_add_co_u32 v3, s0, 0x200, v3
	v_add_co_ci_u32_e64 v4, null, 0, v4, s0
	v_cmp_le_i64_e32 vcc_lo, s[10:11], v[1:2]
	s_or_b32 s4, vcc_lo, s4
	s_andn2_b32 exec_lo, exec_lo, s4
	s_cbranch_execz .LBB271_180
.LBB271_177:                            ; =>This Inner Loop Header: Depth=1
	s_waitcnt vmcnt(0)
	v_lshlrev_b32_e32 v6, 16, v5
	s_mov_b32 s0, exec_lo
	v_cmpx_o_f32_e32 v6, v6
	s_cbranch_execz .LBB271_176
; %bb.178:                              ;   in Loop: Header=BB271_177 Depth=1
	global_load_ushort v7, v[3:4], off
	s_mov_b32 s5, exec_lo
	s_waitcnt vmcnt(0)
	v_lshlrev_b32_e32 v8, 16, v7
	v_cmpx_o_f32_e32 v8, v8
	s_cbranch_execz .LBB271_175
; %bb.179:                              ;   in Loop: Header=BB271_177 Depth=1
	v_cmp_lt_f32_e32 vcc_lo, v8, v6
	v_cndmask_b32_e32 v7, v5, v7, vcc_lo
	s_branch .LBB271_175
.LBB271_180:
	s_inst_prefetch 0x2
	s_or_b32 exec_lo, exec_lo, s4
.LBB271_181:
	s_or_b32 exec_lo, exec_lo, s3
.LBB271_182:
	s_or_b32 exec_lo, exec_lo, s2
	v_lshrrev_b32_e32 v3, 5, v0
	s_waitcnt lgkmcnt(0)
	v_mbcnt_lo_u32_b32 v1, -1, 0
	s_waitcnt vmcnt(0)
	v_and_b32_e32 v4, 0xffff, v5
	s_cmpk_lt_u32 s1, 0x100
	s_mov_b32 s0, -1
                                        ; implicit-def: $vgpr2
	s_cbranch_scc0 .LBB271_236
; %bb.183:
	v_cmp_ne_u32_e32 vcc_lo, 31, v1
	v_mov_b32_e32 v8, v4
	v_add_co_ci_u32_e64 v2, null, 0, v1, vcc_lo
	v_lshlrev_b32_e32 v2, 2, v2
	ds_bpermute_b32 v7, v2, v4
	v_and_b32_e32 v2, 0xe0, v0
	v_sub_nc_u32_e64 v6, s1, v2 clamp
	v_add_nc_u32_e32 v2, 1, v1
	v_cmp_lt_u32_e32 vcc_lo, v2, v6
	v_mov_b32_e32 v2, v5
	s_and_saveexec_b32 s0, vcc_lo
	s_cbranch_execz .LBB271_189
; %bb.184:
	v_lshlrev_b32_e32 v8, 16, v4
	v_mov_b32_e32 v2, v5
	s_mov_b32 s2, exec_lo
	v_cmpx_o_f32_e32 v8, v8
	s_cbranch_execz .LBB271_188
; %bb.185:
	s_waitcnt lgkmcnt(0)
	v_lshlrev_b32_e32 v2, 16, v7
	s_mov_b32 s3, exec_lo
	v_cmpx_o_f32_e32 v2, v2
; %bb.186:
	v_cmp_lt_f32_e32 vcc_lo, v2, v8
	v_cndmask_b32_e32 v7, v5, v7, vcc_lo
; %bb.187:
	s_or_b32 exec_lo, exec_lo, s3
	v_mov_b32_e32 v2, v7
.LBB271_188:
	s_or_b32 exec_lo, exec_lo, s2
	v_and_b32_e32 v8, 0xffff, v2
.LBB271_189:
	s_or_b32 exec_lo, exec_lo, s0
	v_cmp_gt_u32_e32 vcc_lo, 30, v1
	v_add_nc_u32_e32 v9, 2, v1
	s_mov_b32 s0, exec_lo
	s_waitcnt lgkmcnt(0)
	v_cndmask_b32_e64 v7, 0, 2, vcc_lo
	v_add_lshl_u32 v7, v7, v1, 2
	ds_bpermute_b32 v7, v7, v8
	v_cmpx_lt_u32_e64 v9, v6
	s_cbranch_execz .LBB271_195
; %bb.190:
	v_lshlrev_b32_e32 v8, 16, v8
	s_mov_b32 s2, exec_lo
	v_cmpx_o_f32_e32 v8, v8
	s_cbranch_execz .LBB271_194
; %bb.191:
	s_waitcnt lgkmcnt(0)
	v_lshlrev_b32_e32 v9, 16, v7
	s_mov_b32 s3, exec_lo
	v_cmpx_o_f32_e32 v9, v9
; %bb.192:
	v_cmp_lt_f32_e32 vcc_lo, v9, v8
	v_cndmask_b32_e32 v7, v2, v7, vcc_lo
; %bb.193:
	s_or_b32 exec_lo, exec_lo, s3
	v_mov_b32_e32 v2, v7
.LBB271_194:
	s_or_b32 exec_lo, exec_lo, s2
	v_and_b32_e32 v8, 0xffff, v2
.LBB271_195:
	s_or_b32 exec_lo, exec_lo, s0
	v_cmp_gt_u32_e32 vcc_lo, 28, v1
	v_add_nc_u32_e32 v9, 4, v1
	s_mov_b32 s0, exec_lo
	s_waitcnt lgkmcnt(0)
	v_cndmask_b32_e64 v7, 0, 4, vcc_lo
	v_add_lshl_u32 v7, v7, v1, 2
	ds_bpermute_b32 v7, v7, v8
	v_cmpx_lt_u32_e64 v9, v6
	s_cbranch_execz .LBB271_201
; %bb.196:
	v_lshlrev_b32_e32 v8, 16, v8
	s_mov_b32 s2, exec_lo
	v_cmpx_o_f32_e32 v8, v8
	s_cbranch_execz .LBB271_200
; %bb.197:
	s_waitcnt lgkmcnt(0)
	v_lshlrev_b32_e32 v9, 16, v7
	s_mov_b32 s3, exec_lo
	v_cmpx_o_f32_e32 v9, v9
; %bb.198:
	v_cmp_lt_f32_e32 vcc_lo, v9, v8
	v_cndmask_b32_e32 v7, v2, v7, vcc_lo
; %bb.199:
	s_or_b32 exec_lo, exec_lo, s3
	v_mov_b32_e32 v2, v7
.LBB271_200:
	s_or_b32 exec_lo, exec_lo, s2
	v_and_b32_e32 v8, 0xffff, v2
.LBB271_201:
	;; [unrolled: 30-line block ×3, first 2 shown]
	s_or_b32 exec_lo, exec_lo, s0
	s_waitcnt lgkmcnt(0)
	v_lshlrev_b32_e32 v7, 2, v1
	v_add_nc_u32_e32 v10, 16, v1
	s_mov_b32 s0, exec_lo
	v_or_b32_e32 v9, 64, v7
	ds_bpermute_b32 v9, v9, v8
	v_cmpx_lt_u32_e64 v10, v6
	s_cbranch_execz .LBB271_213
; %bb.208:
	v_lshlrev_b32_e32 v6, 16, v8
	s_mov_b32 s2, exec_lo
	v_cmpx_o_f32_e32 v6, v6
	s_cbranch_execz .LBB271_212
; %bb.209:
	s_waitcnt lgkmcnt(0)
	v_lshlrev_b32_e32 v8, 16, v9
	s_mov_b32 s3, exec_lo
	v_cmpx_o_f32_e32 v8, v8
; %bb.210:
	v_cmp_lt_f32_e32 vcc_lo, v8, v6
	v_cndmask_b32_e32 v9, v2, v9, vcc_lo
; %bb.211:
	s_or_b32 exec_lo, exec_lo, s3
	v_mov_b32_e32 v2, v9
.LBB271_212:
	s_or_b32 exec_lo, exec_lo, s2
.LBB271_213:
	s_or_b32 exec_lo, exec_lo, s0
	s_mov_b32 s0, exec_lo
	v_cmpx_eq_u32_e32 0, v1
; %bb.214:
	v_lshlrev_b32_e32 v6, 1, v3
	ds_write_b16 v6, v2
; %bb.215:
	s_or_b32 exec_lo, exec_lo, s0
	s_mov_b32 s0, exec_lo
	s_waitcnt lgkmcnt(0)
	s_barrier
	buffer_gl0_inv
	v_cmpx_gt_u32_e32 8, v0
	s_cbranch_execz .LBB271_235
; %bb.216:
	v_lshlrev_b32_e32 v2, 1, v1
	v_and_b32_e32 v6, 7, v1
	s_add_i32 s1, s1, 31
	s_mov_b32 s2, exec_lo
	s_lshr_b32 s1, s1, 5
	ds_read_u16 v2, v2
	v_cmp_ne_u32_e32 vcc_lo, 7, v6
	v_add_nc_u32_e32 v10, 1, v6
	v_add_co_ci_u32_e64 v8, null, 0, v1, vcc_lo
	v_lshlrev_b32_e32 v9, 2, v8
	s_waitcnt lgkmcnt(0)
	v_and_b32_e32 v8, 0xffff, v2
	ds_bpermute_b32 v9, v9, v8
	v_cmpx_gt_u32_e64 s1, v10
	s_cbranch_execz .LBB271_222
; %bb.217:
	v_lshlrev_b32_e32 v8, 16, v8
	s_mov_b32 s3, exec_lo
	v_cmpx_o_f32_e32 v8, v8
	s_cbranch_execz .LBB271_221
; %bb.218:
	s_waitcnt lgkmcnt(0)
	v_lshlrev_b32_e32 v10, 16, v9
	s_mov_b32 s4, exec_lo
	v_cmpx_o_f32_e32 v10, v10
; %bb.219:
	v_cmp_lt_f32_e32 vcc_lo, v10, v8
	v_cndmask_b32_e32 v9, v2, v9, vcc_lo
; %bb.220:
	s_or_b32 exec_lo, exec_lo, s4
	v_mov_b32_e32 v2, v9
.LBB271_221:
	s_or_b32 exec_lo, exec_lo, s3
	v_and_b32_e32 v8, 0xffff, v2
.LBB271_222:
	s_or_b32 exec_lo, exec_lo, s2
	v_cmp_gt_u32_e32 vcc_lo, 6, v6
	v_add_nc_u32_e32 v10, 2, v6
	s_mov_b32 s2, exec_lo
	s_waitcnt lgkmcnt(0)
	v_cndmask_b32_e64 v9, 0, 2, vcc_lo
	v_add_lshl_u32 v9, v9, v1, 2
	ds_bpermute_b32 v9, v9, v8
	v_cmpx_gt_u32_e64 s1, v10
	s_cbranch_execz .LBB271_228
; %bb.223:
	v_lshlrev_b32_e32 v8, 16, v8
	s_mov_b32 s3, exec_lo
	v_cmpx_o_f32_e32 v8, v8
	s_cbranch_execz .LBB271_227
; %bb.224:
	s_waitcnt lgkmcnt(0)
	v_lshlrev_b32_e32 v10, 16, v9
	s_mov_b32 s4, exec_lo
	v_cmpx_o_f32_e32 v10, v10
; %bb.225:
	v_cmp_lt_f32_e32 vcc_lo, v10, v8
	v_cndmask_b32_e32 v9, v2, v9, vcc_lo
; %bb.226:
	s_or_b32 exec_lo, exec_lo, s4
	v_mov_b32_e32 v2, v9
.LBB271_227:
	s_or_b32 exec_lo, exec_lo, s3
	v_and_b32_e32 v8, 0xffff, v2
.LBB271_228:
	s_or_b32 exec_lo, exec_lo, s2
	v_or_b32_e32 v7, 16, v7
	v_add_nc_u32_e32 v6, 4, v6
	ds_bpermute_b32 v7, v7, v8
	v_cmp_gt_u32_e32 vcc_lo, s1, v6
	s_and_saveexec_b32 s1, vcc_lo
	s_cbranch_execz .LBB271_234
; %bb.229:
	v_lshlrev_b32_e32 v6, 16, v8
	s_mov_b32 s2, exec_lo
	v_cmpx_o_f32_e32 v6, v6
	s_cbranch_execz .LBB271_233
; %bb.230:
	s_waitcnt lgkmcnt(0)
	v_lshlrev_b32_e32 v8, 16, v7
	s_mov_b32 s3, exec_lo
	v_cmpx_o_f32_e32 v8, v8
; %bb.231:
	v_cmp_lt_f32_e32 vcc_lo, v8, v6
	v_cndmask_b32_e32 v7, v2, v7, vcc_lo
; %bb.232:
	s_or_b32 exec_lo, exec_lo, s3
	v_mov_b32_e32 v2, v7
.LBB271_233:
	s_or_b32 exec_lo, exec_lo, s2
.LBB271_234:
	s_or_b32 exec_lo, exec_lo, s1
.LBB271_235:
	s_or_b32 exec_lo, exec_lo, s0
	s_mov_b32 s0, 0
.LBB271_236:
	s_and_b32 vcc_lo, exec_lo, s0
	s_cbranch_vccz .LBB271_274
; %bb.237:
	v_mov_b32_dpp v2, v4 quad_perm:[1,0,3,2] row_mask:0xf bank_mask:0xf
	s_mov_b32 s0, exec_lo
	v_lshlrev_b32_e32 v6, 16, v2
	v_cmpx_o_f32_e32 v6, v6
	s_cbranch_execz .LBB271_241
; %bb.238:
	v_lshlrev_b32_e32 v4, 16, v4
	s_mov_b32 s1, exec_lo
	v_cmpx_o_f32_e32 v4, v4
; %bb.239:
	v_cmp_lt_f32_e32 vcc_lo, v4, v6
	v_cndmask_b32_e32 v5, v2, v5, vcc_lo
; %bb.240:
	s_or_b32 exec_lo, exec_lo, s1
	v_mov_b32_e32 v2, v5
.LBB271_241:
	s_or_b32 exec_lo, exec_lo, s0
	v_and_b32_e32 v6, 0xffff, v2
	s_mov_b32 s0, exec_lo
	v_mov_b32_dpp v4, v6 quad_perm:[2,3,0,1] row_mask:0xf bank_mask:0xf
	v_lshlrev_b32_e32 v5, 16, v4
	v_cmpx_o_f32_e32 v5, v5
	s_cbranch_execz .LBB271_245
; %bb.242:
	v_lshlrev_b32_e32 v6, 16, v6
	s_mov_b32 s1, exec_lo
	v_cmpx_o_f32_e32 v6, v6
; %bb.243:
	v_cmp_lt_f32_e32 vcc_lo, v6, v5
	v_cndmask_b32_e32 v2, v4, v2, vcc_lo
; %bb.244:
	s_or_b32 exec_lo, exec_lo, s1
	v_mov_b32_e32 v4, v2
.LBB271_245:
	s_or_b32 exec_lo, exec_lo, s0
	v_and_b32_e32 v6, 0xffff, v4
	s_mov_b32 s0, exec_lo
	v_mov_b32_dpp v2, v6 row_ror:4 row_mask:0xf bank_mask:0xf
	v_lshlrev_b32_e32 v5, 16, v2
	v_cmpx_o_f32_e32 v5, v5
	s_cbranch_execz .LBB271_249
; %bb.246:
	v_lshlrev_b32_e32 v6, 16, v6
	s_mov_b32 s1, exec_lo
	v_cmpx_o_f32_e32 v6, v6
; %bb.247:
	v_cmp_lt_f32_e32 vcc_lo, v6, v5
	v_cndmask_b32_e32 v4, v2, v4, vcc_lo
; %bb.248:
	s_or_b32 exec_lo, exec_lo, s1
	v_mov_b32_e32 v2, v4
.LBB271_249:
	s_or_b32 exec_lo, exec_lo, s0
	v_and_b32_e32 v6, 0xffff, v2
	s_mov_b32 s0, exec_lo
	v_mov_b32_dpp v4, v6 row_ror:8 row_mask:0xf bank_mask:0xf
	v_lshlrev_b32_e32 v5, 16, v4
	v_cmpx_o_f32_e32 v5, v5
	s_cbranch_execz .LBB271_253
; %bb.250:
	v_lshlrev_b32_e32 v6, 16, v6
	s_mov_b32 s1, exec_lo
	v_cmpx_o_f32_e32 v6, v6
; %bb.251:
	v_cmp_lt_f32_e32 vcc_lo, v6, v5
	v_cndmask_b32_e32 v2, v4, v2, vcc_lo
; %bb.252:
	s_or_b32 exec_lo, exec_lo, s1
	v_mov_b32_e32 v4, v2
.LBB271_253:
	s_or_b32 exec_lo, exec_lo, s0
	v_and_b32_e32 v6, 0xffff, v4
	s_mov_b32 s0, exec_lo
	ds_swizzle_b32 v2, v6 offset:swizzle(BROADCAST,32,15)
	s_waitcnt lgkmcnt(0)
	v_lshlrev_b32_e32 v5, 16, v2
	v_cmpx_o_f32_e32 v5, v5
	s_cbranch_execz .LBB271_257
; %bb.254:
	v_lshlrev_b32_e32 v6, 16, v6
	s_mov_b32 s1, exec_lo
	v_cmpx_o_f32_e32 v6, v6
; %bb.255:
	v_cmp_lt_f32_e32 vcc_lo, v6, v5
	v_cndmask_b32_e32 v4, v2, v4, vcc_lo
; %bb.256:
	s_or_b32 exec_lo, exec_lo, s1
	v_mov_b32_e32 v2, v4
.LBB271_257:
	s_or_b32 exec_lo, exec_lo, s0
	v_and_b32_e32 v2, 0xffff, v2
	v_mov_b32_e32 v4, 0
	s_mov_b32 s0, exec_lo
	ds_bpermute_b32 v2, v4, v2 offset:124
	v_cmpx_eq_u32_e32 0, v1
	s_cbranch_execz .LBB271_259
; %bb.258:
	v_lshlrev_b32_e32 v3, 1, v3
	s_waitcnt lgkmcnt(0)
	ds_write_b16 v3, v2
.LBB271_259:
	s_or_b32 exec_lo, exec_lo, s0
	s_mov_b32 s0, exec_lo
	s_waitcnt lgkmcnt(0)
	s_barrier
	buffer_gl0_inv
	v_cmpx_gt_u32_e32 32, v0
	s_cbranch_execz .LBB271_273
; %bb.260:
	v_and_b32_e32 v3, 7, v1
	s_mov_b32 s1, exec_lo
	v_lshlrev_b32_e32 v2, 1, v3
	v_cmp_ne_u32_e32 vcc_lo, 7, v3
	ds_read_u16 v2, v2
	v_add_co_ci_u32_e64 v4, null, 0, v1, vcc_lo
	v_lshlrev_b32_e32 v4, 2, v4
	s_waitcnt lgkmcnt(0)
	v_and_b32_e32 v5, 0xffff, v2
	ds_bpermute_b32 v4, v4, v5
	v_lshlrev_b32_e32 v5, 16, v2
	v_cmpx_o_f32_e32 v5, v5
	s_cbranch_execz .LBB271_264
; %bb.261:
	s_waitcnt lgkmcnt(0)
	v_lshlrev_b32_e32 v6, 16, v4
	s_mov_b32 s2, exec_lo
	v_cmpx_o_f32_e32 v6, v6
; %bb.262:
	v_cmp_lt_f32_e32 vcc_lo, v6, v5
	v_cndmask_b32_e32 v4, v2, v4, vcc_lo
; %bb.263:
	s_or_b32 exec_lo, exec_lo, s2
	v_mov_b32_e32 v2, v4
.LBB271_264:
	s_or_b32 exec_lo, exec_lo, s1
	v_cmp_gt_u32_e32 vcc_lo, 6, v3
	s_waitcnt lgkmcnt(0)
	v_and_b32_e32 v4, 0xffff, v2
	s_mov_b32 s1, exec_lo
	v_cndmask_b32_e64 v3, 0, 2, vcc_lo
	v_add_lshl_u32 v3, v3, v1, 2
	v_lshlrev_b32_e32 v1, 2, v1
	ds_bpermute_b32 v3, v3, v4
	v_lshlrev_b32_e32 v4, 16, v2
	v_cmpx_o_f32_e32 v4, v4
	s_cbranch_execz .LBB271_268
; %bb.265:
	s_waitcnt lgkmcnt(0)
	v_lshlrev_b32_e32 v5, 16, v3
	s_mov_b32 s2, exec_lo
	v_cmpx_o_f32_e32 v5, v5
; %bb.266:
	v_cmp_lt_f32_e32 vcc_lo, v5, v4
	v_cndmask_b32_e32 v3, v2, v3, vcc_lo
; %bb.267:
	s_or_b32 exec_lo, exec_lo, s2
	v_mov_b32_e32 v2, v3
.LBB271_268:
	s_or_b32 exec_lo, exec_lo, s1
	v_or_b32_e32 v1, 16, v1
	s_waitcnt lgkmcnt(0)
	v_and_b32_e32 v3, 0xffff, v2
	s_mov_b32 s1, exec_lo
	ds_bpermute_b32 v1, v1, v3
	v_lshlrev_b32_e32 v3, 16, v2
	v_cmpx_o_f32_e32 v3, v3
	s_cbranch_execz .LBB271_272
; %bb.269:
	s_waitcnt lgkmcnt(0)
	v_lshlrev_b32_e32 v4, 16, v1
	s_mov_b32 s2, exec_lo
	v_cmpx_o_f32_e32 v4, v4
; %bb.270:
	v_cmp_lt_f32_e32 vcc_lo, v4, v3
	v_cndmask_b32_e32 v1, v2, v1, vcc_lo
; %bb.271:
	s_or_b32 exec_lo, exec_lo, s2
	v_mov_b32_e32 v2, v1
.LBB271_272:
	s_or_b32 exec_lo, exec_lo, s1
.LBB271_273:
	s_or_b32 exec_lo, exec_lo, s0
.LBB271_274:
	s_mov_b32 s0, exec_lo
                                        ; implicit-def: $vgpr1
	v_cmpx_eq_u32_e32 0, v0
	s_cbranch_execz .LBB271_280
; %bb.275:
	s_lshl_b32 s1, s9, 16
	s_waitcnt lgkmcnt(0)
	v_mov_b32_e32 v1, s9
	v_cmp_u_f32_e64 s2, s1, s1
	s_and_b32 vcc_lo, exec_lo, s2
	s_cbranch_vccnz .LBB271_279
; %bb.276:
	v_lshlrev_b32_e32 v0, 16, v2
	s_mov_b32 s2, exec_lo
	v_cmpx_o_f32_e32 v0, v0
; %bb.277:
	v_cmp_gt_f32_e32 vcc_lo, s1, v0
	v_cndmask_b32_e32 v2, s9, v2, vcc_lo
; %bb.278:
	s_or_b32 exec_lo, exec_lo, s2
	v_mov_b32_e32 v1, v2
.LBB271_279:
	s_or_b32 s22, s22, exec_lo
.LBB271_280:
	s_or_b32 exec_lo, exec_lo, s0
	s_and_saveexec_b32 s0, s22
	s_cbranch_execz .LBB271_282
.LBB271_281:
	s_lshl_b64 s[0:1], s[16:17], 1
	v_mov_b32_e32 v0, 0
	s_add_u32 s2, s14, s0
	s_addc_u32 s3, s15, s1
	s_lshl_b64 s[0:1], s[6:7], 1
	s_add_u32 s0, s2, s0
	s_addc_u32 s1, s3, s1
	s_waitcnt lgkmcnt(0)
	global_store_short v0, v1, s[0:1]
.LBB271_282:
	s_endpgm
	.section	.rodata,"a",@progbits
	.p2align	6, 0x0
	.amdhsa_kernel _ZN7rocprim17ROCPRIM_400000_NS6detail17trampoline_kernelINS0_14default_configENS1_32segmented_reduce_config_selectorIN3c108BFloat16EEEZNS1_21segmented_reduce_implIS3_PKS6_PS6_PKlS6_N6hipcub16HIPCUB_304000_NS6detail27convert_result_type_wrapperISA_SB_N2at6native12_GLOBAL__N_19CustomMinEEEEE10hipError_tPvRmT0_T1_jT2_SS_T4_T3_P12ihipStream_tbEUlT_E_NS1_11comp_targetILNS1_3genE8ELNS1_11target_archE1030ELNS1_3gpuE2ELNS1_3repE0EEENS1_30default_config_static_selectorELNS0_4arch9wavefront6targetE0EEEvSR_
		.amdhsa_group_segment_fixed_size 16
		.amdhsa_private_segment_fixed_size 0
		.amdhsa_kernarg_size 48
		.amdhsa_user_sgpr_count 6
		.amdhsa_user_sgpr_private_segment_buffer 1
		.amdhsa_user_sgpr_dispatch_ptr 0
		.amdhsa_user_sgpr_queue_ptr 0
		.amdhsa_user_sgpr_kernarg_segment_ptr 1
		.amdhsa_user_sgpr_dispatch_id 0
		.amdhsa_user_sgpr_flat_scratch_init 0
		.amdhsa_user_sgpr_private_segment_size 0
		.amdhsa_wavefront_size32 1
		.amdhsa_uses_dynamic_stack 0
		.amdhsa_system_sgpr_private_segment_wavefront_offset 0
		.amdhsa_system_sgpr_workgroup_id_x 1
		.amdhsa_system_sgpr_workgroup_id_y 0
		.amdhsa_system_sgpr_workgroup_id_z 0
		.amdhsa_system_sgpr_workgroup_info 0
		.amdhsa_system_vgpr_workitem_id 0
		.amdhsa_next_free_vgpr 16
		.amdhsa_next_free_sgpr 25
		.amdhsa_reserve_vcc 1
		.amdhsa_reserve_flat_scratch 0
		.amdhsa_float_round_mode_32 0
		.amdhsa_float_round_mode_16_64 0
		.amdhsa_float_denorm_mode_32 3
		.amdhsa_float_denorm_mode_16_64 3
		.amdhsa_dx10_clamp 1
		.amdhsa_ieee_mode 1
		.amdhsa_fp16_overflow 0
		.amdhsa_workgroup_processor_mode 1
		.amdhsa_memory_ordered 1
		.amdhsa_forward_progress 1
		.amdhsa_shared_vgpr_count 0
		.amdhsa_exception_fp_ieee_invalid_op 0
		.amdhsa_exception_fp_denorm_src 0
		.amdhsa_exception_fp_ieee_div_zero 0
		.amdhsa_exception_fp_ieee_overflow 0
		.amdhsa_exception_fp_ieee_underflow 0
		.amdhsa_exception_fp_ieee_inexact 0
		.amdhsa_exception_int_div_zero 0
	.end_amdhsa_kernel
	.section	.text._ZN7rocprim17ROCPRIM_400000_NS6detail17trampoline_kernelINS0_14default_configENS1_32segmented_reduce_config_selectorIN3c108BFloat16EEEZNS1_21segmented_reduce_implIS3_PKS6_PS6_PKlS6_N6hipcub16HIPCUB_304000_NS6detail27convert_result_type_wrapperISA_SB_N2at6native12_GLOBAL__N_19CustomMinEEEEE10hipError_tPvRmT0_T1_jT2_SS_T4_T3_P12ihipStream_tbEUlT_E_NS1_11comp_targetILNS1_3genE8ELNS1_11target_archE1030ELNS1_3gpuE2ELNS1_3repE0EEENS1_30default_config_static_selectorELNS0_4arch9wavefront6targetE0EEEvSR_,"axG",@progbits,_ZN7rocprim17ROCPRIM_400000_NS6detail17trampoline_kernelINS0_14default_configENS1_32segmented_reduce_config_selectorIN3c108BFloat16EEEZNS1_21segmented_reduce_implIS3_PKS6_PS6_PKlS6_N6hipcub16HIPCUB_304000_NS6detail27convert_result_type_wrapperISA_SB_N2at6native12_GLOBAL__N_19CustomMinEEEEE10hipError_tPvRmT0_T1_jT2_SS_T4_T3_P12ihipStream_tbEUlT_E_NS1_11comp_targetILNS1_3genE8ELNS1_11target_archE1030ELNS1_3gpuE2ELNS1_3repE0EEENS1_30default_config_static_selectorELNS0_4arch9wavefront6targetE0EEEvSR_,comdat
.Lfunc_end271:
	.size	_ZN7rocprim17ROCPRIM_400000_NS6detail17trampoline_kernelINS0_14default_configENS1_32segmented_reduce_config_selectorIN3c108BFloat16EEEZNS1_21segmented_reduce_implIS3_PKS6_PS6_PKlS6_N6hipcub16HIPCUB_304000_NS6detail27convert_result_type_wrapperISA_SB_N2at6native12_GLOBAL__N_19CustomMinEEEEE10hipError_tPvRmT0_T1_jT2_SS_T4_T3_P12ihipStream_tbEUlT_E_NS1_11comp_targetILNS1_3genE8ELNS1_11target_archE1030ELNS1_3gpuE2ELNS1_3repE0EEENS1_30default_config_static_selectorELNS0_4arch9wavefront6targetE0EEEvSR_, .Lfunc_end271-_ZN7rocprim17ROCPRIM_400000_NS6detail17trampoline_kernelINS0_14default_configENS1_32segmented_reduce_config_selectorIN3c108BFloat16EEEZNS1_21segmented_reduce_implIS3_PKS6_PS6_PKlS6_N6hipcub16HIPCUB_304000_NS6detail27convert_result_type_wrapperISA_SB_N2at6native12_GLOBAL__N_19CustomMinEEEEE10hipError_tPvRmT0_T1_jT2_SS_T4_T3_P12ihipStream_tbEUlT_E_NS1_11comp_targetILNS1_3genE8ELNS1_11target_archE1030ELNS1_3gpuE2ELNS1_3repE0EEENS1_30default_config_static_selectorELNS0_4arch9wavefront6targetE0EEEvSR_
                                        ; -- End function
	.set _ZN7rocprim17ROCPRIM_400000_NS6detail17trampoline_kernelINS0_14default_configENS1_32segmented_reduce_config_selectorIN3c108BFloat16EEEZNS1_21segmented_reduce_implIS3_PKS6_PS6_PKlS6_N6hipcub16HIPCUB_304000_NS6detail27convert_result_type_wrapperISA_SB_N2at6native12_GLOBAL__N_19CustomMinEEEEE10hipError_tPvRmT0_T1_jT2_SS_T4_T3_P12ihipStream_tbEUlT_E_NS1_11comp_targetILNS1_3genE8ELNS1_11target_archE1030ELNS1_3gpuE2ELNS1_3repE0EEENS1_30default_config_static_selectorELNS0_4arch9wavefront6targetE0EEEvSR_.num_vgpr, 16
	.set _ZN7rocprim17ROCPRIM_400000_NS6detail17trampoline_kernelINS0_14default_configENS1_32segmented_reduce_config_selectorIN3c108BFloat16EEEZNS1_21segmented_reduce_implIS3_PKS6_PS6_PKlS6_N6hipcub16HIPCUB_304000_NS6detail27convert_result_type_wrapperISA_SB_N2at6native12_GLOBAL__N_19CustomMinEEEEE10hipError_tPvRmT0_T1_jT2_SS_T4_T3_P12ihipStream_tbEUlT_E_NS1_11comp_targetILNS1_3genE8ELNS1_11target_archE1030ELNS1_3gpuE2ELNS1_3repE0EEENS1_30default_config_static_selectorELNS0_4arch9wavefront6targetE0EEEvSR_.num_agpr, 0
	.set _ZN7rocprim17ROCPRIM_400000_NS6detail17trampoline_kernelINS0_14default_configENS1_32segmented_reduce_config_selectorIN3c108BFloat16EEEZNS1_21segmented_reduce_implIS3_PKS6_PS6_PKlS6_N6hipcub16HIPCUB_304000_NS6detail27convert_result_type_wrapperISA_SB_N2at6native12_GLOBAL__N_19CustomMinEEEEE10hipError_tPvRmT0_T1_jT2_SS_T4_T3_P12ihipStream_tbEUlT_E_NS1_11comp_targetILNS1_3genE8ELNS1_11target_archE1030ELNS1_3gpuE2ELNS1_3repE0EEENS1_30default_config_static_selectorELNS0_4arch9wavefront6targetE0EEEvSR_.numbered_sgpr, 25
	.set _ZN7rocprim17ROCPRIM_400000_NS6detail17trampoline_kernelINS0_14default_configENS1_32segmented_reduce_config_selectorIN3c108BFloat16EEEZNS1_21segmented_reduce_implIS3_PKS6_PS6_PKlS6_N6hipcub16HIPCUB_304000_NS6detail27convert_result_type_wrapperISA_SB_N2at6native12_GLOBAL__N_19CustomMinEEEEE10hipError_tPvRmT0_T1_jT2_SS_T4_T3_P12ihipStream_tbEUlT_E_NS1_11comp_targetILNS1_3genE8ELNS1_11target_archE1030ELNS1_3gpuE2ELNS1_3repE0EEENS1_30default_config_static_selectorELNS0_4arch9wavefront6targetE0EEEvSR_.num_named_barrier, 0
	.set _ZN7rocprim17ROCPRIM_400000_NS6detail17trampoline_kernelINS0_14default_configENS1_32segmented_reduce_config_selectorIN3c108BFloat16EEEZNS1_21segmented_reduce_implIS3_PKS6_PS6_PKlS6_N6hipcub16HIPCUB_304000_NS6detail27convert_result_type_wrapperISA_SB_N2at6native12_GLOBAL__N_19CustomMinEEEEE10hipError_tPvRmT0_T1_jT2_SS_T4_T3_P12ihipStream_tbEUlT_E_NS1_11comp_targetILNS1_3genE8ELNS1_11target_archE1030ELNS1_3gpuE2ELNS1_3repE0EEENS1_30default_config_static_selectorELNS0_4arch9wavefront6targetE0EEEvSR_.private_seg_size, 0
	.set _ZN7rocprim17ROCPRIM_400000_NS6detail17trampoline_kernelINS0_14default_configENS1_32segmented_reduce_config_selectorIN3c108BFloat16EEEZNS1_21segmented_reduce_implIS3_PKS6_PS6_PKlS6_N6hipcub16HIPCUB_304000_NS6detail27convert_result_type_wrapperISA_SB_N2at6native12_GLOBAL__N_19CustomMinEEEEE10hipError_tPvRmT0_T1_jT2_SS_T4_T3_P12ihipStream_tbEUlT_E_NS1_11comp_targetILNS1_3genE8ELNS1_11target_archE1030ELNS1_3gpuE2ELNS1_3repE0EEENS1_30default_config_static_selectorELNS0_4arch9wavefront6targetE0EEEvSR_.uses_vcc, 1
	.set _ZN7rocprim17ROCPRIM_400000_NS6detail17trampoline_kernelINS0_14default_configENS1_32segmented_reduce_config_selectorIN3c108BFloat16EEEZNS1_21segmented_reduce_implIS3_PKS6_PS6_PKlS6_N6hipcub16HIPCUB_304000_NS6detail27convert_result_type_wrapperISA_SB_N2at6native12_GLOBAL__N_19CustomMinEEEEE10hipError_tPvRmT0_T1_jT2_SS_T4_T3_P12ihipStream_tbEUlT_E_NS1_11comp_targetILNS1_3genE8ELNS1_11target_archE1030ELNS1_3gpuE2ELNS1_3repE0EEENS1_30default_config_static_selectorELNS0_4arch9wavefront6targetE0EEEvSR_.uses_flat_scratch, 0
	.set _ZN7rocprim17ROCPRIM_400000_NS6detail17trampoline_kernelINS0_14default_configENS1_32segmented_reduce_config_selectorIN3c108BFloat16EEEZNS1_21segmented_reduce_implIS3_PKS6_PS6_PKlS6_N6hipcub16HIPCUB_304000_NS6detail27convert_result_type_wrapperISA_SB_N2at6native12_GLOBAL__N_19CustomMinEEEEE10hipError_tPvRmT0_T1_jT2_SS_T4_T3_P12ihipStream_tbEUlT_E_NS1_11comp_targetILNS1_3genE8ELNS1_11target_archE1030ELNS1_3gpuE2ELNS1_3repE0EEENS1_30default_config_static_selectorELNS0_4arch9wavefront6targetE0EEEvSR_.has_dyn_sized_stack, 0
	.set _ZN7rocprim17ROCPRIM_400000_NS6detail17trampoline_kernelINS0_14default_configENS1_32segmented_reduce_config_selectorIN3c108BFloat16EEEZNS1_21segmented_reduce_implIS3_PKS6_PS6_PKlS6_N6hipcub16HIPCUB_304000_NS6detail27convert_result_type_wrapperISA_SB_N2at6native12_GLOBAL__N_19CustomMinEEEEE10hipError_tPvRmT0_T1_jT2_SS_T4_T3_P12ihipStream_tbEUlT_E_NS1_11comp_targetILNS1_3genE8ELNS1_11target_archE1030ELNS1_3gpuE2ELNS1_3repE0EEENS1_30default_config_static_selectorELNS0_4arch9wavefront6targetE0EEEvSR_.has_recursion, 0
	.set _ZN7rocprim17ROCPRIM_400000_NS6detail17trampoline_kernelINS0_14default_configENS1_32segmented_reduce_config_selectorIN3c108BFloat16EEEZNS1_21segmented_reduce_implIS3_PKS6_PS6_PKlS6_N6hipcub16HIPCUB_304000_NS6detail27convert_result_type_wrapperISA_SB_N2at6native12_GLOBAL__N_19CustomMinEEEEE10hipError_tPvRmT0_T1_jT2_SS_T4_T3_P12ihipStream_tbEUlT_E_NS1_11comp_targetILNS1_3genE8ELNS1_11target_archE1030ELNS1_3gpuE2ELNS1_3repE0EEENS1_30default_config_static_selectorELNS0_4arch9wavefront6targetE0EEEvSR_.has_indirect_call, 0
	.section	.AMDGPU.csdata,"",@progbits
; Kernel info:
; codeLenInByte = 5304
; TotalNumSgprs: 27
; NumVgprs: 16
; ScratchSize: 0
; MemoryBound: 0
; FloatMode: 240
; IeeeMode: 1
; LDSByteSize: 16 bytes/workgroup (compile time only)
; SGPRBlocks: 0
; VGPRBlocks: 1
; NumSGPRsForWavesPerEU: 27
; NumVGPRsForWavesPerEU: 16
; Occupancy: 16
; WaveLimiterHint : 1
; COMPUTE_PGM_RSRC2:SCRATCH_EN: 0
; COMPUTE_PGM_RSRC2:USER_SGPR: 6
; COMPUTE_PGM_RSRC2:TRAP_HANDLER: 0
; COMPUTE_PGM_RSRC2:TGID_X_EN: 1
; COMPUTE_PGM_RSRC2:TGID_Y_EN: 0
; COMPUTE_PGM_RSRC2:TGID_Z_EN: 0
; COMPUTE_PGM_RSRC2:TIDIG_COMP_CNT: 0
	.section	.text._ZN7rocprim17ROCPRIM_400000_NS6detail17trampoline_kernelINS0_14default_configENS1_32segmented_reduce_config_selectorIN3c108BFloat16EEEZNS1_21segmented_reduce_implIS3_PKS6_PS6_PKlS6_N6hipcub16HIPCUB_304000_NS6detail27convert_result_type_wrapperISA_SB_N2at6native12_GLOBAL__N_110CustomProdEEEEE10hipError_tPvRmT0_T1_jT2_SS_T4_T3_P12ihipStream_tbEUlT_E_NS1_11comp_targetILNS1_3genE0ELNS1_11target_archE4294967295ELNS1_3gpuE0ELNS1_3repE0EEENS1_30default_config_static_selectorELNS0_4arch9wavefront6targetE0EEEvSR_,"axG",@progbits,_ZN7rocprim17ROCPRIM_400000_NS6detail17trampoline_kernelINS0_14default_configENS1_32segmented_reduce_config_selectorIN3c108BFloat16EEEZNS1_21segmented_reduce_implIS3_PKS6_PS6_PKlS6_N6hipcub16HIPCUB_304000_NS6detail27convert_result_type_wrapperISA_SB_N2at6native12_GLOBAL__N_110CustomProdEEEEE10hipError_tPvRmT0_T1_jT2_SS_T4_T3_P12ihipStream_tbEUlT_E_NS1_11comp_targetILNS1_3genE0ELNS1_11target_archE4294967295ELNS1_3gpuE0ELNS1_3repE0EEENS1_30default_config_static_selectorELNS0_4arch9wavefront6targetE0EEEvSR_,comdat
	.globl	_ZN7rocprim17ROCPRIM_400000_NS6detail17trampoline_kernelINS0_14default_configENS1_32segmented_reduce_config_selectorIN3c108BFloat16EEEZNS1_21segmented_reduce_implIS3_PKS6_PS6_PKlS6_N6hipcub16HIPCUB_304000_NS6detail27convert_result_type_wrapperISA_SB_N2at6native12_GLOBAL__N_110CustomProdEEEEE10hipError_tPvRmT0_T1_jT2_SS_T4_T3_P12ihipStream_tbEUlT_E_NS1_11comp_targetILNS1_3genE0ELNS1_11target_archE4294967295ELNS1_3gpuE0ELNS1_3repE0EEENS1_30default_config_static_selectorELNS0_4arch9wavefront6targetE0EEEvSR_ ; -- Begin function _ZN7rocprim17ROCPRIM_400000_NS6detail17trampoline_kernelINS0_14default_configENS1_32segmented_reduce_config_selectorIN3c108BFloat16EEEZNS1_21segmented_reduce_implIS3_PKS6_PS6_PKlS6_N6hipcub16HIPCUB_304000_NS6detail27convert_result_type_wrapperISA_SB_N2at6native12_GLOBAL__N_110CustomProdEEEEE10hipError_tPvRmT0_T1_jT2_SS_T4_T3_P12ihipStream_tbEUlT_E_NS1_11comp_targetILNS1_3genE0ELNS1_11target_archE4294967295ELNS1_3gpuE0ELNS1_3repE0EEENS1_30default_config_static_selectorELNS0_4arch9wavefront6targetE0EEEvSR_
	.p2align	8
	.type	_ZN7rocprim17ROCPRIM_400000_NS6detail17trampoline_kernelINS0_14default_configENS1_32segmented_reduce_config_selectorIN3c108BFloat16EEEZNS1_21segmented_reduce_implIS3_PKS6_PS6_PKlS6_N6hipcub16HIPCUB_304000_NS6detail27convert_result_type_wrapperISA_SB_N2at6native12_GLOBAL__N_110CustomProdEEEEE10hipError_tPvRmT0_T1_jT2_SS_T4_T3_P12ihipStream_tbEUlT_E_NS1_11comp_targetILNS1_3genE0ELNS1_11target_archE4294967295ELNS1_3gpuE0ELNS1_3repE0EEENS1_30default_config_static_selectorELNS0_4arch9wavefront6targetE0EEEvSR_,@function
_ZN7rocprim17ROCPRIM_400000_NS6detail17trampoline_kernelINS0_14default_configENS1_32segmented_reduce_config_selectorIN3c108BFloat16EEEZNS1_21segmented_reduce_implIS3_PKS6_PS6_PKlS6_N6hipcub16HIPCUB_304000_NS6detail27convert_result_type_wrapperISA_SB_N2at6native12_GLOBAL__N_110CustomProdEEEEE10hipError_tPvRmT0_T1_jT2_SS_T4_T3_P12ihipStream_tbEUlT_E_NS1_11comp_targetILNS1_3genE0ELNS1_11target_archE4294967295ELNS1_3gpuE0ELNS1_3repE0EEENS1_30default_config_static_selectorELNS0_4arch9wavefront6targetE0EEEvSR_: ; @_ZN7rocprim17ROCPRIM_400000_NS6detail17trampoline_kernelINS0_14default_configENS1_32segmented_reduce_config_selectorIN3c108BFloat16EEEZNS1_21segmented_reduce_implIS3_PKS6_PS6_PKlS6_N6hipcub16HIPCUB_304000_NS6detail27convert_result_type_wrapperISA_SB_N2at6native12_GLOBAL__N_110CustomProdEEEEE10hipError_tPvRmT0_T1_jT2_SS_T4_T3_P12ihipStream_tbEUlT_E_NS1_11comp_targetILNS1_3genE0ELNS1_11target_archE4294967295ELNS1_3gpuE0ELNS1_3repE0EEENS1_30default_config_static_selectorELNS0_4arch9wavefront6targetE0EEEvSR_
; %bb.0:
	.section	.rodata,"a",@progbits
	.p2align	6, 0x0
	.amdhsa_kernel _ZN7rocprim17ROCPRIM_400000_NS6detail17trampoline_kernelINS0_14default_configENS1_32segmented_reduce_config_selectorIN3c108BFloat16EEEZNS1_21segmented_reduce_implIS3_PKS6_PS6_PKlS6_N6hipcub16HIPCUB_304000_NS6detail27convert_result_type_wrapperISA_SB_N2at6native12_GLOBAL__N_110CustomProdEEEEE10hipError_tPvRmT0_T1_jT2_SS_T4_T3_P12ihipStream_tbEUlT_E_NS1_11comp_targetILNS1_3genE0ELNS1_11target_archE4294967295ELNS1_3gpuE0ELNS1_3repE0EEENS1_30default_config_static_selectorELNS0_4arch9wavefront6targetE0EEEvSR_
		.amdhsa_group_segment_fixed_size 0
		.amdhsa_private_segment_fixed_size 0
		.amdhsa_kernarg_size 48
		.amdhsa_user_sgpr_count 6
		.amdhsa_user_sgpr_private_segment_buffer 1
		.amdhsa_user_sgpr_dispatch_ptr 0
		.amdhsa_user_sgpr_queue_ptr 0
		.amdhsa_user_sgpr_kernarg_segment_ptr 1
		.amdhsa_user_sgpr_dispatch_id 0
		.amdhsa_user_sgpr_flat_scratch_init 0
		.amdhsa_user_sgpr_private_segment_size 0
		.amdhsa_wavefront_size32 1
		.amdhsa_uses_dynamic_stack 0
		.amdhsa_system_sgpr_private_segment_wavefront_offset 0
		.amdhsa_system_sgpr_workgroup_id_x 1
		.amdhsa_system_sgpr_workgroup_id_y 0
		.amdhsa_system_sgpr_workgroup_id_z 0
		.amdhsa_system_sgpr_workgroup_info 0
		.amdhsa_system_vgpr_workitem_id 0
		.amdhsa_next_free_vgpr 1
		.amdhsa_next_free_sgpr 1
		.amdhsa_reserve_vcc 0
		.amdhsa_reserve_flat_scratch 0
		.amdhsa_float_round_mode_32 0
		.amdhsa_float_round_mode_16_64 0
		.amdhsa_float_denorm_mode_32 3
		.amdhsa_float_denorm_mode_16_64 3
		.amdhsa_dx10_clamp 1
		.amdhsa_ieee_mode 1
		.amdhsa_fp16_overflow 0
		.amdhsa_workgroup_processor_mode 1
		.amdhsa_memory_ordered 1
		.amdhsa_forward_progress 1
		.amdhsa_shared_vgpr_count 0
		.amdhsa_exception_fp_ieee_invalid_op 0
		.amdhsa_exception_fp_denorm_src 0
		.amdhsa_exception_fp_ieee_div_zero 0
		.amdhsa_exception_fp_ieee_overflow 0
		.amdhsa_exception_fp_ieee_underflow 0
		.amdhsa_exception_fp_ieee_inexact 0
		.amdhsa_exception_int_div_zero 0
	.end_amdhsa_kernel
	.section	.text._ZN7rocprim17ROCPRIM_400000_NS6detail17trampoline_kernelINS0_14default_configENS1_32segmented_reduce_config_selectorIN3c108BFloat16EEEZNS1_21segmented_reduce_implIS3_PKS6_PS6_PKlS6_N6hipcub16HIPCUB_304000_NS6detail27convert_result_type_wrapperISA_SB_N2at6native12_GLOBAL__N_110CustomProdEEEEE10hipError_tPvRmT0_T1_jT2_SS_T4_T3_P12ihipStream_tbEUlT_E_NS1_11comp_targetILNS1_3genE0ELNS1_11target_archE4294967295ELNS1_3gpuE0ELNS1_3repE0EEENS1_30default_config_static_selectorELNS0_4arch9wavefront6targetE0EEEvSR_,"axG",@progbits,_ZN7rocprim17ROCPRIM_400000_NS6detail17trampoline_kernelINS0_14default_configENS1_32segmented_reduce_config_selectorIN3c108BFloat16EEEZNS1_21segmented_reduce_implIS3_PKS6_PS6_PKlS6_N6hipcub16HIPCUB_304000_NS6detail27convert_result_type_wrapperISA_SB_N2at6native12_GLOBAL__N_110CustomProdEEEEE10hipError_tPvRmT0_T1_jT2_SS_T4_T3_P12ihipStream_tbEUlT_E_NS1_11comp_targetILNS1_3genE0ELNS1_11target_archE4294967295ELNS1_3gpuE0ELNS1_3repE0EEENS1_30default_config_static_selectorELNS0_4arch9wavefront6targetE0EEEvSR_,comdat
.Lfunc_end272:
	.size	_ZN7rocprim17ROCPRIM_400000_NS6detail17trampoline_kernelINS0_14default_configENS1_32segmented_reduce_config_selectorIN3c108BFloat16EEEZNS1_21segmented_reduce_implIS3_PKS6_PS6_PKlS6_N6hipcub16HIPCUB_304000_NS6detail27convert_result_type_wrapperISA_SB_N2at6native12_GLOBAL__N_110CustomProdEEEEE10hipError_tPvRmT0_T1_jT2_SS_T4_T3_P12ihipStream_tbEUlT_E_NS1_11comp_targetILNS1_3genE0ELNS1_11target_archE4294967295ELNS1_3gpuE0ELNS1_3repE0EEENS1_30default_config_static_selectorELNS0_4arch9wavefront6targetE0EEEvSR_, .Lfunc_end272-_ZN7rocprim17ROCPRIM_400000_NS6detail17trampoline_kernelINS0_14default_configENS1_32segmented_reduce_config_selectorIN3c108BFloat16EEEZNS1_21segmented_reduce_implIS3_PKS6_PS6_PKlS6_N6hipcub16HIPCUB_304000_NS6detail27convert_result_type_wrapperISA_SB_N2at6native12_GLOBAL__N_110CustomProdEEEEE10hipError_tPvRmT0_T1_jT2_SS_T4_T3_P12ihipStream_tbEUlT_E_NS1_11comp_targetILNS1_3genE0ELNS1_11target_archE4294967295ELNS1_3gpuE0ELNS1_3repE0EEENS1_30default_config_static_selectorELNS0_4arch9wavefront6targetE0EEEvSR_
                                        ; -- End function
	.set _ZN7rocprim17ROCPRIM_400000_NS6detail17trampoline_kernelINS0_14default_configENS1_32segmented_reduce_config_selectorIN3c108BFloat16EEEZNS1_21segmented_reduce_implIS3_PKS6_PS6_PKlS6_N6hipcub16HIPCUB_304000_NS6detail27convert_result_type_wrapperISA_SB_N2at6native12_GLOBAL__N_110CustomProdEEEEE10hipError_tPvRmT0_T1_jT2_SS_T4_T3_P12ihipStream_tbEUlT_E_NS1_11comp_targetILNS1_3genE0ELNS1_11target_archE4294967295ELNS1_3gpuE0ELNS1_3repE0EEENS1_30default_config_static_selectorELNS0_4arch9wavefront6targetE0EEEvSR_.num_vgpr, 0
	.set _ZN7rocprim17ROCPRIM_400000_NS6detail17trampoline_kernelINS0_14default_configENS1_32segmented_reduce_config_selectorIN3c108BFloat16EEEZNS1_21segmented_reduce_implIS3_PKS6_PS6_PKlS6_N6hipcub16HIPCUB_304000_NS6detail27convert_result_type_wrapperISA_SB_N2at6native12_GLOBAL__N_110CustomProdEEEEE10hipError_tPvRmT0_T1_jT2_SS_T4_T3_P12ihipStream_tbEUlT_E_NS1_11comp_targetILNS1_3genE0ELNS1_11target_archE4294967295ELNS1_3gpuE0ELNS1_3repE0EEENS1_30default_config_static_selectorELNS0_4arch9wavefront6targetE0EEEvSR_.num_agpr, 0
	.set _ZN7rocprim17ROCPRIM_400000_NS6detail17trampoline_kernelINS0_14default_configENS1_32segmented_reduce_config_selectorIN3c108BFloat16EEEZNS1_21segmented_reduce_implIS3_PKS6_PS6_PKlS6_N6hipcub16HIPCUB_304000_NS6detail27convert_result_type_wrapperISA_SB_N2at6native12_GLOBAL__N_110CustomProdEEEEE10hipError_tPvRmT0_T1_jT2_SS_T4_T3_P12ihipStream_tbEUlT_E_NS1_11comp_targetILNS1_3genE0ELNS1_11target_archE4294967295ELNS1_3gpuE0ELNS1_3repE0EEENS1_30default_config_static_selectorELNS0_4arch9wavefront6targetE0EEEvSR_.numbered_sgpr, 0
	.set _ZN7rocprim17ROCPRIM_400000_NS6detail17trampoline_kernelINS0_14default_configENS1_32segmented_reduce_config_selectorIN3c108BFloat16EEEZNS1_21segmented_reduce_implIS3_PKS6_PS6_PKlS6_N6hipcub16HIPCUB_304000_NS6detail27convert_result_type_wrapperISA_SB_N2at6native12_GLOBAL__N_110CustomProdEEEEE10hipError_tPvRmT0_T1_jT2_SS_T4_T3_P12ihipStream_tbEUlT_E_NS1_11comp_targetILNS1_3genE0ELNS1_11target_archE4294967295ELNS1_3gpuE0ELNS1_3repE0EEENS1_30default_config_static_selectorELNS0_4arch9wavefront6targetE0EEEvSR_.num_named_barrier, 0
	.set _ZN7rocprim17ROCPRIM_400000_NS6detail17trampoline_kernelINS0_14default_configENS1_32segmented_reduce_config_selectorIN3c108BFloat16EEEZNS1_21segmented_reduce_implIS3_PKS6_PS6_PKlS6_N6hipcub16HIPCUB_304000_NS6detail27convert_result_type_wrapperISA_SB_N2at6native12_GLOBAL__N_110CustomProdEEEEE10hipError_tPvRmT0_T1_jT2_SS_T4_T3_P12ihipStream_tbEUlT_E_NS1_11comp_targetILNS1_3genE0ELNS1_11target_archE4294967295ELNS1_3gpuE0ELNS1_3repE0EEENS1_30default_config_static_selectorELNS0_4arch9wavefront6targetE0EEEvSR_.private_seg_size, 0
	.set _ZN7rocprim17ROCPRIM_400000_NS6detail17trampoline_kernelINS0_14default_configENS1_32segmented_reduce_config_selectorIN3c108BFloat16EEEZNS1_21segmented_reduce_implIS3_PKS6_PS6_PKlS6_N6hipcub16HIPCUB_304000_NS6detail27convert_result_type_wrapperISA_SB_N2at6native12_GLOBAL__N_110CustomProdEEEEE10hipError_tPvRmT0_T1_jT2_SS_T4_T3_P12ihipStream_tbEUlT_E_NS1_11comp_targetILNS1_3genE0ELNS1_11target_archE4294967295ELNS1_3gpuE0ELNS1_3repE0EEENS1_30default_config_static_selectorELNS0_4arch9wavefront6targetE0EEEvSR_.uses_vcc, 0
	.set _ZN7rocprim17ROCPRIM_400000_NS6detail17trampoline_kernelINS0_14default_configENS1_32segmented_reduce_config_selectorIN3c108BFloat16EEEZNS1_21segmented_reduce_implIS3_PKS6_PS6_PKlS6_N6hipcub16HIPCUB_304000_NS6detail27convert_result_type_wrapperISA_SB_N2at6native12_GLOBAL__N_110CustomProdEEEEE10hipError_tPvRmT0_T1_jT2_SS_T4_T3_P12ihipStream_tbEUlT_E_NS1_11comp_targetILNS1_3genE0ELNS1_11target_archE4294967295ELNS1_3gpuE0ELNS1_3repE0EEENS1_30default_config_static_selectorELNS0_4arch9wavefront6targetE0EEEvSR_.uses_flat_scratch, 0
	.set _ZN7rocprim17ROCPRIM_400000_NS6detail17trampoline_kernelINS0_14default_configENS1_32segmented_reduce_config_selectorIN3c108BFloat16EEEZNS1_21segmented_reduce_implIS3_PKS6_PS6_PKlS6_N6hipcub16HIPCUB_304000_NS6detail27convert_result_type_wrapperISA_SB_N2at6native12_GLOBAL__N_110CustomProdEEEEE10hipError_tPvRmT0_T1_jT2_SS_T4_T3_P12ihipStream_tbEUlT_E_NS1_11comp_targetILNS1_3genE0ELNS1_11target_archE4294967295ELNS1_3gpuE0ELNS1_3repE0EEENS1_30default_config_static_selectorELNS0_4arch9wavefront6targetE0EEEvSR_.has_dyn_sized_stack, 0
	.set _ZN7rocprim17ROCPRIM_400000_NS6detail17trampoline_kernelINS0_14default_configENS1_32segmented_reduce_config_selectorIN3c108BFloat16EEEZNS1_21segmented_reduce_implIS3_PKS6_PS6_PKlS6_N6hipcub16HIPCUB_304000_NS6detail27convert_result_type_wrapperISA_SB_N2at6native12_GLOBAL__N_110CustomProdEEEEE10hipError_tPvRmT0_T1_jT2_SS_T4_T3_P12ihipStream_tbEUlT_E_NS1_11comp_targetILNS1_3genE0ELNS1_11target_archE4294967295ELNS1_3gpuE0ELNS1_3repE0EEENS1_30default_config_static_selectorELNS0_4arch9wavefront6targetE0EEEvSR_.has_recursion, 0
	.set _ZN7rocprim17ROCPRIM_400000_NS6detail17trampoline_kernelINS0_14default_configENS1_32segmented_reduce_config_selectorIN3c108BFloat16EEEZNS1_21segmented_reduce_implIS3_PKS6_PS6_PKlS6_N6hipcub16HIPCUB_304000_NS6detail27convert_result_type_wrapperISA_SB_N2at6native12_GLOBAL__N_110CustomProdEEEEE10hipError_tPvRmT0_T1_jT2_SS_T4_T3_P12ihipStream_tbEUlT_E_NS1_11comp_targetILNS1_3genE0ELNS1_11target_archE4294967295ELNS1_3gpuE0ELNS1_3repE0EEENS1_30default_config_static_selectorELNS0_4arch9wavefront6targetE0EEEvSR_.has_indirect_call, 0
	.section	.AMDGPU.csdata,"",@progbits
; Kernel info:
; codeLenInByte = 0
; TotalNumSgprs: 0
; NumVgprs: 0
; ScratchSize: 0
; MemoryBound: 0
; FloatMode: 240
; IeeeMode: 1
; LDSByteSize: 0 bytes/workgroup (compile time only)
; SGPRBlocks: 0
; VGPRBlocks: 0
; NumSGPRsForWavesPerEU: 1
; NumVGPRsForWavesPerEU: 1
; Occupancy: 16
; WaveLimiterHint : 0
; COMPUTE_PGM_RSRC2:SCRATCH_EN: 0
; COMPUTE_PGM_RSRC2:USER_SGPR: 6
; COMPUTE_PGM_RSRC2:TRAP_HANDLER: 0
; COMPUTE_PGM_RSRC2:TGID_X_EN: 1
; COMPUTE_PGM_RSRC2:TGID_Y_EN: 0
; COMPUTE_PGM_RSRC2:TGID_Z_EN: 0
; COMPUTE_PGM_RSRC2:TIDIG_COMP_CNT: 0
	.section	.text._ZN7rocprim17ROCPRIM_400000_NS6detail17trampoline_kernelINS0_14default_configENS1_32segmented_reduce_config_selectorIN3c108BFloat16EEEZNS1_21segmented_reduce_implIS3_PKS6_PS6_PKlS6_N6hipcub16HIPCUB_304000_NS6detail27convert_result_type_wrapperISA_SB_N2at6native12_GLOBAL__N_110CustomProdEEEEE10hipError_tPvRmT0_T1_jT2_SS_T4_T3_P12ihipStream_tbEUlT_E_NS1_11comp_targetILNS1_3genE5ELNS1_11target_archE942ELNS1_3gpuE9ELNS1_3repE0EEENS1_30default_config_static_selectorELNS0_4arch9wavefront6targetE0EEEvSR_,"axG",@progbits,_ZN7rocprim17ROCPRIM_400000_NS6detail17trampoline_kernelINS0_14default_configENS1_32segmented_reduce_config_selectorIN3c108BFloat16EEEZNS1_21segmented_reduce_implIS3_PKS6_PS6_PKlS6_N6hipcub16HIPCUB_304000_NS6detail27convert_result_type_wrapperISA_SB_N2at6native12_GLOBAL__N_110CustomProdEEEEE10hipError_tPvRmT0_T1_jT2_SS_T4_T3_P12ihipStream_tbEUlT_E_NS1_11comp_targetILNS1_3genE5ELNS1_11target_archE942ELNS1_3gpuE9ELNS1_3repE0EEENS1_30default_config_static_selectorELNS0_4arch9wavefront6targetE0EEEvSR_,comdat
	.globl	_ZN7rocprim17ROCPRIM_400000_NS6detail17trampoline_kernelINS0_14default_configENS1_32segmented_reduce_config_selectorIN3c108BFloat16EEEZNS1_21segmented_reduce_implIS3_PKS6_PS6_PKlS6_N6hipcub16HIPCUB_304000_NS6detail27convert_result_type_wrapperISA_SB_N2at6native12_GLOBAL__N_110CustomProdEEEEE10hipError_tPvRmT0_T1_jT2_SS_T4_T3_P12ihipStream_tbEUlT_E_NS1_11comp_targetILNS1_3genE5ELNS1_11target_archE942ELNS1_3gpuE9ELNS1_3repE0EEENS1_30default_config_static_selectorELNS0_4arch9wavefront6targetE0EEEvSR_ ; -- Begin function _ZN7rocprim17ROCPRIM_400000_NS6detail17trampoline_kernelINS0_14default_configENS1_32segmented_reduce_config_selectorIN3c108BFloat16EEEZNS1_21segmented_reduce_implIS3_PKS6_PS6_PKlS6_N6hipcub16HIPCUB_304000_NS6detail27convert_result_type_wrapperISA_SB_N2at6native12_GLOBAL__N_110CustomProdEEEEE10hipError_tPvRmT0_T1_jT2_SS_T4_T3_P12ihipStream_tbEUlT_E_NS1_11comp_targetILNS1_3genE5ELNS1_11target_archE942ELNS1_3gpuE9ELNS1_3repE0EEENS1_30default_config_static_selectorELNS0_4arch9wavefront6targetE0EEEvSR_
	.p2align	8
	.type	_ZN7rocprim17ROCPRIM_400000_NS6detail17trampoline_kernelINS0_14default_configENS1_32segmented_reduce_config_selectorIN3c108BFloat16EEEZNS1_21segmented_reduce_implIS3_PKS6_PS6_PKlS6_N6hipcub16HIPCUB_304000_NS6detail27convert_result_type_wrapperISA_SB_N2at6native12_GLOBAL__N_110CustomProdEEEEE10hipError_tPvRmT0_T1_jT2_SS_T4_T3_P12ihipStream_tbEUlT_E_NS1_11comp_targetILNS1_3genE5ELNS1_11target_archE942ELNS1_3gpuE9ELNS1_3repE0EEENS1_30default_config_static_selectorELNS0_4arch9wavefront6targetE0EEEvSR_,@function
_ZN7rocprim17ROCPRIM_400000_NS6detail17trampoline_kernelINS0_14default_configENS1_32segmented_reduce_config_selectorIN3c108BFloat16EEEZNS1_21segmented_reduce_implIS3_PKS6_PS6_PKlS6_N6hipcub16HIPCUB_304000_NS6detail27convert_result_type_wrapperISA_SB_N2at6native12_GLOBAL__N_110CustomProdEEEEE10hipError_tPvRmT0_T1_jT2_SS_T4_T3_P12ihipStream_tbEUlT_E_NS1_11comp_targetILNS1_3genE5ELNS1_11target_archE942ELNS1_3gpuE9ELNS1_3repE0EEENS1_30default_config_static_selectorELNS0_4arch9wavefront6targetE0EEEvSR_: ; @_ZN7rocprim17ROCPRIM_400000_NS6detail17trampoline_kernelINS0_14default_configENS1_32segmented_reduce_config_selectorIN3c108BFloat16EEEZNS1_21segmented_reduce_implIS3_PKS6_PS6_PKlS6_N6hipcub16HIPCUB_304000_NS6detail27convert_result_type_wrapperISA_SB_N2at6native12_GLOBAL__N_110CustomProdEEEEE10hipError_tPvRmT0_T1_jT2_SS_T4_T3_P12ihipStream_tbEUlT_E_NS1_11comp_targetILNS1_3genE5ELNS1_11target_archE942ELNS1_3gpuE9ELNS1_3repE0EEENS1_30default_config_static_selectorELNS0_4arch9wavefront6targetE0EEEvSR_
; %bb.0:
	.section	.rodata,"a",@progbits
	.p2align	6, 0x0
	.amdhsa_kernel _ZN7rocprim17ROCPRIM_400000_NS6detail17trampoline_kernelINS0_14default_configENS1_32segmented_reduce_config_selectorIN3c108BFloat16EEEZNS1_21segmented_reduce_implIS3_PKS6_PS6_PKlS6_N6hipcub16HIPCUB_304000_NS6detail27convert_result_type_wrapperISA_SB_N2at6native12_GLOBAL__N_110CustomProdEEEEE10hipError_tPvRmT0_T1_jT2_SS_T4_T3_P12ihipStream_tbEUlT_E_NS1_11comp_targetILNS1_3genE5ELNS1_11target_archE942ELNS1_3gpuE9ELNS1_3repE0EEENS1_30default_config_static_selectorELNS0_4arch9wavefront6targetE0EEEvSR_
		.amdhsa_group_segment_fixed_size 0
		.amdhsa_private_segment_fixed_size 0
		.amdhsa_kernarg_size 48
		.amdhsa_user_sgpr_count 6
		.amdhsa_user_sgpr_private_segment_buffer 1
		.amdhsa_user_sgpr_dispatch_ptr 0
		.amdhsa_user_sgpr_queue_ptr 0
		.amdhsa_user_sgpr_kernarg_segment_ptr 1
		.amdhsa_user_sgpr_dispatch_id 0
		.amdhsa_user_sgpr_flat_scratch_init 0
		.amdhsa_user_sgpr_private_segment_size 0
		.amdhsa_wavefront_size32 1
		.amdhsa_uses_dynamic_stack 0
		.amdhsa_system_sgpr_private_segment_wavefront_offset 0
		.amdhsa_system_sgpr_workgroup_id_x 1
		.amdhsa_system_sgpr_workgroup_id_y 0
		.amdhsa_system_sgpr_workgroup_id_z 0
		.amdhsa_system_sgpr_workgroup_info 0
		.amdhsa_system_vgpr_workitem_id 0
		.amdhsa_next_free_vgpr 1
		.amdhsa_next_free_sgpr 1
		.amdhsa_reserve_vcc 0
		.amdhsa_reserve_flat_scratch 0
		.amdhsa_float_round_mode_32 0
		.amdhsa_float_round_mode_16_64 0
		.amdhsa_float_denorm_mode_32 3
		.amdhsa_float_denorm_mode_16_64 3
		.amdhsa_dx10_clamp 1
		.amdhsa_ieee_mode 1
		.amdhsa_fp16_overflow 0
		.amdhsa_workgroup_processor_mode 1
		.amdhsa_memory_ordered 1
		.amdhsa_forward_progress 1
		.amdhsa_shared_vgpr_count 0
		.amdhsa_exception_fp_ieee_invalid_op 0
		.amdhsa_exception_fp_denorm_src 0
		.amdhsa_exception_fp_ieee_div_zero 0
		.amdhsa_exception_fp_ieee_overflow 0
		.amdhsa_exception_fp_ieee_underflow 0
		.amdhsa_exception_fp_ieee_inexact 0
		.amdhsa_exception_int_div_zero 0
	.end_amdhsa_kernel
	.section	.text._ZN7rocprim17ROCPRIM_400000_NS6detail17trampoline_kernelINS0_14default_configENS1_32segmented_reduce_config_selectorIN3c108BFloat16EEEZNS1_21segmented_reduce_implIS3_PKS6_PS6_PKlS6_N6hipcub16HIPCUB_304000_NS6detail27convert_result_type_wrapperISA_SB_N2at6native12_GLOBAL__N_110CustomProdEEEEE10hipError_tPvRmT0_T1_jT2_SS_T4_T3_P12ihipStream_tbEUlT_E_NS1_11comp_targetILNS1_3genE5ELNS1_11target_archE942ELNS1_3gpuE9ELNS1_3repE0EEENS1_30default_config_static_selectorELNS0_4arch9wavefront6targetE0EEEvSR_,"axG",@progbits,_ZN7rocprim17ROCPRIM_400000_NS6detail17trampoline_kernelINS0_14default_configENS1_32segmented_reduce_config_selectorIN3c108BFloat16EEEZNS1_21segmented_reduce_implIS3_PKS6_PS6_PKlS6_N6hipcub16HIPCUB_304000_NS6detail27convert_result_type_wrapperISA_SB_N2at6native12_GLOBAL__N_110CustomProdEEEEE10hipError_tPvRmT0_T1_jT2_SS_T4_T3_P12ihipStream_tbEUlT_E_NS1_11comp_targetILNS1_3genE5ELNS1_11target_archE942ELNS1_3gpuE9ELNS1_3repE0EEENS1_30default_config_static_selectorELNS0_4arch9wavefront6targetE0EEEvSR_,comdat
.Lfunc_end273:
	.size	_ZN7rocprim17ROCPRIM_400000_NS6detail17trampoline_kernelINS0_14default_configENS1_32segmented_reduce_config_selectorIN3c108BFloat16EEEZNS1_21segmented_reduce_implIS3_PKS6_PS6_PKlS6_N6hipcub16HIPCUB_304000_NS6detail27convert_result_type_wrapperISA_SB_N2at6native12_GLOBAL__N_110CustomProdEEEEE10hipError_tPvRmT0_T1_jT2_SS_T4_T3_P12ihipStream_tbEUlT_E_NS1_11comp_targetILNS1_3genE5ELNS1_11target_archE942ELNS1_3gpuE9ELNS1_3repE0EEENS1_30default_config_static_selectorELNS0_4arch9wavefront6targetE0EEEvSR_, .Lfunc_end273-_ZN7rocprim17ROCPRIM_400000_NS6detail17trampoline_kernelINS0_14default_configENS1_32segmented_reduce_config_selectorIN3c108BFloat16EEEZNS1_21segmented_reduce_implIS3_PKS6_PS6_PKlS6_N6hipcub16HIPCUB_304000_NS6detail27convert_result_type_wrapperISA_SB_N2at6native12_GLOBAL__N_110CustomProdEEEEE10hipError_tPvRmT0_T1_jT2_SS_T4_T3_P12ihipStream_tbEUlT_E_NS1_11comp_targetILNS1_3genE5ELNS1_11target_archE942ELNS1_3gpuE9ELNS1_3repE0EEENS1_30default_config_static_selectorELNS0_4arch9wavefront6targetE0EEEvSR_
                                        ; -- End function
	.set _ZN7rocprim17ROCPRIM_400000_NS6detail17trampoline_kernelINS0_14default_configENS1_32segmented_reduce_config_selectorIN3c108BFloat16EEEZNS1_21segmented_reduce_implIS3_PKS6_PS6_PKlS6_N6hipcub16HIPCUB_304000_NS6detail27convert_result_type_wrapperISA_SB_N2at6native12_GLOBAL__N_110CustomProdEEEEE10hipError_tPvRmT0_T1_jT2_SS_T4_T3_P12ihipStream_tbEUlT_E_NS1_11comp_targetILNS1_3genE5ELNS1_11target_archE942ELNS1_3gpuE9ELNS1_3repE0EEENS1_30default_config_static_selectorELNS0_4arch9wavefront6targetE0EEEvSR_.num_vgpr, 0
	.set _ZN7rocprim17ROCPRIM_400000_NS6detail17trampoline_kernelINS0_14default_configENS1_32segmented_reduce_config_selectorIN3c108BFloat16EEEZNS1_21segmented_reduce_implIS3_PKS6_PS6_PKlS6_N6hipcub16HIPCUB_304000_NS6detail27convert_result_type_wrapperISA_SB_N2at6native12_GLOBAL__N_110CustomProdEEEEE10hipError_tPvRmT0_T1_jT2_SS_T4_T3_P12ihipStream_tbEUlT_E_NS1_11comp_targetILNS1_3genE5ELNS1_11target_archE942ELNS1_3gpuE9ELNS1_3repE0EEENS1_30default_config_static_selectorELNS0_4arch9wavefront6targetE0EEEvSR_.num_agpr, 0
	.set _ZN7rocprim17ROCPRIM_400000_NS6detail17trampoline_kernelINS0_14default_configENS1_32segmented_reduce_config_selectorIN3c108BFloat16EEEZNS1_21segmented_reduce_implIS3_PKS6_PS6_PKlS6_N6hipcub16HIPCUB_304000_NS6detail27convert_result_type_wrapperISA_SB_N2at6native12_GLOBAL__N_110CustomProdEEEEE10hipError_tPvRmT0_T1_jT2_SS_T4_T3_P12ihipStream_tbEUlT_E_NS1_11comp_targetILNS1_3genE5ELNS1_11target_archE942ELNS1_3gpuE9ELNS1_3repE0EEENS1_30default_config_static_selectorELNS0_4arch9wavefront6targetE0EEEvSR_.numbered_sgpr, 0
	.set _ZN7rocprim17ROCPRIM_400000_NS6detail17trampoline_kernelINS0_14default_configENS1_32segmented_reduce_config_selectorIN3c108BFloat16EEEZNS1_21segmented_reduce_implIS3_PKS6_PS6_PKlS6_N6hipcub16HIPCUB_304000_NS6detail27convert_result_type_wrapperISA_SB_N2at6native12_GLOBAL__N_110CustomProdEEEEE10hipError_tPvRmT0_T1_jT2_SS_T4_T3_P12ihipStream_tbEUlT_E_NS1_11comp_targetILNS1_3genE5ELNS1_11target_archE942ELNS1_3gpuE9ELNS1_3repE0EEENS1_30default_config_static_selectorELNS0_4arch9wavefront6targetE0EEEvSR_.num_named_barrier, 0
	.set _ZN7rocprim17ROCPRIM_400000_NS6detail17trampoline_kernelINS0_14default_configENS1_32segmented_reduce_config_selectorIN3c108BFloat16EEEZNS1_21segmented_reduce_implIS3_PKS6_PS6_PKlS6_N6hipcub16HIPCUB_304000_NS6detail27convert_result_type_wrapperISA_SB_N2at6native12_GLOBAL__N_110CustomProdEEEEE10hipError_tPvRmT0_T1_jT2_SS_T4_T3_P12ihipStream_tbEUlT_E_NS1_11comp_targetILNS1_3genE5ELNS1_11target_archE942ELNS1_3gpuE9ELNS1_3repE0EEENS1_30default_config_static_selectorELNS0_4arch9wavefront6targetE0EEEvSR_.private_seg_size, 0
	.set _ZN7rocprim17ROCPRIM_400000_NS6detail17trampoline_kernelINS0_14default_configENS1_32segmented_reduce_config_selectorIN3c108BFloat16EEEZNS1_21segmented_reduce_implIS3_PKS6_PS6_PKlS6_N6hipcub16HIPCUB_304000_NS6detail27convert_result_type_wrapperISA_SB_N2at6native12_GLOBAL__N_110CustomProdEEEEE10hipError_tPvRmT0_T1_jT2_SS_T4_T3_P12ihipStream_tbEUlT_E_NS1_11comp_targetILNS1_3genE5ELNS1_11target_archE942ELNS1_3gpuE9ELNS1_3repE0EEENS1_30default_config_static_selectorELNS0_4arch9wavefront6targetE0EEEvSR_.uses_vcc, 0
	.set _ZN7rocprim17ROCPRIM_400000_NS6detail17trampoline_kernelINS0_14default_configENS1_32segmented_reduce_config_selectorIN3c108BFloat16EEEZNS1_21segmented_reduce_implIS3_PKS6_PS6_PKlS6_N6hipcub16HIPCUB_304000_NS6detail27convert_result_type_wrapperISA_SB_N2at6native12_GLOBAL__N_110CustomProdEEEEE10hipError_tPvRmT0_T1_jT2_SS_T4_T3_P12ihipStream_tbEUlT_E_NS1_11comp_targetILNS1_3genE5ELNS1_11target_archE942ELNS1_3gpuE9ELNS1_3repE0EEENS1_30default_config_static_selectorELNS0_4arch9wavefront6targetE0EEEvSR_.uses_flat_scratch, 0
	.set _ZN7rocprim17ROCPRIM_400000_NS6detail17trampoline_kernelINS0_14default_configENS1_32segmented_reduce_config_selectorIN3c108BFloat16EEEZNS1_21segmented_reduce_implIS3_PKS6_PS6_PKlS6_N6hipcub16HIPCUB_304000_NS6detail27convert_result_type_wrapperISA_SB_N2at6native12_GLOBAL__N_110CustomProdEEEEE10hipError_tPvRmT0_T1_jT2_SS_T4_T3_P12ihipStream_tbEUlT_E_NS1_11comp_targetILNS1_3genE5ELNS1_11target_archE942ELNS1_3gpuE9ELNS1_3repE0EEENS1_30default_config_static_selectorELNS0_4arch9wavefront6targetE0EEEvSR_.has_dyn_sized_stack, 0
	.set _ZN7rocprim17ROCPRIM_400000_NS6detail17trampoline_kernelINS0_14default_configENS1_32segmented_reduce_config_selectorIN3c108BFloat16EEEZNS1_21segmented_reduce_implIS3_PKS6_PS6_PKlS6_N6hipcub16HIPCUB_304000_NS6detail27convert_result_type_wrapperISA_SB_N2at6native12_GLOBAL__N_110CustomProdEEEEE10hipError_tPvRmT0_T1_jT2_SS_T4_T3_P12ihipStream_tbEUlT_E_NS1_11comp_targetILNS1_3genE5ELNS1_11target_archE942ELNS1_3gpuE9ELNS1_3repE0EEENS1_30default_config_static_selectorELNS0_4arch9wavefront6targetE0EEEvSR_.has_recursion, 0
	.set _ZN7rocprim17ROCPRIM_400000_NS6detail17trampoline_kernelINS0_14default_configENS1_32segmented_reduce_config_selectorIN3c108BFloat16EEEZNS1_21segmented_reduce_implIS3_PKS6_PS6_PKlS6_N6hipcub16HIPCUB_304000_NS6detail27convert_result_type_wrapperISA_SB_N2at6native12_GLOBAL__N_110CustomProdEEEEE10hipError_tPvRmT0_T1_jT2_SS_T4_T3_P12ihipStream_tbEUlT_E_NS1_11comp_targetILNS1_3genE5ELNS1_11target_archE942ELNS1_3gpuE9ELNS1_3repE0EEENS1_30default_config_static_selectorELNS0_4arch9wavefront6targetE0EEEvSR_.has_indirect_call, 0
	.section	.AMDGPU.csdata,"",@progbits
; Kernel info:
; codeLenInByte = 0
; TotalNumSgprs: 0
; NumVgprs: 0
; ScratchSize: 0
; MemoryBound: 0
; FloatMode: 240
; IeeeMode: 1
; LDSByteSize: 0 bytes/workgroup (compile time only)
; SGPRBlocks: 0
; VGPRBlocks: 0
; NumSGPRsForWavesPerEU: 1
; NumVGPRsForWavesPerEU: 1
; Occupancy: 16
; WaveLimiterHint : 0
; COMPUTE_PGM_RSRC2:SCRATCH_EN: 0
; COMPUTE_PGM_RSRC2:USER_SGPR: 6
; COMPUTE_PGM_RSRC2:TRAP_HANDLER: 0
; COMPUTE_PGM_RSRC2:TGID_X_EN: 1
; COMPUTE_PGM_RSRC2:TGID_Y_EN: 0
; COMPUTE_PGM_RSRC2:TGID_Z_EN: 0
; COMPUTE_PGM_RSRC2:TIDIG_COMP_CNT: 0
	.section	.text._ZN7rocprim17ROCPRIM_400000_NS6detail17trampoline_kernelINS0_14default_configENS1_32segmented_reduce_config_selectorIN3c108BFloat16EEEZNS1_21segmented_reduce_implIS3_PKS6_PS6_PKlS6_N6hipcub16HIPCUB_304000_NS6detail27convert_result_type_wrapperISA_SB_N2at6native12_GLOBAL__N_110CustomProdEEEEE10hipError_tPvRmT0_T1_jT2_SS_T4_T3_P12ihipStream_tbEUlT_E_NS1_11comp_targetILNS1_3genE10ELNS1_11target_archE1201ELNS1_3gpuE5ELNS1_3repE0EEENS1_30default_config_static_selectorELNS0_4arch9wavefront6targetE0EEEvSR_,"axG",@progbits,_ZN7rocprim17ROCPRIM_400000_NS6detail17trampoline_kernelINS0_14default_configENS1_32segmented_reduce_config_selectorIN3c108BFloat16EEEZNS1_21segmented_reduce_implIS3_PKS6_PS6_PKlS6_N6hipcub16HIPCUB_304000_NS6detail27convert_result_type_wrapperISA_SB_N2at6native12_GLOBAL__N_110CustomProdEEEEE10hipError_tPvRmT0_T1_jT2_SS_T4_T3_P12ihipStream_tbEUlT_E_NS1_11comp_targetILNS1_3genE10ELNS1_11target_archE1201ELNS1_3gpuE5ELNS1_3repE0EEENS1_30default_config_static_selectorELNS0_4arch9wavefront6targetE0EEEvSR_,comdat
	.globl	_ZN7rocprim17ROCPRIM_400000_NS6detail17trampoline_kernelINS0_14default_configENS1_32segmented_reduce_config_selectorIN3c108BFloat16EEEZNS1_21segmented_reduce_implIS3_PKS6_PS6_PKlS6_N6hipcub16HIPCUB_304000_NS6detail27convert_result_type_wrapperISA_SB_N2at6native12_GLOBAL__N_110CustomProdEEEEE10hipError_tPvRmT0_T1_jT2_SS_T4_T3_P12ihipStream_tbEUlT_E_NS1_11comp_targetILNS1_3genE10ELNS1_11target_archE1201ELNS1_3gpuE5ELNS1_3repE0EEENS1_30default_config_static_selectorELNS0_4arch9wavefront6targetE0EEEvSR_ ; -- Begin function _ZN7rocprim17ROCPRIM_400000_NS6detail17trampoline_kernelINS0_14default_configENS1_32segmented_reduce_config_selectorIN3c108BFloat16EEEZNS1_21segmented_reduce_implIS3_PKS6_PS6_PKlS6_N6hipcub16HIPCUB_304000_NS6detail27convert_result_type_wrapperISA_SB_N2at6native12_GLOBAL__N_110CustomProdEEEEE10hipError_tPvRmT0_T1_jT2_SS_T4_T3_P12ihipStream_tbEUlT_E_NS1_11comp_targetILNS1_3genE10ELNS1_11target_archE1201ELNS1_3gpuE5ELNS1_3repE0EEENS1_30default_config_static_selectorELNS0_4arch9wavefront6targetE0EEEvSR_
	.p2align	8
	.type	_ZN7rocprim17ROCPRIM_400000_NS6detail17trampoline_kernelINS0_14default_configENS1_32segmented_reduce_config_selectorIN3c108BFloat16EEEZNS1_21segmented_reduce_implIS3_PKS6_PS6_PKlS6_N6hipcub16HIPCUB_304000_NS6detail27convert_result_type_wrapperISA_SB_N2at6native12_GLOBAL__N_110CustomProdEEEEE10hipError_tPvRmT0_T1_jT2_SS_T4_T3_P12ihipStream_tbEUlT_E_NS1_11comp_targetILNS1_3genE10ELNS1_11target_archE1201ELNS1_3gpuE5ELNS1_3repE0EEENS1_30default_config_static_selectorELNS0_4arch9wavefront6targetE0EEEvSR_,@function
_ZN7rocprim17ROCPRIM_400000_NS6detail17trampoline_kernelINS0_14default_configENS1_32segmented_reduce_config_selectorIN3c108BFloat16EEEZNS1_21segmented_reduce_implIS3_PKS6_PS6_PKlS6_N6hipcub16HIPCUB_304000_NS6detail27convert_result_type_wrapperISA_SB_N2at6native12_GLOBAL__N_110CustomProdEEEEE10hipError_tPvRmT0_T1_jT2_SS_T4_T3_P12ihipStream_tbEUlT_E_NS1_11comp_targetILNS1_3genE10ELNS1_11target_archE1201ELNS1_3gpuE5ELNS1_3repE0EEENS1_30default_config_static_selectorELNS0_4arch9wavefront6targetE0EEEvSR_: ; @_ZN7rocprim17ROCPRIM_400000_NS6detail17trampoline_kernelINS0_14default_configENS1_32segmented_reduce_config_selectorIN3c108BFloat16EEEZNS1_21segmented_reduce_implIS3_PKS6_PS6_PKlS6_N6hipcub16HIPCUB_304000_NS6detail27convert_result_type_wrapperISA_SB_N2at6native12_GLOBAL__N_110CustomProdEEEEE10hipError_tPvRmT0_T1_jT2_SS_T4_T3_P12ihipStream_tbEUlT_E_NS1_11comp_targetILNS1_3genE10ELNS1_11target_archE1201ELNS1_3gpuE5ELNS1_3repE0EEENS1_30default_config_static_selectorELNS0_4arch9wavefront6targetE0EEEvSR_
; %bb.0:
	.section	.rodata,"a",@progbits
	.p2align	6, 0x0
	.amdhsa_kernel _ZN7rocprim17ROCPRIM_400000_NS6detail17trampoline_kernelINS0_14default_configENS1_32segmented_reduce_config_selectorIN3c108BFloat16EEEZNS1_21segmented_reduce_implIS3_PKS6_PS6_PKlS6_N6hipcub16HIPCUB_304000_NS6detail27convert_result_type_wrapperISA_SB_N2at6native12_GLOBAL__N_110CustomProdEEEEE10hipError_tPvRmT0_T1_jT2_SS_T4_T3_P12ihipStream_tbEUlT_E_NS1_11comp_targetILNS1_3genE10ELNS1_11target_archE1201ELNS1_3gpuE5ELNS1_3repE0EEENS1_30default_config_static_selectorELNS0_4arch9wavefront6targetE0EEEvSR_
		.amdhsa_group_segment_fixed_size 0
		.amdhsa_private_segment_fixed_size 0
		.amdhsa_kernarg_size 48
		.amdhsa_user_sgpr_count 6
		.amdhsa_user_sgpr_private_segment_buffer 1
		.amdhsa_user_sgpr_dispatch_ptr 0
		.amdhsa_user_sgpr_queue_ptr 0
		.amdhsa_user_sgpr_kernarg_segment_ptr 1
		.amdhsa_user_sgpr_dispatch_id 0
		.amdhsa_user_sgpr_flat_scratch_init 0
		.amdhsa_user_sgpr_private_segment_size 0
		.amdhsa_wavefront_size32 1
		.amdhsa_uses_dynamic_stack 0
		.amdhsa_system_sgpr_private_segment_wavefront_offset 0
		.amdhsa_system_sgpr_workgroup_id_x 1
		.amdhsa_system_sgpr_workgroup_id_y 0
		.amdhsa_system_sgpr_workgroup_id_z 0
		.amdhsa_system_sgpr_workgroup_info 0
		.amdhsa_system_vgpr_workitem_id 0
		.amdhsa_next_free_vgpr 1
		.amdhsa_next_free_sgpr 1
		.amdhsa_reserve_vcc 0
		.amdhsa_reserve_flat_scratch 0
		.amdhsa_float_round_mode_32 0
		.amdhsa_float_round_mode_16_64 0
		.amdhsa_float_denorm_mode_32 3
		.amdhsa_float_denorm_mode_16_64 3
		.amdhsa_dx10_clamp 1
		.amdhsa_ieee_mode 1
		.amdhsa_fp16_overflow 0
		.amdhsa_workgroup_processor_mode 1
		.amdhsa_memory_ordered 1
		.amdhsa_forward_progress 1
		.amdhsa_shared_vgpr_count 0
		.amdhsa_exception_fp_ieee_invalid_op 0
		.amdhsa_exception_fp_denorm_src 0
		.amdhsa_exception_fp_ieee_div_zero 0
		.amdhsa_exception_fp_ieee_overflow 0
		.amdhsa_exception_fp_ieee_underflow 0
		.amdhsa_exception_fp_ieee_inexact 0
		.amdhsa_exception_int_div_zero 0
	.end_amdhsa_kernel
	.section	.text._ZN7rocprim17ROCPRIM_400000_NS6detail17trampoline_kernelINS0_14default_configENS1_32segmented_reduce_config_selectorIN3c108BFloat16EEEZNS1_21segmented_reduce_implIS3_PKS6_PS6_PKlS6_N6hipcub16HIPCUB_304000_NS6detail27convert_result_type_wrapperISA_SB_N2at6native12_GLOBAL__N_110CustomProdEEEEE10hipError_tPvRmT0_T1_jT2_SS_T4_T3_P12ihipStream_tbEUlT_E_NS1_11comp_targetILNS1_3genE10ELNS1_11target_archE1201ELNS1_3gpuE5ELNS1_3repE0EEENS1_30default_config_static_selectorELNS0_4arch9wavefront6targetE0EEEvSR_,"axG",@progbits,_ZN7rocprim17ROCPRIM_400000_NS6detail17trampoline_kernelINS0_14default_configENS1_32segmented_reduce_config_selectorIN3c108BFloat16EEEZNS1_21segmented_reduce_implIS3_PKS6_PS6_PKlS6_N6hipcub16HIPCUB_304000_NS6detail27convert_result_type_wrapperISA_SB_N2at6native12_GLOBAL__N_110CustomProdEEEEE10hipError_tPvRmT0_T1_jT2_SS_T4_T3_P12ihipStream_tbEUlT_E_NS1_11comp_targetILNS1_3genE10ELNS1_11target_archE1201ELNS1_3gpuE5ELNS1_3repE0EEENS1_30default_config_static_selectorELNS0_4arch9wavefront6targetE0EEEvSR_,comdat
.Lfunc_end274:
	.size	_ZN7rocprim17ROCPRIM_400000_NS6detail17trampoline_kernelINS0_14default_configENS1_32segmented_reduce_config_selectorIN3c108BFloat16EEEZNS1_21segmented_reduce_implIS3_PKS6_PS6_PKlS6_N6hipcub16HIPCUB_304000_NS6detail27convert_result_type_wrapperISA_SB_N2at6native12_GLOBAL__N_110CustomProdEEEEE10hipError_tPvRmT0_T1_jT2_SS_T4_T3_P12ihipStream_tbEUlT_E_NS1_11comp_targetILNS1_3genE10ELNS1_11target_archE1201ELNS1_3gpuE5ELNS1_3repE0EEENS1_30default_config_static_selectorELNS0_4arch9wavefront6targetE0EEEvSR_, .Lfunc_end274-_ZN7rocprim17ROCPRIM_400000_NS6detail17trampoline_kernelINS0_14default_configENS1_32segmented_reduce_config_selectorIN3c108BFloat16EEEZNS1_21segmented_reduce_implIS3_PKS6_PS6_PKlS6_N6hipcub16HIPCUB_304000_NS6detail27convert_result_type_wrapperISA_SB_N2at6native12_GLOBAL__N_110CustomProdEEEEE10hipError_tPvRmT0_T1_jT2_SS_T4_T3_P12ihipStream_tbEUlT_E_NS1_11comp_targetILNS1_3genE10ELNS1_11target_archE1201ELNS1_3gpuE5ELNS1_3repE0EEENS1_30default_config_static_selectorELNS0_4arch9wavefront6targetE0EEEvSR_
                                        ; -- End function
	.set _ZN7rocprim17ROCPRIM_400000_NS6detail17trampoline_kernelINS0_14default_configENS1_32segmented_reduce_config_selectorIN3c108BFloat16EEEZNS1_21segmented_reduce_implIS3_PKS6_PS6_PKlS6_N6hipcub16HIPCUB_304000_NS6detail27convert_result_type_wrapperISA_SB_N2at6native12_GLOBAL__N_110CustomProdEEEEE10hipError_tPvRmT0_T1_jT2_SS_T4_T3_P12ihipStream_tbEUlT_E_NS1_11comp_targetILNS1_3genE10ELNS1_11target_archE1201ELNS1_3gpuE5ELNS1_3repE0EEENS1_30default_config_static_selectorELNS0_4arch9wavefront6targetE0EEEvSR_.num_vgpr, 0
	.set _ZN7rocprim17ROCPRIM_400000_NS6detail17trampoline_kernelINS0_14default_configENS1_32segmented_reduce_config_selectorIN3c108BFloat16EEEZNS1_21segmented_reduce_implIS3_PKS6_PS6_PKlS6_N6hipcub16HIPCUB_304000_NS6detail27convert_result_type_wrapperISA_SB_N2at6native12_GLOBAL__N_110CustomProdEEEEE10hipError_tPvRmT0_T1_jT2_SS_T4_T3_P12ihipStream_tbEUlT_E_NS1_11comp_targetILNS1_3genE10ELNS1_11target_archE1201ELNS1_3gpuE5ELNS1_3repE0EEENS1_30default_config_static_selectorELNS0_4arch9wavefront6targetE0EEEvSR_.num_agpr, 0
	.set _ZN7rocprim17ROCPRIM_400000_NS6detail17trampoline_kernelINS0_14default_configENS1_32segmented_reduce_config_selectorIN3c108BFloat16EEEZNS1_21segmented_reduce_implIS3_PKS6_PS6_PKlS6_N6hipcub16HIPCUB_304000_NS6detail27convert_result_type_wrapperISA_SB_N2at6native12_GLOBAL__N_110CustomProdEEEEE10hipError_tPvRmT0_T1_jT2_SS_T4_T3_P12ihipStream_tbEUlT_E_NS1_11comp_targetILNS1_3genE10ELNS1_11target_archE1201ELNS1_3gpuE5ELNS1_3repE0EEENS1_30default_config_static_selectorELNS0_4arch9wavefront6targetE0EEEvSR_.numbered_sgpr, 0
	.set _ZN7rocprim17ROCPRIM_400000_NS6detail17trampoline_kernelINS0_14default_configENS1_32segmented_reduce_config_selectorIN3c108BFloat16EEEZNS1_21segmented_reduce_implIS3_PKS6_PS6_PKlS6_N6hipcub16HIPCUB_304000_NS6detail27convert_result_type_wrapperISA_SB_N2at6native12_GLOBAL__N_110CustomProdEEEEE10hipError_tPvRmT0_T1_jT2_SS_T4_T3_P12ihipStream_tbEUlT_E_NS1_11comp_targetILNS1_3genE10ELNS1_11target_archE1201ELNS1_3gpuE5ELNS1_3repE0EEENS1_30default_config_static_selectorELNS0_4arch9wavefront6targetE0EEEvSR_.num_named_barrier, 0
	.set _ZN7rocprim17ROCPRIM_400000_NS6detail17trampoline_kernelINS0_14default_configENS1_32segmented_reduce_config_selectorIN3c108BFloat16EEEZNS1_21segmented_reduce_implIS3_PKS6_PS6_PKlS6_N6hipcub16HIPCUB_304000_NS6detail27convert_result_type_wrapperISA_SB_N2at6native12_GLOBAL__N_110CustomProdEEEEE10hipError_tPvRmT0_T1_jT2_SS_T4_T3_P12ihipStream_tbEUlT_E_NS1_11comp_targetILNS1_3genE10ELNS1_11target_archE1201ELNS1_3gpuE5ELNS1_3repE0EEENS1_30default_config_static_selectorELNS0_4arch9wavefront6targetE0EEEvSR_.private_seg_size, 0
	.set _ZN7rocprim17ROCPRIM_400000_NS6detail17trampoline_kernelINS0_14default_configENS1_32segmented_reduce_config_selectorIN3c108BFloat16EEEZNS1_21segmented_reduce_implIS3_PKS6_PS6_PKlS6_N6hipcub16HIPCUB_304000_NS6detail27convert_result_type_wrapperISA_SB_N2at6native12_GLOBAL__N_110CustomProdEEEEE10hipError_tPvRmT0_T1_jT2_SS_T4_T3_P12ihipStream_tbEUlT_E_NS1_11comp_targetILNS1_3genE10ELNS1_11target_archE1201ELNS1_3gpuE5ELNS1_3repE0EEENS1_30default_config_static_selectorELNS0_4arch9wavefront6targetE0EEEvSR_.uses_vcc, 0
	.set _ZN7rocprim17ROCPRIM_400000_NS6detail17trampoline_kernelINS0_14default_configENS1_32segmented_reduce_config_selectorIN3c108BFloat16EEEZNS1_21segmented_reduce_implIS3_PKS6_PS6_PKlS6_N6hipcub16HIPCUB_304000_NS6detail27convert_result_type_wrapperISA_SB_N2at6native12_GLOBAL__N_110CustomProdEEEEE10hipError_tPvRmT0_T1_jT2_SS_T4_T3_P12ihipStream_tbEUlT_E_NS1_11comp_targetILNS1_3genE10ELNS1_11target_archE1201ELNS1_3gpuE5ELNS1_3repE0EEENS1_30default_config_static_selectorELNS0_4arch9wavefront6targetE0EEEvSR_.uses_flat_scratch, 0
	.set _ZN7rocprim17ROCPRIM_400000_NS6detail17trampoline_kernelINS0_14default_configENS1_32segmented_reduce_config_selectorIN3c108BFloat16EEEZNS1_21segmented_reduce_implIS3_PKS6_PS6_PKlS6_N6hipcub16HIPCUB_304000_NS6detail27convert_result_type_wrapperISA_SB_N2at6native12_GLOBAL__N_110CustomProdEEEEE10hipError_tPvRmT0_T1_jT2_SS_T4_T3_P12ihipStream_tbEUlT_E_NS1_11comp_targetILNS1_3genE10ELNS1_11target_archE1201ELNS1_3gpuE5ELNS1_3repE0EEENS1_30default_config_static_selectorELNS0_4arch9wavefront6targetE0EEEvSR_.has_dyn_sized_stack, 0
	.set _ZN7rocprim17ROCPRIM_400000_NS6detail17trampoline_kernelINS0_14default_configENS1_32segmented_reduce_config_selectorIN3c108BFloat16EEEZNS1_21segmented_reduce_implIS3_PKS6_PS6_PKlS6_N6hipcub16HIPCUB_304000_NS6detail27convert_result_type_wrapperISA_SB_N2at6native12_GLOBAL__N_110CustomProdEEEEE10hipError_tPvRmT0_T1_jT2_SS_T4_T3_P12ihipStream_tbEUlT_E_NS1_11comp_targetILNS1_3genE10ELNS1_11target_archE1201ELNS1_3gpuE5ELNS1_3repE0EEENS1_30default_config_static_selectorELNS0_4arch9wavefront6targetE0EEEvSR_.has_recursion, 0
	.set _ZN7rocprim17ROCPRIM_400000_NS6detail17trampoline_kernelINS0_14default_configENS1_32segmented_reduce_config_selectorIN3c108BFloat16EEEZNS1_21segmented_reduce_implIS3_PKS6_PS6_PKlS6_N6hipcub16HIPCUB_304000_NS6detail27convert_result_type_wrapperISA_SB_N2at6native12_GLOBAL__N_110CustomProdEEEEE10hipError_tPvRmT0_T1_jT2_SS_T4_T3_P12ihipStream_tbEUlT_E_NS1_11comp_targetILNS1_3genE10ELNS1_11target_archE1201ELNS1_3gpuE5ELNS1_3repE0EEENS1_30default_config_static_selectorELNS0_4arch9wavefront6targetE0EEEvSR_.has_indirect_call, 0
	.section	.AMDGPU.csdata,"",@progbits
; Kernel info:
; codeLenInByte = 0
; TotalNumSgprs: 0
; NumVgprs: 0
; ScratchSize: 0
; MemoryBound: 0
; FloatMode: 240
; IeeeMode: 1
; LDSByteSize: 0 bytes/workgroup (compile time only)
; SGPRBlocks: 0
; VGPRBlocks: 0
; NumSGPRsForWavesPerEU: 1
; NumVGPRsForWavesPerEU: 1
; Occupancy: 16
; WaveLimiterHint : 0
; COMPUTE_PGM_RSRC2:SCRATCH_EN: 0
; COMPUTE_PGM_RSRC2:USER_SGPR: 6
; COMPUTE_PGM_RSRC2:TRAP_HANDLER: 0
; COMPUTE_PGM_RSRC2:TGID_X_EN: 1
; COMPUTE_PGM_RSRC2:TGID_Y_EN: 0
; COMPUTE_PGM_RSRC2:TGID_Z_EN: 0
; COMPUTE_PGM_RSRC2:TIDIG_COMP_CNT: 0
	.section	.text._ZN7rocprim17ROCPRIM_400000_NS6detail17trampoline_kernelINS0_14default_configENS1_32segmented_reduce_config_selectorIN3c108BFloat16EEEZNS1_21segmented_reduce_implIS3_PKS6_PS6_PKlS6_N6hipcub16HIPCUB_304000_NS6detail27convert_result_type_wrapperISA_SB_N2at6native12_GLOBAL__N_110CustomProdEEEEE10hipError_tPvRmT0_T1_jT2_SS_T4_T3_P12ihipStream_tbEUlT_E_NS1_11comp_targetILNS1_3genE4ELNS1_11target_archE910ELNS1_3gpuE8ELNS1_3repE0EEENS1_30default_config_static_selectorELNS0_4arch9wavefront6targetE0EEEvSR_,"axG",@progbits,_ZN7rocprim17ROCPRIM_400000_NS6detail17trampoline_kernelINS0_14default_configENS1_32segmented_reduce_config_selectorIN3c108BFloat16EEEZNS1_21segmented_reduce_implIS3_PKS6_PS6_PKlS6_N6hipcub16HIPCUB_304000_NS6detail27convert_result_type_wrapperISA_SB_N2at6native12_GLOBAL__N_110CustomProdEEEEE10hipError_tPvRmT0_T1_jT2_SS_T4_T3_P12ihipStream_tbEUlT_E_NS1_11comp_targetILNS1_3genE4ELNS1_11target_archE910ELNS1_3gpuE8ELNS1_3repE0EEENS1_30default_config_static_selectorELNS0_4arch9wavefront6targetE0EEEvSR_,comdat
	.globl	_ZN7rocprim17ROCPRIM_400000_NS6detail17trampoline_kernelINS0_14default_configENS1_32segmented_reduce_config_selectorIN3c108BFloat16EEEZNS1_21segmented_reduce_implIS3_PKS6_PS6_PKlS6_N6hipcub16HIPCUB_304000_NS6detail27convert_result_type_wrapperISA_SB_N2at6native12_GLOBAL__N_110CustomProdEEEEE10hipError_tPvRmT0_T1_jT2_SS_T4_T3_P12ihipStream_tbEUlT_E_NS1_11comp_targetILNS1_3genE4ELNS1_11target_archE910ELNS1_3gpuE8ELNS1_3repE0EEENS1_30default_config_static_selectorELNS0_4arch9wavefront6targetE0EEEvSR_ ; -- Begin function _ZN7rocprim17ROCPRIM_400000_NS6detail17trampoline_kernelINS0_14default_configENS1_32segmented_reduce_config_selectorIN3c108BFloat16EEEZNS1_21segmented_reduce_implIS3_PKS6_PS6_PKlS6_N6hipcub16HIPCUB_304000_NS6detail27convert_result_type_wrapperISA_SB_N2at6native12_GLOBAL__N_110CustomProdEEEEE10hipError_tPvRmT0_T1_jT2_SS_T4_T3_P12ihipStream_tbEUlT_E_NS1_11comp_targetILNS1_3genE4ELNS1_11target_archE910ELNS1_3gpuE8ELNS1_3repE0EEENS1_30default_config_static_selectorELNS0_4arch9wavefront6targetE0EEEvSR_
	.p2align	8
	.type	_ZN7rocprim17ROCPRIM_400000_NS6detail17trampoline_kernelINS0_14default_configENS1_32segmented_reduce_config_selectorIN3c108BFloat16EEEZNS1_21segmented_reduce_implIS3_PKS6_PS6_PKlS6_N6hipcub16HIPCUB_304000_NS6detail27convert_result_type_wrapperISA_SB_N2at6native12_GLOBAL__N_110CustomProdEEEEE10hipError_tPvRmT0_T1_jT2_SS_T4_T3_P12ihipStream_tbEUlT_E_NS1_11comp_targetILNS1_3genE4ELNS1_11target_archE910ELNS1_3gpuE8ELNS1_3repE0EEENS1_30default_config_static_selectorELNS0_4arch9wavefront6targetE0EEEvSR_,@function
_ZN7rocprim17ROCPRIM_400000_NS6detail17trampoline_kernelINS0_14default_configENS1_32segmented_reduce_config_selectorIN3c108BFloat16EEEZNS1_21segmented_reduce_implIS3_PKS6_PS6_PKlS6_N6hipcub16HIPCUB_304000_NS6detail27convert_result_type_wrapperISA_SB_N2at6native12_GLOBAL__N_110CustomProdEEEEE10hipError_tPvRmT0_T1_jT2_SS_T4_T3_P12ihipStream_tbEUlT_E_NS1_11comp_targetILNS1_3genE4ELNS1_11target_archE910ELNS1_3gpuE8ELNS1_3repE0EEENS1_30default_config_static_selectorELNS0_4arch9wavefront6targetE0EEEvSR_: ; @_ZN7rocprim17ROCPRIM_400000_NS6detail17trampoline_kernelINS0_14default_configENS1_32segmented_reduce_config_selectorIN3c108BFloat16EEEZNS1_21segmented_reduce_implIS3_PKS6_PS6_PKlS6_N6hipcub16HIPCUB_304000_NS6detail27convert_result_type_wrapperISA_SB_N2at6native12_GLOBAL__N_110CustomProdEEEEE10hipError_tPvRmT0_T1_jT2_SS_T4_T3_P12ihipStream_tbEUlT_E_NS1_11comp_targetILNS1_3genE4ELNS1_11target_archE910ELNS1_3gpuE8ELNS1_3repE0EEENS1_30default_config_static_selectorELNS0_4arch9wavefront6targetE0EEEvSR_
; %bb.0:
	.section	.rodata,"a",@progbits
	.p2align	6, 0x0
	.amdhsa_kernel _ZN7rocprim17ROCPRIM_400000_NS6detail17trampoline_kernelINS0_14default_configENS1_32segmented_reduce_config_selectorIN3c108BFloat16EEEZNS1_21segmented_reduce_implIS3_PKS6_PS6_PKlS6_N6hipcub16HIPCUB_304000_NS6detail27convert_result_type_wrapperISA_SB_N2at6native12_GLOBAL__N_110CustomProdEEEEE10hipError_tPvRmT0_T1_jT2_SS_T4_T3_P12ihipStream_tbEUlT_E_NS1_11comp_targetILNS1_3genE4ELNS1_11target_archE910ELNS1_3gpuE8ELNS1_3repE0EEENS1_30default_config_static_selectorELNS0_4arch9wavefront6targetE0EEEvSR_
		.amdhsa_group_segment_fixed_size 0
		.amdhsa_private_segment_fixed_size 0
		.amdhsa_kernarg_size 48
		.amdhsa_user_sgpr_count 6
		.amdhsa_user_sgpr_private_segment_buffer 1
		.amdhsa_user_sgpr_dispatch_ptr 0
		.amdhsa_user_sgpr_queue_ptr 0
		.amdhsa_user_sgpr_kernarg_segment_ptr 1
		.amdhsa_user_sgpr_dispatch_id 0
		.amdhsa_user_sgpr_flat_scratch_init 0
		.amdhsa_user_sgpr_private_segment_size 0
		.amdhsa_wavefront_size32 1
		.amdhsa_uses_dynamic_stack 0
		.amdhsa_system_sgpr_private_segment_wavefront_offset 0
		.amdhsa_system_sgpr_workgroup_id_x 1
		.amdhsa_system_sgpr_workgroup_id_y 0
		.amdhsa_system_sgpr_workgroup_id_z 0
		.amdhsa_system_sgpr_workgroup_info 0
		.amdhsa_system_vgpr_workitem_id 0
		.amdhsa_next_free_vgpr 1
		.amdhsa_next_free_sgpr 1
		.amdhsa_reserve_vcc 0
		.amdhsa_reserve_flat_scratch 0
		.amdhsa_float_round_mode_32 0
		.amdhsa_float_round_mode_16_64 0
		.amdhsa_float_denorm_mode_32 3
		.amdhsa_float_denorm_mode_16_64 3
		.amdhsa_dx10_clamp 1
		.amdhsa_ieee_mode 1
		.amdhsa_fp16_overflow 0
		.amdhsa_workgroup_processor_mode 1
		.amdhsa_memory_ordered 1
		.amdhsa_forward_progress 1
		.amdhsa_shared_vgpr_count 0
		.amdhsa_exception_fp_ieee_invalid_op 0
		.amdhsa_exception_fp_denorm_src 0
		.amdhsa_exception_fp_ieee_div_zero 0
		.amdhsa_exception_fp_ieee_overflow 0
		.amdhsa_exception_fp_ieee_underflow 0
		.amdhsa_exception_fp_ieee_inexact 0
		.amdhsa_exception_int_div_zero 0
	.end_amdhsa_kernel
	.section	.text._ZN7rocprim17ROCPRIM_400000_NS6detail17trampoline_kernelINS0_14default_configENS1_32segmented_reduce_config_selectorIN3c108BFloat16EEEZNS1_21segmented_reduce_implIS3_PKS6_PS6_PKlS6_N6hipcub16HIPCUB_304000_NS6detail27convert_result_type_wrapperISA_SB_N2at6native12_GLOBAL__N_110CustomProdEEEEE10hipError_tPvRmT0_T1_jT2_SS_T4_T3_P12ihipStream_tbEUlT_E_NS1_11comp_targetILNS1_3genE4ELNS1_11target_archE910ELNS1_3gpuE8ELNS1_3repE0EEENS1_30default_config_static_selectorELNS0_4arch9wavefront6targetE0EEEvSR_,"axG",@progbits,_ZN7rocprim17ROCPRIM_400000_NS6detail17trampoline_kernelINS0_14default_configENS1_32segmented_reduce_config_selectorIN3c108BFloat16EEEZNS1_21segmented_reduce_implIS3_PKS6_PS6_PKlS6_N6hipcub16HIPCUB_304000_NS6detail27convert_result_type_wrapperISA_SB_N2at6native12_GLOBAL__N_110CustomProdEEEEE10hipError_tPvRmT0_T1_jT2_SS_T4_T3_P12ihipStream_tbEUlT_E_NS1_11comp_targetILNS1_3genE4ELNS1_11target_archE910ELNS1_3gpuE8ELNS1_3repE0EEENS1_30default_config_static_selectorELNS0_4arch9wavefront6targetE0EEEvSR_,comdat
.Lfunc_end275:
	.size	_ZN7rocprim17ROCPRIM_400000_NS6detail17trampoline_kernelINS0_14default_configENS1_32segmented_reduce_config_selectorIN3c108BFloat16EEEZNS1_21segmented_reduce_implIS3_PKS6_PS6_PKlS6_N6hipcub16HIPCUB_304000_NS6detail27convert_result_type_wrapperISA_SB_N2at6native12_GLOBAL__N_110CustomProdEEEEE10hipError_tPvRmT0_T1_jT2_SS_T4_T3_P12ihipStream_tbEUlT_E_NS1_11comp_targetILNS1_3genE4ELNS1_11target_archE910ELNS1_3gpuE8ELNS1_3repE0EEENS1_30default_config_static_selectorELNS0_4arch9wavefront6targetE0EEEvSR_, .Lfunc_end275-_ZN7rocprim17ROCPRIM_400000_NS6detail17trampoline_kernelINS0_14default_configENS1_32segmented_reduce_config_selectorIN3c108BFloat16EEEZNS1_21segmented_reduce_implIS3_PKS6_PS6_PKlS6_N6hipcub16HIPCUB_304000_NS6detail27convert_result_type_wrapperISA_SB_N2at6native12_GLOBAL__N_110CustomProdEEEEE10hipError_tPvRmT0_T1_jT2_SS_T4_T3_P12ihipStream_tbEUlT_E_NS1_11comp_targetILNS1_3genE4ELNS1_11target_archE910ELNS1_3gpuE8ELNS1_3repE0EEENS1_30default_config_static_selectorELNS0_4arch9wavefront6targetE0EEEvSR_
                                        ; -- End function
	.set _ZN7rocprim17ROCPRIM_400000_NS6detail17trampoline_kernelINS0_14default_configENS1_32segmented_reduce_config_selectorIN3c108BFloat16EEEZNS1_21segmented_reduce_implIS3_PKS6_PS6_PKlS6_N6hipcub16HIPCUB_304000_NS6detail27convert_result_type_wrapperISA_SB_N2at6native12_GLOBAL__N_110CustomProdEEEEE10hipError_tPvRmT0_T1_jT2_SS_T4_T3_P12ihipStream_tbEUlT_E_NS1_11comp_targetILNS1_3genE4ELNS1_11target_archE910ELNS1_3gpuE8ELNS1_3repE0EEENS1_30default_config_static_selectorELNS0_4arch9wavefront6targetE0EEEvSR_.num_vgpr, 0
	.set _ZN7rocprim17ROCPRIM_400000_NS6detail17trampoline_kernelINS0_14default_configENS1_32segmented_reduce_config_selectorIN3c108BFloat16EEEZNS1_21segmented_reduce_implIS3_PKS6_PS6_PKlS6_N6hipcub16HIPCUB_304000_NS6detail27convert_result_type_wrapperISA_SB_N2at6native12_GLOBAL__N_110CustomProdEEEEE10hipError_tPvRmT0_T1_jT2_SS_T4_T3_P12ihipStream_tbEUlT_E_NS1_11comp_targetILNS1_3genE4ELNS1_11target_archE910ELNS1_3gpuE8ELNS1_3repE0EEENS1_30default_config_static_selectorELNS0_4arch9wavefront6targetE0EEEvSR_.num_agpr, 0
	.set _ZN7rocprim17ROCPRIM_400000_NS6detail17trampoline_kernelINS0_14default_configENS1_32segmented_reduce_config_selectorIN3c108BFloat16EEEZNS1_21segmented_reduce_implIS3_PKS6_PS6_PKlS6_N6hipcub16HIPCUB_304000_NS6detail27convert_result_type_wrapperISA_SB_N2at6native12_GLOBAL__N_110CustomProdEEEEE10hipError_tPvRmT0_T1_jT2_SS_T4_T3_P12ihipStream_tbEUlT_E_NS1_11comp_targetILNS1_3genE4ELNS1_11target_archE910ELNS1_3gpuE8ELNS1_3repE0EEENS1_30default_config_static_selectorELNS0_4arch9wavefront6targetE0EEEvSR_.numbered_sgpr, 0
	.set _ZN7rocprim17ROCPRIM_400000_NS6detail17trampoline_kernelINS0_14default_configENS1_32segmented_reduce_config_selectorIN3c108BFloat16EEEZNS1_21segmented_reduce_implIS3_PKS6_PS6_PKlS6_N6hipcub16HIPCUB_304000_NS6detail27convert_result_type_wrapperISA_SB_N2at6native12_GLOBAL__N_110CustomProdEEEEE10hipError_tPvRmT0_T1_jT2_SS_T4_T3_P12ihipStream_tbEUlT_E_NS1_11comp_targetILNS1_3genE4ELNS1_11target_archE910ELNS1_3gpuE8ELNS1_3repE0EEENS1_30default_config_static_selectorELNS0_4arch9wavefront6targetE0EEEvSR_.num_named_barrier, 0
	.set _ZN7rocprim17ROCPRIM_400000_NS6detail17trampoline_kernelINS0_14default_configENS1_32segmented_reduce_config_selectorIN3c108BFloat16EEEZNS1_21segmented_reduce_implIS3_PKS6_PS6_PKlS6_N6hipcub16HIPCUB_304000_NS6detail27convert_result_type_wrapperISA_SB_N2at6native12_GLOBAL__N_110CustomProdEEEEE10hipError_tPvRmT0_T1_jT2_SS_T4_T3_P12ihipStream_tbEUlT_E_NS1_11comp_targetILNS1_3genE4ELNS1_11target_archE910ELNS1_3gpuE8ELNS1_3repE0EEENS1_30default_config_static_selectorELNS0_4arch9wavefront6targetE0EEEvSR_.private_seg_size, 0
	.set _ZN7rocprim17ROCPRIM_400000_NS6detail17trampoline_kernelINS0_14default_configENS1_32segmented_reduce_config_selectorIN3c108BFloat16EEEZNS1_21segmented_reduce_implIS3_PKS6_PS6_PKlS6_N6hipcub16HIPCUB_304000_NS6detail27convert_result_type_wrapperISA_SB_N2at6native12_GLOBAL__N_110CustomProdEEEEE10hipError_tPvRmT0_T1_jT2_SS_T4_T3_P12ihipStream_tbEUlT_E_NS1_11comp_targetILNS1_3genE4ELNS1_11target_archE910ELNS1_3gpuE8ELNS1_3repE0EEENS1_30default_config_static_selectorELNS0_4arch9wavefront6targetE0EEEvSR_.uses_vcc, 0
	.set _ZN7rocprim17ROCPRIM_400000_NS6detail17trampoline_kernelINS0_14default_configENS1_32segmented_reduce_config_selectorIN3c108BFloat16EEEZNS1_21segmented_reduce_implIS3_PKS6_PS6_PKlS6_N6hipcub16HIPCUB_304000_NS6detail27convert_result_type_wrapperISA_SB_N2at6native12_GLOBAL__N_110CustomProdEEEEE10hipError_tPvRmT0_T1_jT2_SS_T4_T3_P12ihipStream_tbEUlT_E_NS1_11comp_targetILNS1_3genE4ELNS1_11target_archE910ELNS1_3gpuE8ELNS1_3repE0EEENS1_30default_config_static_selectorELNS0_4arch9wavefront6targetE0EEEvSR_.uses_flat_scratch, 0
	.set _ZN7rocprim17ROCPRIM_400000_NS6detail17trampoline_kernelINS0_14default_configENS1_32segmented_reduce_config_selectorIN3c108BFloat16EEEZNS1_21segmented_reduce_implIS3_PKS6_PS6_PKlS6_N6hipcub16HIPCUB_304000_NS6detail27convert_result_type_wrapperISA_SB_N2at6native12_GLOBAL__N_110CustomProdEEEEE10hipError_tPvRmT0_T1_jT2_SS_T4_T3_P12ihipStream_tbEUlT_E_NS1_11comp_targetILNS1_3genE4ELNS1_11target_archE910ELNS1_3gpuE8ELNS1_3repE0EEENS1_30default_config_static_selectorELNS0_4arch9wavefront6targetE0EEEvSR_.has_dyn_sized_stack, 0
	.set _ZN7rocprim17ROCPRIM_400000_NS6detail17trampoline_kernelINS0_14default_configENS1_32segmented_reduce_config_selectorIN3c108BFloat16EEEZNS1_21segmented_reduce_implIS3_PKS6_PS6_PKlS6_N6hipcub16HIPCUB_304000_NS6detail27convert_result_type_wrapperISA_SB_N2at6native12_GLOBAL__N_110CustomProdEEEEE10hipError_tPvRmT0_T1_jT2_SS_T4_T3_P12ihipStream_tbEUlT_E_NS1_11comp_targetILNS1_3genE4ELNS1_11target_archE910ELNS1_3gpuE8ELNS1_3repE0EEENS1_30default_config_static_selectorELNS0_4arch9wavefront6targetE0EEEvSR_.has_recursion, 0
	.set _ZN7rocprim17ROCPRIM_400000_NS6detail17trampoline_kernelINS0_14default_configENS1_32segmented_reduce_config_selectorIN3c108BFloat16EEEZNS1_21segmented_reduce_implIS3_PKS6_PS6_PKlS6_N6hipcub16HIPCUB_304000_NS6detail27convert_result_type_wrapperISA_SB_N2at6native12_GLOBAL__N_110CustomProdEEEEE10hipError_tPvRmT0_T1_jT2_SS_T4_T3_P12ihipStream_tbEUlT_E_NS1_11comp_targetILNS1_3genE4ELNS1_11target_archE910ELNS1_3gpuE8ELNS1_3repE0EEENS1_30default_config_static_selectorELNS0_4arch9wavefront6targetE0EEEvSR_.has_indirect_call, 0
	.section	.AMDGPU.csdata,"",@progbits
; Kernel info:
; codeLenInByte = 0
; TotalNumSgprs: 0
; NumVgprs: 0
; ScratchSize: 0
; MemoryBound: 0
; FloatMode: 240
; IeeeMode: 1
; LDSByteSize: 0 bytes/workgroup (compile time only)
; SGPRBlocks: 0
; VGPRBlocks: 0
; NumSGPRsForWavesPerEU: 1
; NumVGPRsForWavesPerEU: 1
; Occupancy: 16
; WaveLimiterHint : 0
; COMPUTE_PGM_RSRC2:SCRATCH_EN: 0
; COMPUTE_PGM_RSRC2:USER_SGPR: 6
; COMPUTE_PGM_RSRC2:TRAP_HANDLER: 0
; COMPUTE_PGM_RSRC2:TGID_X_EN: 1
; COMPUTE_PGM_RSRC2:TGID_Y_EN: 0
; COMPUTE_PGM_RSRC2:TGID_Z_EN: 0
; COMPUTE_PGM_RSRC2:TIDIG_COMP_CNT: 0
	.section	.text._ZN7rocprim17ROCPRIM_400000_NS6detail17trampoline_kernelINS0_14default_configENS1_32segmented_reduce_config_selectorIN3c108BFloat16EEEZNS1_21segmented_reduce_implIS3_PKS6_PS6_PKlS6_N6hipcub16HIPCUB_304000_NS6detail27convert_result_type_wrapperISA_SB_N2at6native12_GLOBAL__N_110CustomProdEEEEE10hipError_tPvRmT0_T1_jT2_SS_T4_T3_P12ihipStream_tbEUlT_E_NS1_11comp_targetILNS1_3genE3ELNS1_11target_archE908ELNS1_3gpuE7ELNS1_3repE0EEENS1_30default_config_static_selectorELNS0_4arch9wavefront6targetE0EEEvSR_,"axG",@progbits,_ZN7rocprim17ROCPRIM_400000_NS6detail17trampoline_kernelINS0_14default_configENS1_32segmented_reduce_config_selectorIN3c108BFloat16EEEZNS1_21segmented_reduce_implIS3_PKS6_PS6_PKlS6_N6hipcub16HIPCUB_304000_NS6detail27convert_result_type_wrapperISA_SB_N2at6native12_GLOBAL__N_110CustomProdEEEEE10hipError_tPvRmT0_T1_jT2_SS_T4_T3_P12ihipStream_tbEUlT_E_NS1_11comp_targetILNS1_3genE3ELNS1_11target_archE908ELNS1_3gpuE7ELNS1_3repE0EEENS1_30default_config_static_selectorELNS0_4arch9wavefront6targetE0EEEvSR_,comdat
	.globl	_ZN7rocprim17ROCPRIM_400000_NS6detail17trampoline_kernelINS0_14default_configENS1_32segmented_reduce_config_selectorIN3c108BFloat16EEEZNS1_21segmented_reduce_implIS3_PKS6_PS6_PKlS6_N6hipcub16HIPCUB_304000_NS6detail27convert_result_type_wrapperISA_SB_N2at6native12_GLOBAL__N_110CustomProdEEEEE10hipError_tPvRmT0_T1_jT2_SS_T4_T3_P12ihipStream_tbEUlT_E_NS1_11comp_targetILNS1_3genE3ELNS1_11target_archE908ELNS1_3gpuE7ELNS1_3repE0EEENS1_30default_config_static_selectorELNS0_4arch9wavefront6targetE0EEEvSR_ ; -- Begin function _ZN7rocprim17ROCPRIM_400000_NS6detail17trampoline_kernelINS0_14default_configENS1_32segmented_reduce_config_selectorIN3c108BFloat16EEEZNS1_21segmented_reduce_implIS3_PKS6_PS6_PKlS6_N6hipcub16HIPCUB_304000_NS6detail27convert_result_type_wrapperISA_SB_N2at6native12_GLOBAL__N_110CustomProdEEEEE10hipError_tPvRmT0_T1_jT2_SS_T4_T3_P12ihipStream_tbEUlT_E_NS1_11comp_targetILNS1_3genE3ELNS1_11target_archE908ELNS1_3gpuE7ELNS1_3repE0EEENS1_30default_config_static_selectorELNS0_4arch9wavefront6targetE0EEEvSR_
	.p2align	8
	.type	_ZN7rocprim17ROCPRIM_400000_NS6detail17trampoline_kernelINS0_14default_configENS1_32segmented_reduce_config_selectorIN3c108BFloat16EEEZNS1_21segmented_reduce_implIS3_PKS6_PS6_PKlS6_N6hipcub16HIPCUB_304000_NS6detail27convert_result_type_wrapperISA_SB_N2at6native12_GLOBAL__N_110CustomProdEEEEE10hipError_tPvRmT0_T1_jT2_SS_T4_T3_P12ihipStream_tbEUlT_E_NS1_11comp_targetILNS1_3genE3ELNS1_11target_archE908ELNS1_3gpuE7ELNS1_3repE0EEENS1_30default_config_static_selectorELNS0_4arch9wavefront6targetE0EEEvSR_,@function
_ZN7rocprim17ROCPRIM_400000_NS6detail17trampoline_kernelINS0_14default_configENS1_32segmented_reduce_config_selectorIN3c108BFloat16EEEZNS1_21segmented_reduce_implIS3_PKS6_PS6_PKlS6_N6hipcub16HIPCUB_304000_NS6detail27convert_result_type_wrapperISA_SB_N2at6native12_GLOBAL__N_110CustomProdEEEEE10hipError_tPvRmT0_T1_jT2_SS_T4_T3_P12ihipStream_tbEUlT_E_NS1_11comp_targetILNS1_3genE3ELNS1_11target_archE908ELNS1_3gpuE7ELNS1_3repE0EEENS1_30default_config_static_selectorELNS0_4arch9wavefront6targetE0EEEvSR_: ; @_ZN7rocprim17ROCPRIM_400000_NS6detail17trampoline_kernelINS0_14default_configENS1_32segmented_reduce_config_selectorIN3c108BFloat16EEEZNS1_21segmented_reduce_implIS3_PKS6_PS6_PKlS6_N6hipcub16HIPCUB_304000_NS6detail27convert_result_type_wrapperISA_SB_N2at6native12_GLOBAL__N_110CustomProdEEEEE10hipError_tPvRmT0_T1_jT2_SS_T4_T3_P12ihipStream_tbEUlT_E_NS1_11comp_targetILNS1_3genE3ELNS1_11target_archE908ELNS1_3gpuE7ELNS1_3repE0EEENS1_30default_config_static_selectorELNS0_4arch9wavefront6targetE0EEEvSR_
; %bb.0:
	.section	.rodata,"a",@progbits
	.p2align	6, 0x0
	.amdhsa_kernel _ZN7rocprim17ROCPRIM_400000_NS6detail17trampoline_kernelINS0_14default_configENS1_32segmented_reduce_config_selectorIN3c108BFloat16EEEZNS1_21segmented_reduce_implIS3_PKS6_PS6_PKlS6_N6hipcub16HIPCUB_304000_NS6detail27convert_result_type_wrapperISA_SB_N2at6native12_GLOBAL__N_110CustomProdEEEEE10hipError_tPvRmT0_T1_jT2_SS_T4_T3_P12ihipStream_tbEUlT_E_NS1_11comp_targetILNS1_3genE3ELNS1_11target_archE908ELNS1_3gpuE7ELNS1_3repE0EEENS1_30default_config_static_selectorELNS0_4arch9wavefront6targetE0EEEvSR_
		.amdhsa_group_segment_fixed_size 0
		.amdhsa_private_segment_fixed_size 0
		.amdhsa_kernarg_size 48
		.amdhsa_user_sgpr_count 6
		.amdhsa_user_sgpr_private_segment_buffer 1
		.amdhsa_user_sgpr_dispatch_ptr 0
		.amdhsa_user_sgpr_queue_ptr 0
		.amdhsa_user_sgpr_kernarg_segment_ptr 1
		.amdhsa_user_sgpr_dispatch_id 0
		.amdhsa_user_sgpr_flat_scratch_init 0
		.amdhsa_user_sgpr_private_segment_size 0
		.amdhsa_wavefront_size32 1
		.amdhsa_uses_dynamic_stack 0
		.amdhsa_system_sgpr_private_segment_wavefront_offset 0
		.amdhsa_system_sgpr_workgroup_id_x 1
		.amdhsa_system_sgpr_workgroup_id_y 0
		.amdhsa_system_sgpr_workgroup_id_z 0
		.amdhsa_system_sgpr_workgroup_info 0
		.amdhsa_system_vgpr_workitem_id 0
		.amdhsa_next_free_vgpr 1
		.amdhsa_next_free_sgpr 1
		.amdhsa_reserve_vcc 0
		.amdhsa_reserve_flat_scratch 0
		.amdhsa_float_round_mode_32 0
		.amdhsa_float_round_mode_16_64 0
		.amdhsa_float_denorm_mode_32 3
		.amdhsa_float_denorm_mode_16_64 3
		.amdhsa_dx10_clamp 1
		.amdhsa_ieee_mode 1
		.amdhsa_fp16_overflow 0
		.amdhsa_workgroup_processor_mode 1
		.amdhsa_memory_ordered 1
		.amdhsa_forward_progress 1
		.amdhsa_shared_vgpr_count 0
		.amdhsa_exception_fp_ieee_invalid_op 0
		.amdhsa_exception_fp_denorm_src 0
		.amdhsa_exception_fp_ieee_div_zero 0
		.amdhsa_exception_fp_ieee_overflow 0
		.amdhsa_exception_fp_ieee_underflow 0
		.amdhsa_exception_fp_ieee_inexact 0
		.amdhsa_exception_int_div_zero 0
	.end_amdhsa_kernel
	.section	.text._ZN7rocprim17ROCPRIM_400000_NS6detail17trampoline_kernelINS0_14default_configENS1_32segmented_reduce_config_selectorIN3c108BFloat16EEEZNS1_21segmented_reduce_implIS3_PKS6_PS6_PKlS6_N6hipcub16HIPCUB_304000_NS6detail27convert_result_type_wrapperISA_SB_N2at6native12_GLOBAL__N_110CustomProdEEEEE10hipError_tPvRmT0_T1_jT2_SS_T4_T3_P12ihipStream_tbEUlT_E_NS1_11comp_targetILNS1_3genE3ELNS1_11target_archE908ELNS1_3gpuE7ELNS1_3repE0EEENS1_30default_config_static_selectorELNS0_4arch9wavefront6targetE0EEEvSR_,"axG",@progbits,_ZN7rocprim17ROCPRIM_400000_NS6detail17trampoline_kernelINS0_14default_configENS1_32segmented_reduce_config_selectorIN3c108BFloat16EEEZNS1_21segmented_reduce_implIS3_PKS6_PS6_PKlS6_N6hipcub16HIPCUB_304000_NS6detail27convert_result_type_wrapperISA_SB_N2at6native12_GLOBAL__N_110CustomProdEEEEE10hipError_tPvRmT0_T1_jT2_SS_T4_T3_P12ihipStream_tbEUlT_E_NS1_11comp_targetILNS1_3genE3ELNS1_11target_archE908ELNS1_3gpuE7ELNS1_3repE0EEENS1_30default_config_static_selectorELNS0_4arch9wavefront6targetE0EEEvSR_,comdat
.Lfunc_end276:
	.size	_ZN7rocprim17ROCPRIM_400000_NS6detail17trampoline_kernelINS0_14default_configENS1_32segmented_reduce_config_selectorIN3c108BFloat16EEEZNS1_21segmented_reduce_implIS3_PKS6_PS6_PKlS6_N6hipcub16HIPCUB_304000_NS6detail27convert_result_type_wrapperISA_SB_N2at6native12_GLOBAL__N_110CustomProdEEEEE10hipError_tPvRmT0_T1_jT2_SS_T4_T3_P12ihipStream_tbEUlT_E_NS1_11comp_targetILNS1_3genE3ELNS1_11target_archE908ELNS1_3gpuE7ELNS1_3repE0EEENS1_30default_config_static_selectorELNS0_4arch9wavefront6targetE0EEEvSR_, .Lfunc_end276-_ZN7rocprim17ROCPRIM_400000_NS6detail17trampoline_kernelINS0_14default_configENS1_32segmented_reduce_config_selectorIN3c108BFloat16EEEZNS1_21segmented_reduce_implIS3_PKS6_PS6_PKlS6_N6hipcub16HIPCUB_304000_NS6detail27convert_result_type_wrapperISA_SB_N2at6native12_GLOBAL__N_110CustomProdEEEEE10hipError_tPvRmT0_T1_jT2_SS_T4_T3_P12ihipStream_tbEUlT_E_NS1_11comp_targetILNS1_3genE3ELNS1_11target_archE908ELNS1_3gpuE7ELNS1_3repE0EEENS1_30default_config_static_selectorELNS0_4arch9wavefront6targetE0EEEvSR_
                                        ; -- End function
	.set _ZN7rocprim17ROCPRIM_400000_NS6detail17trampoline_kernelINS0_14default_configENS1_32segmented_reduce_config_selectorIN3c108BFloat16EEEZNS1_21segmented_reduce_implIS3_PKS6_PS6_PKlS6_N6hipcub16HIPCUB_304000_NS6detail27convert_result_type_wrapperISA_SB_N2at6native12_GLOBAL__N_110CustomProdEEEEE10hipError_tPvRmT0_T1_jT2_SS_T4_T3_P12ihipStream_tbEUlT_E_NS1_11comp_targetILNS1_3genE3ELNS1_11target_archE908ELNS1_3gpuE7ELNS1_3repE0EEENS1_30default_config_static_selectorELNS0_4arch9wavefront6targetE0EEEvSR_.num_vgpr, 0
	.set _ZN7rocprim17ROCPRIM_400000_NS6detail17trampoline_kernelINS0_14default_configENS1_32segmented_reduce_config_selectorIN3c108BFloat16EEEZNS1_21segmented_reduce_implIS3_PKS6_PS6_PKlS6_N6hipcub16HIPCUB_304000_NS6detail27convert_result_type_wrapperISA_SB_N2at6native12_GLOBAL__N_110CustomProdEEEEE10hipError_tPvRmT0_T1_jT2_SS_T4_T3_P12ihipStream_tbEUlT_E_NS1_11comp_targetILNS1_3genE3ELNS1_11target_archE908ELNS1_3gpuE7ELNS1_3repE0EEENS1_30default_config_static_selectorELNS0_4arch9wavefront6targetE0EEEvSR_.num_agpr, 0
	.set _ZN7rocprim17ROCPRIM_400000_NS6detail17trampoline_kernelINS0_14default_configENS1_32segmented_reduce_config_selectorIN3c108BFloat16EEEZNS1_21segmented_reduce_implIS3_PKS6_PS6_PKlS6_N6hipcub16HIPCUB_304000_NS6detail27convert_result_type_wrapperISA_SB_N2at6native12_GLOBAL__N_110CustomProdEEEEE10hipError_tPvRmT0_T1_jT2_SS_T4_T3_P12ihipStream_tbEUlT_E_NS1_11comp_targetILNS1_3genE3ELNS1_11target_archE908ELNS1_3gpuE7ELNS1_3repE0EEENS1_30default_config_static_selectorELNS0_4arch9wavefront6targetE0EEEvSR_.numbered_sgpr, 0
	.set _ZN7rocprim17ROCPRIM_400000_NS6detail17trampoline_kernelINS0_14default_configENS1_32segmented_reduce_config_selectorIN3c108BFloat16EEEZNS1_21segmented_reduce_implIS3_PKS6_PS6_PKlS6_N6hipcub16HIPCUB_304000_NS6detail27convert_result_type_wrapperISA_SB_N2at6native12_GLOBAL__N_110CustomProdEEEEE10hipError_tPvRmT0_T1_jT2_SS_T4_T3_P12ihipStream_tbEUlT_E_NS1_11comp_targetILNS1_3genE3ELNS1_11target_archE908ELNS1_3gpuE7ELNS1_3repE0EEENS1_30default_config_static_selectorELNS0_4arch9wavefront6targetE0EEEvSR_.num_named_barrier, 0
	.set _ZN7rocprim17ROCPRIM_400000_NS6detail17trampoline_kernelINS0_14default_configENS1_32segmented_reduce_config_selectorIN3c108BFloat16EEEZNS1_21segmented_reduce_implIS3_PKS6_PS6_PKlS6_N6hipcub16HIPCUB_304000_NS6detail27convert_result_type_wrapperISA_SB_N2at6native12_GLOBAL__N_110CustomProdEEEEE10hipError_tPvRmT0_T1_jT2_SS_T4_T3_P12ihipStream_tbEUlT_E_NS1_11comp_targetILNS1_3genE3ELNS1_11target_archE908ELNS1_3gpuE7ELNS1_3repE0EEENS1_30default_config_static_selectorELNS0_4arch9wavefront6targetE0EEEvSR_.private_seg_size, 0
	.set _ZN7rocprim17ROCPRIM_400000_NS6detail17trampoline_kernelINS0_14default_configENS1_32segmented_reduce_config_selectorIN3c108BFloat16EEEZNS1_21segmented_reduce_implIS3_PKS6_PS6_PKlS6_N6hipcub16HIPCUB_304000_NS6detail27convert_result_type_wrapperISA_SB_N2at6native12_GLOBAL__N_110CustomProdEEEEE10hipError_tPvRmT0_T1_jT2_SS_T4_T3_P12ihipStream_tbEUlT_E_NS1_11comp_targetILNS1_3genE3ELNS1_11target_archE908ELNS1_3gpuE7ELNS1_3repE0EEENS1_30default_config_static_selectorELNS0_4arch9wavefront6targetE0EEEvSR_.uses_vcc, 0
	.set _ZN7rocprim17ROCPRIM_400000_NS6detail17trampoline_kernelINS0_14default_configENS1_32segmented_reduce_config_selectorIN3c108BFloat16EEEZNS1_21segmented_reduce_implIS3_PKS6_PS6_PKlS6_N6hipcub16HIPCUB_304000_NS6detail27convert_result_type_wrapperISA_SB_N2at6native12_GLOBAL__N_110CustomProdEEEEE10hipError_tPvRmT0_T1_jT2_SS_T4_T3_P12ihipStream_tbEUlT_E_NS1_11comp_targetILNS1_3genE3ELNS1_11target_archE908ELNS1_3gpuE7ELNS1_3repE0EEENS1_30default_config_static_selectorELNS0_4arch9wavefront6targetE0EEEvSR_.uses_flat_scratch, 0
	.set _ZN7rocprim17ROCPRIM_400000_NS6detail17trampoline_kernelINS0_14default_configENS1_32segmented_reduce_config_selectorIN3c108BFloat16EEEZNS1_21segmented_reduce_implIS3_PKS6_PS6_PKlS6_N6hipcub16HIPCUB_304000_NS6detail27convert_result_type_wrapperISA_SB_N2at6native12_GLOBAL__N_110CustomProdEEEEE10hipError_tPvRmT0_T1_jT2_SS_T4_T3_P12ihipStream_tbEUlT_E_NS1_11comp_targetILNS1_3genE3ELNS1_11target_archE908ELNS1_3gpuE7ELNS1_3repE0EEENS1_30default_config_static_selectorELNS0_4arch9wavefront6targetE0EEEvSR_.has_dyn_sized_stack, 0
	.set _ZN7rocprim17ROCPRIM_400000_NS6detail17trampoline_kernelINS0_14default_configENS1_32segmented_reduce_config_selectorIN3c108BFloat16EEEZNS1_21segmented_reduce_implIS3_PKS6_PS6_PKlS6_N6hipcub16HIPCUB_304000_NS6detail27convert_result_type_wrapperISA_SB_N2at6native12_GLOBAL__N_110CustomProdEEEEE10hipError_tPvRmT0_T1_jT2_SS_T4_T3_P12ihipStream_tbEUlT_E_NS1_11comp_targetILNS1_3genE3ELNS1_11target_archE908ELNS1_3gpuE7ELNS1_3repE0EEENS1_30default_config_static_selectorELNS0_4arch9wavefront6targetE0EEEvSR_.has_recursion, 0
	.set _ZN7rocprim17ROCPRIM_400000_NS6detail17trampoline_kernelINS0_14default_configENS1_32segmented_reduce_config_selectorIN3c108BFloat16EEEZNS1_21segmented_reduce_implIS3_PKS6_PS6_PKlS6_N6hipcub16HIPCUB_304000_NS6detail27convert_result_type_wrapperISA_SB_N2at6native12_GLOBAL__N_110CustomProdEEEEE10hipError_tPvRmT0_T1_jT2_SS_T4_T3_P12ihipStream_tbEUlT_E_NS1_11comp_targetILNS1_3genE3ELNS1_11target_archE908ELNS1_3gpuE7ELNS1_3repE0EEENS1_30default_config_static_selectorELNS0_4arch9wavefront6targetE0EEEvSR_.has_indirect_call, 0
	.section	.AMDGPU.csdata,"",@progbits
; Kernel info:
; codeLenInByte = 0
; TotalNumSgprs: 0
; NumVgprs: 0
; ScratchSize: 0
; MemoryBound: 0
; FloatMode: 240
; IeeeMode: 1
; LDSByteSize: 0 bytes/workgroup (compile time only)
; SGPRBlocks: 0
; VGPRBlocks: 0
; NumSGPRsForWavesPerEU: 1
; NumVGPRsForWavesPerEU: 1
; Occupancy: 16
; WaveLimiterHint : 0
; COMPUTE_PGM_RSRC2:SCRATCH_EN: 0
; COMPUTE_PGM_RSRC2:USER_SGPR: 6
; COMPUTE_PGM_RSRC2:TRAP_HANDLER: 0
; COMPUTE_PGM_RSRC2:TGID_X_EN: 1
; COMPUTE_PGM_RSRC2:TGID_Y_EN: 0
; COMPUTE_PGM_RSRC2:TGID_Z_EN: 0
; COMPUTE_PGM_RSRC2:TIDIG_COMP_CNT: 0
	.section	.text._ZN7rocprim17ROCPRIM_400000_NS6detail17trampoline_kernelINS0_14default_configENS1_32segmented_reduce_config_selectorIN3c108BFloat16EEEZNS1_21segmented_reduce_implIS3_PKS6_PS6_PKlS6_N6hipcub16HIPCUB_304000_NS6detail27convert_result_type_wrapperISA_SB_N2at6native12_GLOBAL__N_110CustomProdEEEEE10hipError_tPvRmT0_T1_jT2_SS_T4_T3_P12ihipStream_tbEUlT_E_NS1_11comp_targetILNS1_3genE2ELNS1_11target_archE906ELNS1_3gpuE6ELNS1_3repE0EEENS1_30default_config_static_selectorELNS0_4arch9wavefront6targetE0EEEvSR_,"axG",@progbits,_ZN7rocprim17ROCPRIM_400000_NS6detail17trampoline_kernelINS0_14default_configENS1_32segmented_reduce_config_selectorIN3c108BFloat16EEEZNS1_21segmented_reduce_implIS3_PKS6_PS6_PKlS6_N6hipcub16HIPCUB_304000_NS6detail27convert_result_type_wrapperISA_SB_N2at6native12_GLOBAL__N_110CustomProdEEEEE10hipError_tPvRmT0_T1_jT2_SS_T4_T3_P12ihipStream_tbEUlT_E_NS1_11comp_targetILNS1_3genE2ELNS1_11target_archE906ELNS1_3gpuE6ELNS1_3repE0EEENS1_30default_config_static_selectorELNS0_4arch9wavefront6targetE0EEEvSR_,comdat
	.globl	_ZN7rocprim17ROCPRIM_400000_NS6detail17trampoline_kernelINS0_14default_configENS1_32segmented_reduce_config_selectorIN3c108BFloat16EEEZNS1_21segmented_reduce_implIS3_PKS6_PS6_PKlS6_N6hipcub16HIPCUB_304000_NS6detail27convert_result_type_wrapperISA_SB_N2at6native12_GLOBAL__N_110CustomProdEEEEE10hipError_tPvRmT0_T1_jT2_SS_T4_T3_P12ihipStream_tbEUlT_E_NS1_11comp_targetILNS1_3genE2ELNS1_11target_archE906ELNS1_3gpuE6ELNS1_3repE0EEENS1_30default_config_static_selectorELNS0_4arch9wavefront6targetE0EEEvSR_ ; -- Begin function _ZN7rocprim17ROCPRIM_400000_NS6detail17trampoline_kernelINS0_14default_configENS1_32segmented_reduce_config_selectorIN3c108BFloat16EEEZNS1_21segmented_reduce_implIS3_PKS6_PS6_PKlS6_N6hipcub16HIPCUB_304000_NS6detail27convert_result_type_wrapperISA_SB_N2at6native12_GLOBAL__N_110CustomProdEEEEE10hipError_tPvRmT0_T1_jT2_SS_T4_T3_P12ihipStream_tbEUlT_E_NS1_11comp_targetILNS1_3genE2ELNS1_11target_archE906ELNS1_3gpuE6ELNS1_3repE0EEENS1_30default_config_static_selectorELNS0_4arch9wavefront6targetE0EEEvSR_
	.p2align	8
	.type	_ZN7rocprim17ROCPRIM_400000_NS6detail17trampoline_kernelINS0_14default_configENS1_32segmented_reduce_config_selectorIN3c108BFloat16EEEZNS1_21segmented_reduce_implIS3_PKS6_PS6_PKlS6_N6hipcub16HIPCUB_304000_NS6detail27convert_result_type_wrapperISA_SB_N2at6native12_GLOBAL__N_110CustomProdEEEEE10hipError_tPvRmT0_T1_jT2_SS_T4_T3_P12ihipStream_tbEUlT_E_NS1_11comp_targetILNS1_3genE2ELNS1_11target_archE906ELNS1_3gpuE6ELNS1_3repE0EEENS1_30default_config_static_selectorELNS0_4arch9wavefront6targetE0EEEvSR_,@function
_ZN7rocprim17ROCPRIM_400000_NS6detail17trampoline_kernelINS0_14default_configENS1_32segmented_reduce_config_selectorIN3c108BFloat16EEEZNS1_21segmented_reduce_implIS3_PKS6_PS6_PKlS6_N6hipcub16HIPCUB_304000_NS6detail27convert_result_type_wrapperISA_SB_N2at6native12_GLOBAL__N_110CustomProdEEEEE10hipError_tPvRmT0_T1_jT2_SS_T4_T3_P12ihipStream_tbEUlT_E_NS1_11comp_targetILNS1_3genE2ELNS1_11target_archE906ELNS1_3gpuE6ELNS1_3repE0EEENS1_30default_config_static_selectorELNS0_4arch9wavefront6targetE0EEEvSR_: ; @_ZN7rocprim17ROCPRIM_400000_NS6detail17trampoline_kernelINS0_14default_configENS1_32segmented_reduce_config_selectorIN3c108BFloat16EEEZNS1_21segmented_reduce_implIS3_PKS6_PS6_PKlS6_N6hipcub16HIPCUB_304000_NS6detail27convert_result_type_wrapperISA_SB_N2at6native12_GLOBAL__N_110CustomProdEEEEE10hipError_tPvRmT0_T1_jT2_SS_T4_T3_P12ihipStream_tbEUlT_E_NS1_11comp_targetILNS1_3genE2ELNS1_11target_archE906ELNS1_3gpuE6ELNS1_3repE0EEENS1_30default_config_static_selectorELNS0_4arch9wavefront6targetE0EEEvSR_
; %bb.0:
	.section	.rodata,"a",@progbits
	.p2align	6, 0x0
	.amdhsa_kernel _ZN7rocprim17ROCPRIM_400000_NS6detail17trampoline_kernelINS0_14default_configENS1_32segmented_reduce_config_selectorIN3c108BFloat16EEEZNS1_21segmented_reduce_implIS3_PKS6_PS6_PKlS6_N6hipcub16HIPCUB_304000_NS6detail27convert_result_type_wrapperISA_SB_N2at6native12_GLOBAL__N_110CustomProdEEEEE10hipError_tPvRmT0_T1_jT2_SS_T4_T3_P12ihipStream_tbEUlT_E_NS1_11comp_targetILNS1_3genE2ELNS1_11target_archE906ELNS1_3gpuE6ELNS1_3repE0EEENS1_30default_config_static_selectorELNS0_4arch9wavefront6targetE0EEEvSR_
		.amdhsa_group_segment_fixed_size 0
		.amdhsa_private_segment_fixed_size 0
		.amdhsa_kernarg_size 48
		.amdhsa_user_sgpr_count 6
		.amdhsa_user_sgpr_private_segment_buffer 1
		.amdhsa_user_sgpr_dispatch_ptr 0
		.amdhsa_user_sgpr_queue_ptr 0
		.amdhsa_user_sgpr_kernarg_segment_ptr 1
		.amdhsa_user_sgpr_dispatch_id 0
		.amdhsa_user_sgpr_flat_scratch_init 0
		.amdhsa_user_sgpr_private_segment_size 0
		.amdhsa_wavefront_size32 1
		.amdhsa_uses_dynamic_stack 0
		.amdhsa_system_sgpr_private_segment_wavefront_offset 0
		.amdhsa_system_sgpr_workgroup_id_x 1
		.amdhsa_system_sgpr_workgroup_id_y 0
		.amdhsa_system_sgpr_workgroup_id_z 0
		.amdhsa_system_sgpr_workgroup_info 0
		.amdhsa_system_vgpr_workitem_id 0
		.amdhsa_next_free_vgpr 1
		.amdhsa_next_free_sgpr 1
		.amdhsa_reserve_vcc 0
		.amdhsa_reserve_flat_scratch 0
		.amdhsa_float_round_mode_32 0
		.amdhsa_float_round_mode_16_64 0
		.amdhsa_float_denorm_mode_32 3
		.amdhsa_float_denorm_mode_16_64 3
		.amdhsa_dx10_clamp 1
		.amdhsa_ieee_mode 1
		.amdhsa_fp16_overflow 0
		.amdhsa_workgroup_processor_mode 1
		.amdhsa_memory_ordered 1
		.amdhsa_forward_progress 1
		.amdhsa_shared_vgpr_count 0
		.amdhsa_exception_fp_ieee_invalid_op 0
		.amdhsa_exception_fp_denorm_src 0
		.amdhsa_exception_fp_ieee_div_zero 0
		.amdhsa_exception_fp_ieee_overflow 0
		.amdhsa_exception_fp_ieee_underflow 0
		.amdhsa_exception_fp_ieee_inexact 0
		.amdhsa_exception_int_div_zero 0
	.end_amdhsa_kernel
	.section	.text._ZN7rocprim17ROCPRIM_400000_NS6detail17trampoline_kernelINS0_14default_configENS1_32segmented_reduce_config_selectorIN3c108BFloat16EEEZNS1_21segmented_reduce_implIS3_PKS6_PS6_PKlS6_N6hipcub16HIPCUB_304000_NS6detail27convert_result_type_wrapperISA_SB_N2at6native12_GLOBAL__N_110CustomProdEEEEE10hipError_tPvRmT0_T1_jT2_SS_T4_T3_P12ihipStream_tbEUlT_E_NS1_11comp_targetILNS1_3genE2ELNS1_11target_archE906ELNS1_3gpuE6ELNS1_3repE0EEENS1_30default_config_static_selectorELNS0_4arch9wavefront6targetE0EEEvSR_,"axG",@progbits,_ZN7rocprim17ROCPRIM_400000_NS6detail17trampoline_kernelINS0_14default_configENS1_32segmented_reduce_config_selectorIN3c108BFloat16EEEZNS1_21segmented_reduce_implIS3_PKS6_PS6_PKlS6_N6hipcub16HIPCUB_304000_NS6detail27convert_result_type_wrapperISA_SB_N2at6native12_GLOBAL__N_110CustomProdEEEEE10hipError_tPvRmT0_T1_jT2_SS_T4_T3_P12ihipStream_tbEUlT_E_NS1_11comp_targetILNS1_3genE2ELNS1_11target_archE906ELNS1_3gpuE6ELNS1_3repE0EEENS1_30default_config_static_selectorELNS0_4arch9wavefront6targetE0EEEvSR_,comdat
.Lfunc_end277:
	.size	_ZN7rocprim17ROCPRIM_400000_NS6detail17trampoline_kernelINS0_14default_configENS1_32segmented_reduce_config_selectorIN3c108BFloat16EEEZNS1_21segmented_reduce_implIS3_PKS6_PS6_PKlS6_N6hipcub16HIPCUB_304000_NS6detail27convert_result_type_wrapperISA_SB_N2at6native12_GLOBAL__N_110CustomProdEEEEE10hipError_tPvRmT0_T1_jT2_SS_T4_T3_P12ihipStream_tbEUlT_E_NS1_11comp_targetILNS1_3genE2ELNS1_11target_archE906ELNS1_3gpuE6ELNS1_3repE0EEENS1_30default_config_static_selectorELNS0_4arch9wavefront6targetE0EEEvSR_, .Lfunc_end277-_ZN7rocprim17ROCPRIM_400000_NS6detail17trampoline_kernelINS0_14default_configENS1_32segmented_reduce_config_selectorIN3c108BFloat16EEEZNS1_21segmented_reduce_implIS3_PKS6_PS6_PKlS6_N6hipcub16HIPCUB_304000_NS6detail27convert_result_type_wrapperISA_SB_N2at6native12_GLOBAL__N_110CustomProdEEEEE10hipError_tPvRmT0_T1_jT2_SS_T4_T3_P12ihipStream_tbEUlT_E_NS1_11comp_targetILNS1_3genE2ELNS1_11target_archE906ELNS1_3gpuE6ELNS1_3repE0EEENS1_30default_config_static_selectorELNS0_4arch9wavefront6targetE0EEEvSR_
                                        ; -- End function
	.set _ZN7rocprim17ROCPRIM_400000_NS6detail17trampoline_kernelINS0_14default_configENS1_32segmented_reduce_config_selectorIN3c108BFloat16EEEZNS1_21segmented_reduce_implIS3_PKS6_PS6_PKlS6_N6hipcub16HIPCUB_304000_NS6detail27convert_result_type_wrapperISA_SB_N2at6native12_GLOBAL__N_110CustomProdEEEEE10hipError_tPvRmT0_T1_jT2_SS_T4_T3_P12ihipStream_tbEUlT_E_NS1_11comp_targetILNS1_3genE2ELNS1_11target_archE906ELNS1_3gpuE6ELNS1_3repE0EEENS1_30default_config_static_selectorELNS0_4arch9wavefront6targetE0EEEvSR_.num_vgpr, 0
	.set _ZN7rocprim17ROCPRIM_400000_NS6detail17trampoline_kernelINS0_14default_configENS1_32segmented_reduce_config_selectorIN3c108BFloat16EEEZNS1_21segmented_reduce_implIS3_PKS6_PS6_PKlS6_N6hipcub16HIPCUB_304000_NS6detail27convert_result_type_wrapperISA_SB_N2at6native12_GLOBAL__N_110CustomProdEEEEE10hipError_tPvRmT0_T1_jT2_SS_T4_T3_P12ihipStream_tbEUlT_E_NS1_11comp_targetILNS1_3genE2ELNS1_11target_archE906ELNS1_3gpuE6ELNS1_3repE0EEENS1_30default_config_static_selectorELNS0_4arch9wavefront6targetE0EEEvSR_.num_agpr, 0
	.set _ZN7rocprim17ROCPRIM_400000_NS6detail17trampoline_kernelINS0_14default_configENS1_32segmented_reduce_config_selectorIN3c108BFloat16EEEZNS1_21segmented_reduce_implIS3_PKS6_PS6_PKlS6_N6hipcub16HIPCUB_304000_NS6detail27convert_result_type_wrapperISA_SB_N2at6native12_GLOBAL__N_110CustomProdEEEEE10hipError_tPvRmT0_T1_jT2_SS_T4_T3_P12ihipStream_tbEUlT_E_NS1_11comp_targetILNS1_3genE2ELNS1_11target_archE906ELNS1_3gpuE6ELNS1_3repE0EEENS1_30default_config_static_selectorELNS0_4arch9wavefront6targetE0EEEvSR_.numbered_sgpr, 0
	.set _ZN7rocprim17ROCPRIM_400000_NS6detail17trampoline_kernelINS0_14default_configENS1_32segmented_reduce_config_selectorIN3c108BFloat16EEEZNS1_21segmented_reduce_implIS3_PKS6_PS6_PKlS6_N6hipcub16HIPCUB_304000_NS6detail27convert_result_type_wrapperISA_SB_N2at6native12_GLOBAL__N_110CustomProdEEEEE10hipError_tPvRmT0_T1_jT2_SS_T4_T3_P12ihipStream_tbEUlT_E_NS1_11comp_targetILNS1_3genE2ELNS1_11target_archE906ELNS1_3gpuE6ELNS1_3repE0EEENS1_30default_config_static_selectorELNS0_4arch9wavefront6targetE0EEEvSR_.num_named_barrier, 0
	.set _ZN7rocprim17ROCPRIM_400000_NS6detail17trampoline_kernelINS0_14default_configENS1_32segmented_reduce_config_selectorIN3c108BFloat16EEEZNS1_21segmented_reduce_implIS3_PKS6_PS6_PKlS6_N6hipcub16HIPCUB_304000_NS6detail27convert_result_type_wrapperISA_SB_N2at6native12_GLOBAL__N_110CustomProdEEEEE10hipError_tPvRmT0_T1_jT2_SS_T4_T3_P12ihipStream_tbEUlT_E_NS1_11comp_targetILNS1_3genE2ELNS1_11target_archE906ELNS1_3gpuE6ELNS1_3repE0EEENS1_30default_config_static_selectorELNS0_4arch9wavefront6targetE0EEEvSR_.private_seg_size, 0
	.set _ZN7rocprim17ROCPRIM_400000_NS6detail17trampoline_kernelINS0_14default_configENS1_32segmented_reduce_config_selectorIN3c108BFloat16EEEZNS1_21segmented_reduce_implIS3_PKS6_PS6_PKlS6_N6hipcub16HIPCUB_304000_NS6detail27convert_result_type_wrapperISA_SB_N2at6native12_GLOBAL__N_110CustomProdEEEEE10hipError_tPvRmT0_T1_jT2_SS_T4_T3_P12ihipStream_tbEUlT_E_NS1_11comp_targetILNS1_3genE2ELNS1_11target_archE906ELNS1_3gpuE6ELNS1_3repE0EEENS1_30default_config_static_selectorELNS0_4arch9wavefront6targetE0EEEvSR_.uses_vcc, 0
	.set _ZN7rocprim17ROCPRIM_400000_NS6detail17trampoline_kernelINS0_14default_configENS1_32segmented_reduce_config_selectorIN3c108BFloat16EEEZNS1_21segmented_reduce_implIS3_PKS6_PS6_PKlS6_N6hipcub16HIPCUB_304000_NS6detail27convert_result_type_wrapperISA_SB_N2at6native12_GLOBAL__N_110CustomProdEEEEE10hipError_tPvRmT0_T1_jT2_SS_T4_T3_P12ihipStream_tbEUlT_E_NS1_11comp_targetILNS1_3genE2ELNS1_11target_archE906ELNS1_3gpuE6ELNS1_3repE0EEENS1_30default_config_static_selectorELNS0_4arch9wavefront6targetE0EEEvSR_.uses_flat_scratch, 0
	.set _ZN7rocprim17ROCPRIM_400000_NS6detail17trampoline_kernelINS0_14default_configENS1_32segmented_reduce_config_selectorIN3c108BFloat16EEEZNS1_21segmented_reduce_implIS3_PKS6_PS6_PKlS6_N6hipcub16HIPCUB_304000_NS6detail27convert_result_type_wrapperISA_SB_N2at6native12_GLOBAL__N_110CustomProdEEEEE10hipError_tPvRmT0_T1_jT2_SS_T4_T3_P12ihipStream_tbEUlT_E_NS1_11comp_targetILNS1_3genE2ELNS1_11target_archE906ELNS1_3gpuE6ELNS1_3repE0EEENS1_30default_config_static_selectorELNS0_4arch9wavefront6targetE0EEEvSR_.has_dyn_sized_stack, 0
	.set _ZN7rocprim17ROCPRIM_400000_NS6detail17trampoline_kernelINS0_14default_configENS1_32segmented_reduce_config_selectorIN3c108BFloat16EEEZNS1_21segmented_reduce_implIS3_PKS6_PS6_PKlS6_N6hipcub16HIPCUB_304000_NS6detail27convert_result_type_wrapperISA_SB_N2at6native12_GLOBAL__N_110CustomProdEEEEE10hipError_tPvRmT0_T1_jT2_SS_T4_T3_P12ihipStream_tbEUlT_E_NS1_11comp_targetILNS1_3genE2ELNS1_11target_archE906ELNS1_3gpuE6ELNS1_3repE0EEENS1_30default_config_static_selectorELNS0_4arch9wavefront6targetE0EEEvSR_.has_recursion, 0
	.set _ZN7rocprim17ROCPRIM_400000_NS6detail17trampoline_kernelINS0_14default_configENS1_32segmented_reduce_config_selectorIN3c108BFloat16EEEZNS1_21segmented_reduce_implIS3_PKS6_PS6_PKlS6_N6hipcub16HIPCUB_304000_NS6detail27convert_result_type_wrapperISA_SB_N2at6native12_GLOBAL__N_110CustomProdEEEEE10hipError_tPvRmT0_T1_jT2_SS_T4_T3_P12ihipStream_tbEUlT_E_NS1_11comp_targetILNS1_3genE2ELNS1_11target_archE906ELNS1_3gpuE6ELNS1_3repE0EEENS1_30default_config_static_selectorELNS0_4arch9wavefront6targetE0EEEvSR_.has_indirect_call, 0
	.section	.AMDGPU.csdata,"",@progbits
; Kernel info:
; codeLenInByte = 0
; TotalNumSgprs: 0
; NumVgprs: 0
; ScratchSize: 0
; MemoryBound: 0
; FloatMode: 240
; IeeeMode: 1
; LDSByteSize: 0 bytes/workgroup (compile time only)
; SGPRBlocks: 0
; VGPRBlocks: 0
; NumSGPRsForWavesPerEU: 1
; NumVGPRsForWavesPerEU: 1
; Occupancy: 16
; WaveLimiterHint : 0
; COMPUTE_PGM_RSRC2:SCRATCH_EN: 0
; COMPUTE_PGM_RSRC2:USER_SGPR: 6
; COMPUTE_PGM_RSRC2:TRAP_HANDLER: 0
; COMPUTE_PGM_RSRC2:TGID_X_EN: 1
; COMPUTE_PGM_RSRC2:TGID_Y_EN: 0
; COMPUTE_PGM_RSRC2:TGID_Z_EN: 0
; COMPUTE_PGM_RSRC2:TIDIG_COMP_CNT: 0
	.section	.text._ZN7rocprim17ROCPRIM_400000_NS6detail17trampoline_kernelINS0_14default_configENS1_32segmented_reduce_config_selectorIN3c108BFloat16EEEZNS1_21segmented_reduce_implIS3_PKS6_PS6_PKlS6_N6hipcub16HIPCUB_304000_NS6detail27convert_result_type_wrapperISA_SB_N2at6native12_GLOBAL__N_110CustomProdEEEEE10hipError_tPvRmT0_T1_jT2_SS_T4_T3_P12ihipStream_tbEUlT_E_NS1_11comp_targetILNS1_3genE9ELNS1_11target_archE1100ELNS1_3gpuE3ELNS1_3repE0EEENS1_30default_config_static_selectorELNS0_4arch9wavefront6targetE0EEEvSR_,"axG",@progbits,_ZN7rocprim17ROCPRIM_400000_NS6detail17trampoline_kernelINS0_14default_configENS1_32segmented_reduce_config_selectorIN3c108BFloat16EEEZNS1_21segmented_reduce_implIS3_PKS6_PS6_PKlS6_N6hipcub16HIPCUB_304000_NS6detail27convert_result_type_wrapperISA_SB_N2at6native12_GLOBAL__N_110CustomProdEEEEE10hipError_tPvRmT0_T1_jT2_SS_T4_T3_P12ihipStream_tbEUlT_E_NS1_11comp_targetILNS1_3genE9ELNS1_11target_archE1100ELNS1_3gpuE3ELNS1_3repE0EEENS1_30default_config_static_selectorELNS0_4arch9wavefront6targetE0EEEvSR_,comdat
	.globl	_ZN7rocprim17ROCPRIM_400000_NS6detail17trampoline_kernelINS0_14default_configENS1_32segmented_reduce_config_selectorIN3c108BFloat16EEEZNS1_21segmented_reduce_implIS3_PKS6_PS6_PKlS6_N6hipcub16HIPCUB_304000_NS6detail27convert_result_type_wrapperISA_SB_N2at6native12_GLOBAL__N_110CustomProdEEEEE10hipError_tPvRmT0_T1_jT2_SS_T4_T3_P12ihipStream_tbEUlT_E_NS1_11comp_targetILNS1_3genE9ELNS1_11target_archE1100ELNS1_3gpuE3ELNS1_3repE0EEENS1_30default_config_static_selectorELNS0_4arch9wavefront6targetE0EEEvSR_ ; -- Begin function _ZN7rocprim17ROCPRIM_400000_NS6detail17trampoline_kernelINS0_14default_configENS1_32segmented_reduce_config_selectorIN3c108BFloat16EEEZNS1_21segmented_reduce_implIS3_PKS6_PS6_PKlS6_N6hipcub16HIPCUB_304000_NS6detail27convert_result_type_wrapperISA_SB_N2at6native12_GLOBAL__N_110CustomProdEEEEE10hipError_tPvRmT0_T1_jT2_SS_T4_T3_P12ihipStream_tbEUlT_E_NS1_11comp_targetILNS1_3genE9ELNS1_11target_archE1100ELNS1_3gpuE3ELNS1_3repE0EEENS1_30default_config_static_selectorELNS0_4arch9wavefront6targetE0EEEvSR_
	.p2align	8
	.type	_ZN7rocprim17ROCPRIM_400000_NS6detail17trampoline_kernelINS0_14default_configENS1_32segmented_reduce_config_selectorIN3c108BFloat16EEEZNS1_21segmented_reduce_implIS3_PKS6_PS6_PKlS6_N6hipcub16HIPCUB_304000_NS6detail27convert_result_type_wrapperISA_SB_N2at6native12_GLOBAL__N_110CustomProdEEEEE10hipError_tPvRmT0_T1_jT2_SS_T4_T3_P12ihipStream_tbEUlT_E_NS1_11comp_targetILNS1_3genE9ELNS1_11target_archE1100ELNS1_3gpuE3ELNS1_3repE0EEENS1_30default_config_static_selectorELNS0_4arch9wavefront6targetE0EEEvSR_,@function
_ZN7rocprim17ROCPRIM_400000_NS6detail17trampoline_kernelINS0_14default_configENS1_32segmented_reduce_config_selectorIN3c108BFloat16EEEZNS1_21segmented_reduce_implIS3_PKS6_PS6_PKlS6_N6hipcub16HIPCUB_304000_NS6detail27convert_result_type_wrapperISA_SB_N2at6native12_GLOBAL__N_110CustomProdEEEEE10hipError_tPvRmT0_T1_jT2_SS_T4_T3_P12ihipStream_tbEUlT_E_NS1_11comp_targetILNS1_3genE9ELNS1_11target_archE1100ELNS1_3gpuE3ELNS1_3repE0EEENS1_30default_config_static_selectorELNS0_4arch9wavefront6targetE0EEEvSR_: ; @_ZN7rocprim17ROCPRIM_400000_NS6detail17trampoline_kernelINS0_14default_configENS1_32segmented_reduce_config_selectorIN3c108BFloat16EEEZNS1_21segmented_reduce_implIS3_PKS6_PS6_PKlS6_N6hipcub16HIPCUB_304000_NS6detail27convert_result_type_wrapperISA_SB_N2at6native12_GLOBAL__N_110CustomProdEEEEE10hipError_tPvRmT0_T1_jT2_SS_T4_T3_P12ihipStream_tbEUlT_E_NS1_11comp_targetILNS1_3genE9ELNS1_11target_archE1100ELNS1_3gpuE3ELNS1_3repE0EEENS1_30default_config_static_selectorELNS0_4arch9wavefront6targetE0EEEvSR_
; %bb.0:
	.section	.rodata,"a",@progbits
	.p2align	6, 0x0
	.amdhsa_kernel _ZN7rocprim17ROCPRIM_400000_NS6detail17trampoline_kernelINS0_14default_configENS1_32segmented_reduce_config_selectorIN3c108BFloat16EEEZNS1_21segmented_reduce_implIS3_PKS6_PS6_PKlS6_N6hipcub16HIPCUB_304000_NS6detail27convert_result_type_wrapperISA_SB_N2at6native12_GLOBAL__N_110CustomProdEEEEE10hipError_tPvRmT0_T1_jT2_SS_T4_T3_P12ihipStream_tbEUlT_E_NS1_11comp_targetILNS1_3genE9ELNS1_11target_archE1100ELNS1_3gpuE3ELNS1_3repE0EEENS1_30default_config_static_selectorELNS0_4arch9wavefront6targetE0EEEvSR_
		.amdhsa_group_segment_fixed_size 0
		.amdhsa_private_segment_fixed_size 0
		.amdhsa_kernarg_size 48
		.amdhsa_user_sgpr_count 6
		.amdhsa_user_sgpr_private_segment_buffer 1
		.amdhsa_user_sgpr_dispatch_ptr 0
		.amdhsa_user_sgpr_queue_ptr 0
		.amdhsa_user_sgpr_kernarg_segment_ptr 1
		.amdhsa_user_sgpr_dispatch_id 0
		.amdhsa_user_sgpr_flat_scratch_init 0
		.amdhsa_user_sgpr_private_segment_size 0
		.amdhsa_wavefront_size32 1
		.amdhsa_uses_dynamic_stack 0
		.amdhsa_system_sgpr_private_segment_wavefront_offset 0
		.amdhsa_system_sgpr_workgroup_id_x 1
		.amdhsa_system_sgpr_workgroup_id_y 0
		.amdhsa_system_sgpr_workgroup_id_z 0
		.amdhsa_system_sgpr_workgroup_info 0
		.amdhsa_system_vgpr_workitem_id 0
		.amdhsa_next_free_vgpr 1
		.amdhsa_next_free_sgpr 1
		.amdhsa_reserve_vcc 0
		.amdhsa_reserve_flat_scratch 0
		.amdhsa_float_round_mode_32 0
		.amdhsa_float_round_mode_16_64 0
		.amdhsa_float_denorm_mode_32 3
		.amdhsa_float_denorm_mode_16_64 3
		.amdhsa_dx10_clamp 1
		.amdhsa_ieee_mode 1
		.amdhsa_fp16_overflow 0
		.amdhsa_workgroup_processor_mode 1
		.amdhsa_memory_ordered 1
		.amdhsa_forward_progress 1
		.amdhsa_shared_vgpr_count 0
		.amdhsa_exception_fp_ieee_invalid_op 0
		.amdhsa_exception_fp_denorm_src 0
		.amdhsa_exception_fp_ieee_div_zero 0
		.amdhsa_exception_fp_ieee_overflow 0
		.amdhsa_exception_fp_ieee_underflow 0
		.amdhsa_exception_fp_ieee_inexact 0
		.amdhsa_exception_int_div_zero 0
	.end_amdhsa_kernel
	.section	.text._ZN7rocprim17ROCPRIM_400000_NS6detail17trampoline_kernelINS0_14default_configENS1_32segmented_reduce_config_selectorIN3c108BFloat16EEEZNS1_21segmented_reduce_implIS3_PKS6_PS6_PKlS6_N6hipcub16HIPCUB_304000_NS6detail27convert_result_type_wrapperISA_SB_N2at6native12_GLOBAL__N_110CustomProdEEEEE10hipError_tPvRmT0_T1_jT2_SS_T4_T3_P12ihipStream_tbEUlT_E_NS1_11comp_targetILNS1_3genE9ELNS1_11target_archE1100ELNS1_3gpuE3ELNS1_3repE0EEENS1_30default_config_static_selectorELNS0_4arch9wavefront6targetE0EEEvSR_,"axG",@progbits,_ZN7rocprim17ROCPRIM_400000_NS6detail17trampoline_kernelINS0_14default_configENS1_32segmented_reduce_config_selectorIN3c108BFloat16EEEZNS1_21segmented_reduce_implIS3_PKS6_PS6_PKlS6_N6hipcub16HIPCUB_304000_NS6detail27convert_result_type_wrapperISA_SB_N2at6native12_GLOBAL__N_110CustomProdEEEEE10hipError_tPvRmT0_T1_jT2_SS_T4_T3_P12ihipStream_tbEUlT_E_NS1_11comp_targetILNS1_3genE9ELNS1_11target_archE1100ELNS1_3gpuE3ELNS1_3repE0EEENS1_30default_config_static_selectorELNS0_4arch9wavefront6targetE0EEEvSR_,comdat
.Lfunc_end278:
	.size	_ZN7rocprim17ROCPRIM_400000_NS6detail17trampoline_kernelINS0_14default_configENS1_32segmented_reduce_config_selectorIN3c108BFloat16EEEZNS1_21segmented_reduce_implIS3_PKS6_PS6_PKlS6_N6hipcub16HIPCUB_304000_NS6detail27convert_result_type_wrapperISA_SB_N2at6native12_GLOBAL__N_110CustomProdEEEEE10hipError_tPvRmT0_T1_jT2_SS_T4_T3_P12ihipStream_tbEUlT_E_NS1_11comp_targetILNS1_3genE9ELNS1_11target_archE1100ELNS1_3gpuE3ELNS1_3repE0EEENS1_30default_config_static_selectorELNS0_4arch9wavefront6targetE0EEEvSR_, .Lfunc_end278-_ZN7rocprim17ROCPRIM_400000_NS6detail17trampoline_kernelINS0_14default_configENS1_32segmented_reduce_config_selectorIN3c108BFloat16EEEZNS1_21segmented_reduce_implIS3_PKS6_PS6_PKlS6_N6hipcub16HIPCUB_304000_NS6detail27convert_result_type_wrapperISA_SB_N2at6native12_GLOBAL__N_110CustomProdEEEEE10hipError_tPvRmT0_T1_jT2_SS_T4_T3_P12ihipStream_tbEUlT_E_NS1_11comp_targetILNS1_3genE9ELNS1_11target_archE1100ELNS1_3gpuE3ELNS1_3repE0EEENS1_30default_config_static_selectorELNS0_4arch9wavefront6targetE0EEEvSR_
                                        ; -- End function
	.set _ZN7rocprim17ROCPRIM_400000_NS6detail17trampoline_kernelINS0_14default_configENS1_32segmented_reduce_config_selectorIN3c108BFloat16EEEZNS1_21segmented_reduce_implIS3_PKS6_PS6_PKlS6_N6hipcub16HIPCUB_304000_NS6detail27convert_result_type_wrapperISA_SB_N2at6native12_GLOBAL__N_110CustomProdEEEEE10hipError_tPvRmT0_T1_jT2_SS_T4_T3_P12ihipStream_tbEUlT_E_NS1_11comp_targetILNS1_3genE9ELNS1_11target_archE1100ELNS1_3gpuE3ELNS1_3repE0EEENS1_30default_config_static_selectorELNS0_4arch9wavefront6targetE0EEEvSR_.num_vgpr, 0
	.set _ZN7rocprim17ROCPRIM_400000_NS6detail17trampoline_kernelINS0_14default_configENS1_32segmented_reduce_config_selectorIN3c108BFloat16EEEZNS1_21segmented_reduce_implIS3_PKS6_PS6_PKlS6_N6hipcub16HIPCUB_304000_NS6detail27convert_result_type_wrapperISA_SB_N2at6native12_GLOBAL__N_110CustomProdEEEEE10hipError_tPvRmT0_T1_jT2_SS_T4_T3_P12ihipStream_tbEUlT_E_NS1_11comp_targetILNS1_3genE9ELNS1_11target_archE1100ELNS1_3gpuE3ELNS1_3repE0EEENS1_30default_config_static_selectorELNS0_4arch9wavefront6targetE0EEEvSR_.num_agpr, 0
	.set _ZN7rocprim17ROCPRIM_400000_NS6detail17trampoline_kernelINS0_14default_configENS1_32segmented_reduce_config_selectorIN3c108BFloat16EEEZNS1_21segmented_reduce_implIS3_PKS6_PS6_PKlS6_N6hipcub16HIPCUB_304000_NS6detail27convert_result_type_wrapperISA_SB_N2at6native12_GLOBAL__N_110CustomProdEEEEE10hipError_tPvRmT0_T1_jT2_SS_T4_T3_P12ihipStream_tbEUlT_E_NS1_11comp_targetILNS1_3genE9ELNS1_11target_archE1100ELNS1_3gpuE3ELNS1_3repE0EEENS1_30default_config_static_selectorELNS0_4arch9wavefront6targetE0EEEvSR_.numbered_sgpr, 0
	.set _ZN7rocprim17ROCPRIM_400000_NS6detail17trampoline_kernelINS0_14default_configENS1_32segmented_reduce_config_selectorIN3c108BFloat16EEEZNS1_21segmented_reduce_implIS3_PKS6_PS6_PKlS6_N6hipcub16HIPCUB_304000_NS6detail27convert_result_type_wrapperISA_SB_N2at6native12_GLOBAL__N_110CustomProdEEEEE10hipError_tPvRmT0_T1_jT2_SS_T4_T3_P12ihipStream_tbEUlT_E_NS1_11comp_targetILNS1_3genE9ELNS1_11target_archE1100ELNS1_3gpuE3ELNS1_3repE0EEENS1_30default_config_static_selectorELNS0_4arch9wavefront6targetE0EEEvSR_.num_named_barrier, 0
	.set _ZN7rocprim17ROCPRIM_400000_NS6detail17trampoline_kernelINS0_14default_configENS1_32segmented_reduce_config_selectorIN3c108BFloat16EEEZNS1_21segmented_reduce_implIS3_PKS6_PS6_PKlS6_N6hipcub16HIPCUB_304000_NS6detail27convert_result_type_wrapperISA_SB_N2at6native12_GLOBAL__N_110CustomProdEEEEE10hipError_tPvRmT0_T1_jT2_SS_T4_T3_P12ihipStream_tbEUlT_E_NS1_11comp_targetILNS1_3genE9ELNS1_11target_archE1100ELNS1_3gpuE3ELNS1_3repE0EEENS1_30default_config_static_selectorELNS0_4arch9wavefront6targetE0EEEvSR_.private_seg_size, 0
	.set _ZN7rocprim17ROCPRIM_400000_NS6detail17trampoline_kernelINS0_14default_configENS1_32segmented_reduce_config_selectorIN3c108BFloat16EEEZNS1_21segmented_reduce_implIS3_PKS6_PS6_PKlS6_N6hipcub16HIPCUB_304000_NS6detail27convert_result_type_wrapperISA_SB_N2at6native12_GLOBAL__N_110CustomProdEEEEE10hipError_tPvRmT0_T1_jT2_SS_T4_T3_P12ihipStream_tbEUlT_E_NS1_11comp_targetILNS1_3genE9ELNS1_11target_archE1100ELNS1_3gpuE3ELNS1_3repE0EEENS1_30default_config_static_selectorELNS0_4arch9wavefront6targetE0EEEvSR_.uses_vcc, 0
	.set _ZN7rocprim17ROCPRIM_400000_NS6detail17trampoline_kernelINS0_14default_configENS1_32segmented_reduce_config_selectorIN3c108BFloat16EEEZNS1_21segmented_reduce_implIS3_PKS6_PS6_PKlS6_N6hipcub16HIPCUB_304000_NS6detail27convert_result_type_wrapperISA_SB_N2at6native12_GLOBAL__N_110CustomProdEEEEE10hipError_tPvRmT0_T1_jT2_SS_T4_T3_P12ihipStream_tbEUlT_E_NS1_11comp_targetILNS1_3genE9ELNS1_11target_archE1100ELNS1_3gpuE3ELNS1_3repE0EEENS1_30default_config_static_selectorELNS0_4arch9wavefront6targetE0EEEvSR_.uses_flat_scratch, 0
	.set _ZN7rocprim17ROCPRIM_400000_NS6detail17trampoline_kernelINS0_14default_configENS1_32segmented_reduce_config_selectorIN3c108BFloat16EEEZNS1_21segmented_reduce_implIS3_PKS6_PS6_PKlS6_N6hipcub16HIPCUB_304000_NS6detail27convert_result_type_wrapperISA_SB_N2at6native12_GLOBAL__N_110CustomProdEEEEE10hipError_tPvRmT0_T1_jT2_SS_T4_T3_P12ihipStream_tbEUlT_E_NS1_11comp_targetILNS1_3genE9ELNS1_11target_archE1100ELNS1_3gpuE3ELNS1_3repE0EEENS1_30default_config_static_selectorELNS0_4arch9wavefront6targetE0EEEvSR_.has_dyn_sized_stack, 0
	.set _ZN7rocprim17ROCPRIM_400000_NS6detail17trampoline_kernelINS0_14default_configENS1_32segmented_reduce_config_selectorIN3c108BFloat16EEEZNS1_21segmented_reduce_implIS3_PKS6_PS6_PKlS6_N6hipcub16HIPCUB_304000_NS6detail27convert_result_type_wrapperISA_SB_N2at6native12_GLOBAL__N_110CustomProdEEEEE10hipError_tPvRmT0_T1_jT2_SS_T4_T3_P12ihipStream_tbEUlT_E_NS1_11comp_targetILNS1_3genE9ELNS1_11target_archE1100ELNS1_3gpuE3ELNS1_3repE0EEENS1_30default_config_static_selectorELNS0_4arch9wavefront6targetE0EEEvSR_.has_recursion, 0
	.set _ZN7rocprim17ROCPRIM_400000_NS6detail17trampoline_kernelINS0_14default_configENS1_32segmented_reduce_config_selectorIN3c108BFloat16EEEZNS1_21segmented_reduce_implIS3_PKS6_PS6_PKlS6_N6hipcub16HIPCUB_304000_NS6detail27convert_result_type_wrapperISA_SB_N2at6native12_GLOBAL__N_110CustomProdEEEEE10hipError_tPvRmT0_T1_jT2_SS_T4_T3_P12ihipStream_tbEUlT_E_NS1_11comp_targetILNS1_3genE9ELNS1_11target_archE1100ELNS1_3gpuE3ELNS1_3repE0EEENS1_30default_config_static_selectorELNS0_4arch9wavefront6targetE0EEEvSR_.has_indirect_call, 0
	.section	.AMDGPU.csdata,"",@progbits
; Kernel info:
; codeLenInByte = 0
; TotalNumSgprs: 0
; NumVgprs: 0
; ScratchSize: 0
; MemoryBound: 0
; FloatMode: 240
; IeeeMode: 1
; LDSByteSize: 0 bytes/workgroup (compile time only)
; SGPRBlocks: 0
; VGPRBlocks: 0
; NumSGPRsForWavesPerEU: 1
; NumVGPRsForWavesPerEU: 1
; Occupancy: 16
; WaveLimiterHint : 0
; COMPUTE_PGM_RSRC2:SCRATCH_EN: 0
; COMPUTE_PGM_RSRC2:USER_SGPR: 6
; COMPUTE_PGM_RSRC2:TRAP_HANDLER: 0
; COMPUTE_PGM_RSRC2:TGID_X_EN: 1
; COMPUTE_PGM_RSRC2:TGID_Y_EN: 0
; COMPUTE_PGM_RSRC2:TGID_Z_EN: 0
; COMPUTE_PGM_RSRC2:TIDIG_COMP_CNT: 0
	.section	.text._ZN7rocprim17ROCPRIM_400000_NS6detail17trampoline_kernelINS0_14default_configENS1_32segmented_reduce_config_selectorIN3c108BFloat16EEEZNS1_21segmented_reduce_implIS3_PKS6_PS6_PKlS6_N6hipcub16HIPCUB_304000_NS6detail27convert_result_type_wrapperISA_SB_N2at6native12_GLOBAL__N_110CustomProdEEEEE10hipError_tPvRmT0_T1_jT2_SS_T4_T3_P12ihipStream_tbEUlT_E_NS1_11comp_targetILNS1_3genE8ELNS1_11target_archE1030ELNS1_3gpuE2ELNS1_3repE0EEENS1_30default_config_static_selectorELNS0_4arch9wavefront6targetE0EEEvSR_,"axG",@progbits,_ZN7rocprim17ROCPRIM_400000_NS6detail17trampoline_kernelINS0_14default_configENS1_32segmented_reduce_config_selectorIN3c108BFloat16EEEZNS1_21segmented_reduce_implIS3_PKS6_PS6_PKlS6_N6hipcub16HIPCUB_304000_NS6detail27convert_result_type_wrapperISA_SB_N2at6native12_GLOBAL__N_110CustomProdEEEEE10hipError_tPvRmT0_T1_jT2_SS_T4_T3_P12ihipStream_tbEUlT_E_NS1_11comp_targetILNS1_3genE8ELNS1_11target_archE1030ELNS1_3gpuE2ELNS1_3repE0EEENS1_30default_config_static_selectorELNS0_4arch9wavefront6targetE0EEEvSR_,comdat
	.globl	_ZN7rocprim17ROCPRIM_400000_NS6detail17trampoline_kernelINS0_14default_configENS1_32segmented_reduce_config_selectorIN3c108BFloat16EEEZNS1_21segmented_reduce_implIS3_PKS6_PS6_PKlS6_N6hipcub16HIPCUB_304000_NS6detail27convert_result_type_wrapperISA_SB_N2at6native12_GLOBAL__N_110CustomProdEEEEE10hipError_tPvRmT0_T1_jT2_SS_T4_T3_P12ihipStream_tbEUlT_E_NS1_11comp_targetILNS1_3genE8ELNS1_11target_archE1030ELNS1_3gpuE2ELNS1_3repE0EEENS1_30default_config_static_selectorELNS0_4arch9wavefront6targetE0EEEvSR_ ; -- Begin function _ZN7rocprim17ROCPRIM_400000_NS6detail17trampoline_kernelINS0_14default_configENS1_32segmented_reduce_config_selectorIN3c108BFloat16EEEZNS1_21segmented_reduce_implIS3_PKS6_PS6_PKlS6_N6hipcub16HIPCUB_304000_NS6detail27convert_result_type_wrapperISA_SB_N2at6native12_GLOBAL__N_110CustomProdEEEEE10hipError_tPvRmT0_T1_jT2_SS_T4_T3_P12ihipStream_tbEUlT_E_NS1_11comp_targetILNS1_3genE8ELNS1_11target_archE1030ELNS1_3gpuE2ELNS1_3repE0EEENS1_30default_config_static_selectorELNS0_4arch9wavefront6targetE0EEEvSR_
	.p2align	8
	.type	_ZN7rocprim17ROCPRIM_400000_NS6detail17trampoline_kernelINS0_14default_configENS1_32segmented_reduce_config_selectorIN3c108BFloat16EEEZNS1_21segmented_reduce_implIS3_PKS6_PS6_PKlS6_N6hipcub16HIPCUB_304000_NS6detail27convert_result_type_wrapperISA_SB_N2at6native12_GLOBAL__N_110CustomProdEEEEE10hipError_tPvRmT0_T1_jT2_SS_T4_T3_P12ihipStream_tbEUlT_E_NS1_11comp_targetILNS1_3genE8ELNS1_11target_archE1030ELNS1_3gpuE2ELNS1_3repE0EEENS1_30default_config_static_selectorELNS0_4arch9wavefront6targetE0EEEvSR_,@function
_ZN7rocprim17ROCPRIM_400000_NS6detail17trampoline_kernelINS0_14default_configENS1_32segmented_reduce_config_selectorIN3c108BFloat16EEEZNS1_21segmented_reduce_implIS3_PKS6_PS6_PKlS6_N6hipcub16HIPCUB_304000_NS6detail27convert_result_type_wrapperISA_SB_N2at6native12_GLOBAL__N_110CustomProdEEEEE10hipError_tPvRmT0_T1_jT2_SS_T4_T3_P12ihipStream_tbEUlT_E_NS1_11comp_targetILNS1_3genE8ELNS1_11target_archE1030ELNS1_3gpuE2ELNS1_3repE0EEENS1_30default_config_static_selectorELNS0_4arch9wavefront6targetE0EEEvSR_: ; @_ZN7rocprim17ROCPRIM_400000_NS6detail17trampoline_kernelINS0_14default_configENS1_32segmented_reduce_config_selectorIN3c108BFloat16EEEZNS1_21segmented_reduce_implIS3_PKS6_PS6_PKlS6_N6hipcub16HIPCUB_304000_NS6detail27convert_result_type_wrapperISA_SB_N2at6native12_GLOBAL__N_110CustomProdEEEEE10hipError_tPvRmT0_T1_jT2_SS_T4_T3_P12ihipStream_tbEUlT_E_NS1_11comp_targetILNS1_3genE8ELNS1_11target_archE1030ELNS1_3gpuE2ELNS1_3repE0EEENS1_30default_config_static_selectorELNS0_4arch9wavefront6targetE0EEEvSR_
; %bb.0:
	s_clause 0x2
	s_load_dwordx8 s[12:19], s[4:5], 0x0
	s_load_dword s8, s[4:5], 0x28
	s_load_dwordx2 s[0:1], s[4:5], 0x20
	s_mov_b32 s7, 0
	s_waitcnt lgkmcnt(0)
	s_lshl_b64 s[2:3], s[16:17], 3
	s_lshr_b32 s22, s8, 16
	s_add_u32 s4, s18, s2
	s_addc_u32 s5, s19, s3
	s_add_u32 s8, s0, s2
	s_addc_u32 s9, s1, s3
	s_lshl_b64 s[0:1], s[6:7], 3
	s_add_u32 s2, s4, s0
	s_addc_u32 s3, s5, s1
	s_add_u32 s0, s8, s0
	s_addc_u32 s1, s9, s1
	s_load_dwordx2 s[18:19], s[2:3], 0x0
	s_load_dwordx2 s[10:11], s[0:1], 0x0
	s_mov_b32 s1, -1
	s_mov_b32 s9, s7
	s_waitcnt lgkmcnt(0)
	v_cmp_gt_i64_e64 s0, s[10:11], s[18:19]
	s_and_b32 vcc_lo, exec_lo, s0
	v_cmp_eq_u32_e64 s0, 0, v0
	s_cbranch_vccnz .LBB279_2
; %bb.1:
	s_mov_b32 s1, 0
	s_and_b32 s9, s0, exec_lo
.LBB279_2:
	s_andn2_b32 vcc_lo, exec_lo, s1
	s_cbranch_vccnz .LBB279_36
; %bb.3:
	s_add_u32 s2, s18, 0x800
	s_addc_u32 s3, s19, 0
	v_cmp_le_i64_e64 s0, s[2:3], s[10:11]
	s_and_b32 vcc_lo, exec_lo, s0
	s_cbranch_vccz .LBB279_37
; %bb.4:
	s_lshl_b64 s[0:1], s[18:19], 1
	v_lshlrev_b32_e32 v11, 1, v0
	s_add_u32 s4, s12, s0
	s_addc_u32 s5, s13, s1
	s_clause 0x3
	global_load_ushort v9, v11, s[4:5] offset:512
	global_load_ushort v10, v11, s[4:5]
	global_load_ushort v8, v11, s[4:5] offset:1024
	global_load_ushort v7, v11, s[4:5] offset:1536
	v_add_co_u32 v1, s4, s4, v11
	v_add_co_ci_u32_e64 v2, null, s5, 0, s4
	s_add_u32 s4, s18, 0x1000
	v_add_co_u32 v1, vcc_lo, 0x800, v1
	v_add_co_ci_u32_e64 v2, null, 0, v2, vcc_lo
	s_addc_u32 s5, s19, 0
	s_clause 0x3
	global_load_ushort v6, v[1:2], off
	global_load_ushort v5, v[1:2], off offset:512
	global_load_ushort v4, v[1:2], off offset:1024
	;; [unrolled: 1-line block ×3, first 2 shown]
	v_cmp_ge_i64_e64 s4, s[4:5], s[10:11]
	s_waitcnt vmcnt(7)
	v_lshlrev_b32_e32 v1, 16, v9
	s_waitcnt vmcnt(6)
	v_lshlrev_b32_e32 v2, 16, v10
	;; [unrolled: 2-line block ×3, first 2 shown]
	v_mul_f32_e32 v1, v2, v1
	v_bfe_u32 v2, v1, 16, 1
	v_cmp_o_f32_e32 vcc_lo, v1, v1
	v_add3_u32 v2, v1, v2, 0x7fff
	v_and_b32_e32 v2, 0xffff0000, v2
	v_cndmask_b32_e32 v1, 0x7fc00000, v2, vcc_lo
	v_mul_f32_e32 v1, v1, v12
	s_waitcnt vmcnt(4)
	v_lshlrev_b32_e32 v12, 16, v7
	v_bfe_u32 v2, v1, 16, 1
	v_cmp_o_f32_e32 vcc_lo, v1, v1
	v_add3_u32 v2, v1, v2, 0x7fff
	v_and_b32_e32 v2, 0xffff0000, v2
	v_cndmask_b32_e32 v1, 0x7fc00000, v2, vcc_lo
	v_mul_f32_e32 v1, v1, v12
	s_waitcnt vmcnt(3)
	v_lshlrev_b32_e32 v12, 16, v6
	;; [unrolled: 8-line block ×5, first 2 shown]
	v_bfe_u32 v2, v1, 16, 1
	v_cmp_o_f32_e32 vcc_lo, v1, v1
	v_add3_u32 v2, v1, v2, 0x7fff
	v_and_b32_e32 v2, 0xffff0000, v2
	v_cndmask_b32_e32 v1, 0x7fc00000, v2, vcc_lo
	v_mov_b32_e32 v2, 0x7fc0
	v_mul_f32_e32 v1, v1, v12
	v_bfe_u32 v12, v1, 16, 1
	v_cmp_o_f32_e32 vcc_lo, v1, v1
	v_add3_u32 v1, v1, v12, 0x7fff
	v_cndmask_b32_sdwa v12, v2, v1, vcc_lo dst_sel:DWORD dst_unused:UNUSED_PAD src0_sel:DWORD src1_sel:WORD_1
	s_and_b32 vcc_lo, exec_lo, s4
	s_cbranch_vccnz .LBB279_7
; %bb.5:
	s_add_u32 s0, s12, s0
	s_addc_u32 s1, s13, s1
	v_add_co_u32 v1, s0, s0, v11
	v_add_co_ci_u32_e64 v2, null, s1, 0, s0
	v_add_co_u32 v1, vcc_lo, 0x1000, v1
	v_add_co_ci_u32_e64 v2, null, 0, v2, vcc_lo
.LBB279_6:                              ; =>This Inner Loop Header: Depth=1
	s_clause 0x3
	global_load_ushort v10, v[1:2], off
	global_load_ushort v9, v[1:2], off offset:512
	global_load_ushort v8, v[1:2], off offset:1024
	;; [unrolled: 1-line block ×3, first 2 shown]
	v_add_co_u32 v13, vcc_lo, 0x800, v1
	v_add_co_ci_u32_e64 v14, null, 0, v2, vcc_lo
	v_lshlrev_b32_e32 v12, 16, v12
	s_mov_b64 s[0:1], s[2:3]
	s_clause 0x3
	global_load_ushort v6, v[13:14], off
	global_load_ushort v5, v[13:14], off offset:512
	global_load_ushort v4, v[13:14], off offset:1024
	;; [unrolled: 1-line block ×3, first 2 shown]
	s_add_u32 s2, s0, 0x800
	s_addc_u32 s3, s1, 0
	s_add_u32 s0, s0, 0x1000
	s_addc_u32 s1, s1, 0
	v_cmp_lt_i64_e64 s0, s[0:1], s[10:11]
	s_waitcnt vmcnt(7)
	v_lshlrev_b32_e32 v13, 16, v10
	s_waitcnt vmcnt(6)
	v_lshlrev_b32_e32 v14, 16, v9
	v_mul_f32_e32 v12, v12, v13
	v_bfe_u32 v13, v12, 16, 1
	v_cmp_o_f32_e32 vcc_lo, v12, v12
	v_add3_u32 v13, v12, v13, 0x7fff
	v_and_b32_e32 v13, 0xffff0000, v13
	v_cndmask_b32_e32 v12, 0x7fc00000, v13, vcc_lo
	v_mul_f32_e32 v12, v12, v14
	s_waitcnt vmcnt(5)
	v_lshlrev_b32_e32 v14, 16, v8
	v_bfe_u32 v13, v12, 16, 1
	v_cmp_o_f32_e32 vcc_lo, v12, v12
	v_add3_u32 v13, v12, v13, 0x7fff
	v_and_b32_e32 v13, 0xffff0000, v13
	v_cndmask_b32_e32 v12, 0x7fc00000, v13, vcc_lo
	v_mul_f32_e32 v12, v12, v14
	s_waitcnt vmcnt(4)
	v_lshlrev_b32_e32 v14, 16, v7
	;; [unrolled: 8-line block ×6, first 2 shown]
	v_bfe_u32 v13, v12, 16, 1
	v_cmp_o_f32_e32 vcc_lo, v12, v12
	v_add3_u32 v13, v12, v13, 0x7fff
	v_and_b32_e32 v13, 0xffff0000, v13
	v_cndmask_b32_e32 v12, 0x7fc00000, v13, vcc_lo
	v_add_co_u32 v1, vcc_lo, 0x1000, v1
	v_add_co_ci_u32_e64 v2, null, 0, v2, vcc_lo
	v_mul_f32_e32 v12, v12, v14
	s_and_b32 vcc_lo, exec_lo, s0
	v_bfe_u32 v13, v12, 16, 1
	v_cmp_o_f32_e64 s0, v12, v12
	v_add3_u32 v13, v12, v13, 0x7fff
	v_lshrrev_b32_e32 v13, 16, v13
	v_cndmask_b32_e64 v12, 0x7fc0, v13, s0
	s_cbranch_vccnz .LBB279_6
.LBB279_7:
	s_sub_i32 s0, s10, s2
	s_lshl_b64 s[2:3], s[2:3], 1
	v_cmp_gt_u32_e32 vcc_lo, s0, v0
	s_add_u32 s20, s12, s2
	s_addc_u32 s21, s13, s3
	s_and_saveexec_b32 s1, vcc_lo
	s_cbranch_execz .LBB279_9
; %bb.8:
	global_load_ushort v10, v11, s[20:21]
.LBB279_9:
	s_or_b32 exec_lo, exec_lo, s1
	v_or_b32_e32 v1, 0x100, v0
	v_cmp_gt_u32_e64 s8, s0, v1
	s_and_saveexec_b32 s1, s8
	s_cbranch_execz .LBB279_11
; %bb.10:
	global_load_ushort v9, v11, s[20:21] offset:512
.LBB279_11:
	s_or_b32 exec_lo, exec_lo, s1
	v_or_b32_e32 v1, 0x200, v0
	v_cmp_gt_u32_e64 s5, s0, v1
	s_and_saveexec_b32 s1, s5
	s_cbranch_execz .LBB279_13
; %bb.12:
	global_load_ushort v8, v11, s[20:21] offset:1024
.LBB279_13:
	;; [unrolled: 8-line block ×3, first 2 shown]
	s_or_b32 exec_lo, exec_lo, s1
	v_or_b32_e32 v1, 0x400, v0
	v_cmp_gt_u32_e64 s3, s0, v1
	s_and_saveexec_b32 s1, s3
	s_cbranch_execz .LBB279_17
; %bb.16:
	v_lshlrev_b32_e32 v1, 1, v1
	global_load_ushort v6, v1, s[20:21]
.LBB279_17:
	s_or_b32 exec_lo, exec_lo, s1
	v_or_b32_e32 v1, 0x500, v0
	v_cmp_gt_u32_e64 s2, s0, v1
	s_and_saveexec_b32 s1, s2
	s_cbranch_execz .LBB279_19
; %bb.18:
	v_lshlrev_b32_e32 v1, 1, v1
	global_load_ushort v5, v1, s[20:21]
.LBB279_19:
	;; [unrolled: 9-line block ×3, first 2 shown]
	s_or_b32 exec_lo, exec_lo, s23
	v_or_b32_e32 v1, 0x700, v0
	v_cmp_gt_u32_e64 s0, s0, v1
	s_and_saveexec_b32 s23, s0
	s_cbranch_execnz .LBB279_66
; %bb.22:
	s_or_b32 exec_lo, exec_lo, s23
	s_and_saveexec_b32 s20, vcc_lo
	s_cbranch_execnz .LBB279_67
.LBB279_23:
	s_or_b32 exec_lo, exec_lo, s20
	s_and_saveexec_b32 s20, s8
	s_cbranch_execnz .LBB279_68
.LBB279_24:
	s_or_b32 exec_lo, exec_lo, s20
	s_and_saveexec_b32 s8, s5
	s_cbranch_execnz .LBB279_69
.LBB279_25:
	s_or_b32 exec_lo, exec_lo, s8
	s_and_saveexec_b32 s5, s4
	s_cbranch_execnz .LBB279_70
.LBB279_26:
	s_or_b32 exec_lo, exec_lo, s5
	s_and_saveexec_b32 s4, s3
	s_cbranch_execnz .LBB279_71
.LBB279_27:
	s_or_b32 exec_lo, exec_lo, s4
	s_and_saveexec_b32 s3, s2
	s_cbranch_execnz .LBB279_72
.LBB279_28:
	s_or_b32 exec_lo, exec_lo, s3
	s_and_saveexec_b32 s2, s1
	s_cbranch_execnz .LBB279_73
.LBB279_29:
	s_or_b32 exec_lo, exec_lo, s2
	s_and_saveexec_b32 s1, s0
	s_cbranch_execz .LBB279_31
.LBB279_30:
	v_lshlrev_b32_e32 v1, 16, v12
	s_waitcnt vmcnt(0)
	v_lshlrev_b32_e32 v2, 16, v3
	v_mul_f32_e32 v1, v2, v1
	v_bfe_u32 v2, v1, 16, 1
	v_cmp_o_f32_e32 vcc_lo, v1, v1
	v_add3_u32 v1, v1, v2, 0x7fff
	v_mov_b32_e32 v2, 0x7fc0
	v_cndmask_b32_sdwa v12, v2, v1, vcc_lo dst_sel:DWORD dst_unused:UNUSED_PAD src0_sel:DWORD src1_sel:WORD_1
.LBB279_31:
	s_or_b32 exec_lo, exec_lo, s1
	v_and_b32_e32 v1, 0xffff, v12
	v_lshlrev_b32_e32 v2, 16, v12
	s_waitcnt vmcnt(0)
	v_mov_b32_e32 v3, 0x7fc0
	s_mov_b32 s0, exec_lo
	v_mov_b32_dpp v1, v1 quad_perm:[1,0,3,2] row_mask:0xf bank_mask:0xf
	v_lshlrev_b32_e32 v1, 16, v1
	v_mul_f32_e32 v1, v2, v1
	v_bfe_u32 v2, v1, 16, 1
	v_cmp_o_f32_e32 vcc_lo, v1, v1
	v_add3_u32 v2, v1, v2, 0x7fff
	v_lshrrev_b32_e32 v2, 16, v2
	v_cndmask_b32_e32 v1, 0x7fc0, v2, vcc_lo
	v_mov_b32_dpp v2, v1 quad_perm:[2,3,0,1] row_mask:0xf bank_mask:0xf
	v_lshlrev_b32_e32 v1, 16, v1
	v_lshlrev_b32_e32 v2, 16, v2
	v_mul_f32_e32 v1, v2, v1
	v_bfe_u32 v2, v1, 16, 1
	v_cmp_o_f32_e32 vcc_lo, v1, v1
	v_add3_u32 v2, v1, v2, 0x7fff
	v_lshrrev_b32_e32 v2, 16, v2
	v_cndmask_b32_e32 v1, 0x7fc0, v2, vcc_lo
	v_mov_b32_dpp v2, v1 row_ror:4 row_mask:0xf bank_mask:0xf
	v_lshlrev_b32_e32 v1, 16, v1
	v_lshlrev_b32_e32 v2, 16, v2
	v_mul_f32_e32 v1, v2, v1
	v_bfe_u32 v2, v1, 16, 1
	v_cmp_o_f32_e32 vcc_lo, v1, v1
	v_add3_u32 v2, v1, v2, 0x7fff
	v_lshrrev_b32_e32 v2, 16, v2
	v_cndmask_b32_e32 v1, 0x7fc0, v2, vcc_lo
	v_mov_b32_dpp v2, v1 row_ror:8 row_mask:0xf bank_mask:0xf
	v_lshlrev_b32_e32 v1, 16, v1
	v_lshlrev_b32_e32 v2, 16, v2
	v_mul_f32_e32 v1, v2, v1
	v_bfe_u32 v2, v1, 16, 1
	v_cmp_o_f32_e32 vcc_lo, v1, v1
	v_add3_u32 v1, v1, v2, 0x7fff
	v_cndmask_b32_sdwa v1, v3, v1, vcc_lo dst_sel:DWORD dst_unused:UNUSED_PAD src0_sel:DWORD src1_sel:WORD_1
	ds_swizzle_b32 v2, v1 offset:swizzle(BROADCAST,32,15)
	v_lshlrev_b32_e32 v1, 16, v1
	s_waitcnt lgkmcnt(0)
	v_lshlrev_b32_e32 v2, 16, v2
	v_mul_f32_e32 v1, v2, v1
	v_bfe_u32 v2, v1, 16, 1
	v_cmp_o_f32_e32 vcc_lo, v1, v1
	v_add3_u32 v1, v1, v2, 0x7fff
	v_mov_b32_e32 v2, 0
	v_cndmask_b32_sdwa v1, v3, v1, vcc_lo dst_sel:DWORD dst_unused:UNUSED_PAD src0_sel:DWORD src1_sel:WORD_1
	ds_bpermute_b32 v3, v2, v1 offset:124
	v_mbcnt_lo_u32_b32 v1, -1, 0
	v_cmpx_eq_u32_e32 0, v1
	s_xor_b32 s0, exec_lo, s0
	s_cbranch_execz .LBB279_33
; %bb.32:
	v_lshrrev_b32_e32 v2, 4, v0
	v_and_b32_e32 v2, 14, v2
	s_waitcnt lgkmcnt(0)
	ds_write_b16 v2, v3
.LBB279_33:
	s_or_b32 exec_lo, exec_lo, s0
	s_mov_b32 s0, exec_lo
	s_waitcnt lgkmcnt(0)
	s_barrier
	buffer_gl0_inv
	v_cmpx_gt_u32_e32 32, v0
	s_cbranch_execz .LBB279_35
; %bb.34:
	v_and_b32_e32 v2, 7, v1
	v_lshlrev_b32_e32 v3, 1, v2
	v_cmp_ne_u32_e32 vcc_lo, 7, v2
	ds_read_u16 v3, v3
	v_add_co_ci_u32_e64 v4, null, 0, v1, vcc_lo
	v_cmp_gt_u32_e32 vcc_lo, 6, v2
	v_lshlrev_b32_e32 v4, 2, v4
	v_cndmask_b32_e64 v2, 0, 2, vcc_lo
	v_add_lshl_u32 v2, v2, v1, 2
	v_lshlrev_b32_e32 v1, 2, v1
	v_or_b32_e32 v1, 16, v1
	s_waitcnt lgkmcnt(0)
	ds_bpermute_b32 v4, v4, v3
	v_lshlrev_b32_e32 v3, 16, v3
	s_waitcnt lgkmcnt(0)
	v_lshlrev_b32_e32 v4, 16, v4
	v_mul_f32_e32 v3, v3, v4
	v_bfe_u32 v4, v3, 16, 1
	v_cmp_o_f32_e32 vcc_lo, v3, v3
	v_add3_u32 v4, v3, v4, 0x7fff
	v_lshrrev_b32_e32 v4, 16, v4
	v_cndmask_b32_e32 v3, 0x7fc0, v4, vcc_lo
	ds_bpermute_b32 v2, v2, v3
	v_lshlrev_b32_e32 v3, 16, v3
	s_waitcnt lgkmcnt(0)
	v_lshlrev_b32_e32 v2, 16, v2
	v_mul_f32_e32 v2, v2, v3
	v_bfe_u32 v3, v2, 16, 1
	v_cmp_o_f32_e32 vcc_lo, v2, v2
	v_add3_u32 v2, v2, v3, 0x7fff
	v_mov_b32_e32 v3, 0x7fc0
	v_cndmask_b32_sdwa v2, v3, v2, vcc_lo dst_sel:DWORD dst_unused:UNUSED_PAD src0_sel:DWORD src1_sel:WORD_1
	ds_bpermute_b32 v1, v1, v2
	v_lshlrev_b32_e32 v2, 16, v2
	s_waitcnt lgkmcnt(0)
	v_lshlrev_b32_e32 v1, 16, v1
	v_mul_f32_e32 v1, v1, v2
	v_bfe_u32 v2, v1, 16, 1
	v_cmp_o_f32_e32 vcc_lo, v1, v1
	v_add3_u32 v1, v1, v2, 0x7fff
	v_cndmask_b32_sdwa v3, v3, v1, vcc_lo dst_sel:DWORD dst_unused:UNUSED_PAD src0_sel:DWORD src1_sel:WORD_1
.LBB279_35:
	s_or_b32 exec_lo, exec_lo, s0
	s_branch .LBB279_80
.LBB279_36:
	v_mov_b32_e32 v1, s22
	s_and_saveexec_b32 s0, s9
	s_cbranch_execnz .LBB279_83
	s_branch .LBB279_84
.LBB279_37:
                                        ; implicit-def: $vgpr3
	s_cbranch_execz .LBB279_80
; %bb.38:
	s_sub_i32 s1, s10, s18
	s_mov_b32 s2, exec_lo
                                        ; implicit-def: $vgpr5
	v_cmpx_gt_u32_e64 s1, v0
	s_cbranch_execz .LBB279_44
; %bb.39:
	v_add_co_u32 v1, s0, s18, v0
	v_add_co_ci_u32_e64 v2, null, s19, 0, s0
	s_mov_b32 s3, exec_lo
	v_lshlrev_b64 v[3:4], 1, v[1:2]
	v_add_co_u32 v3, vcc_lo, s12, v3
	v_add_co_ci_u32_e64 v4, null, s13, v4, vcc_lo
	v_add_co_u32 v1, vcc_lo, 0x100, v1
	v_add_co_ci_u32_e64 v2, null, 0, v2, vcc_lo
	global_load_ushort v5, v[3:4], off
	v_cmpx_gt_i64_e64 s[10:11], v[1:2]
	s_cbranch_execz .LBB279_43
; %bb.40:
	v_add_co_u32 v3, vcc_lo, 0x200, v3
	v_add_co_ci_u32_e64 v4, null, 0, v4, vcc_lo
	s_mov_b32 s4, 0
	.p2align	6
.LBB279_41:                             ; =>This Inner Loop Header: Depth=1
	global_load_ushort v6, v[3:4], off
	s_waitcnt vmcnt(1)
	v_lshlrev_b32_e32 v5, 16, v5
	v_add_co_u32 v1, vcc_lo, 0x100, v1
	v_add_co_ci_u32_e64 v2, null, 0, v2, vcc_lo
	v_add_co_u32 v3, vcc_lo, 0x200, v3
	v_add_co_ci_u32_e64 v4, null, 0, v4, vcc_lo
	v_cmp_le_i64_e64 s0, s[10:11], v[1:2]
	s_or_b32 s4, s0, s4
	s_waitcnt vmcnt(0)
	v_lshlrev_b32_e32 v6, 16, v6
	v_mul_f32_e32 v5, v5, v6
	v_bfe_u32 v6, v5, 16, 1
	v_cmp_o_f32_e32 vcc_lo, v5, v5
	v_add3_u32 v6, v5, v6, 0x7fff
	v_lshrrev_b32_e32 v6, 16, v6
	v_cndmask_b32_e32 v5, 0x7fc0, v6, vcc_lo
	s_andn2_b32 exec_lo, exec_lo, s4
	s_cbranch_execnz .LBB279_41
; %bb.42:
	s_or_b32 exec_lo, exec_lo, s4
.LBB279_43:
	s_or_b32 exec_lo, exec_lo, s3
.LBB279_44:
	s_or_b32 exec_lo, exec_lo, s2
	v_mbcnt_lo_u32_b32 v1, -1, 0
	s_waitcnt vmcnt(0)
	v_and_b32_e32 v2, 0xffff, v5
	s_cmpk_lt_u32 s1, 0x100
	s_cbranch_scc0 .LBB279_74
; %bb.45:
	v_cmp_ne_u32_e32 vcc_lo, 31, v1
	v_mov_b32_e32 v7, v2
	v_add_co_ci_u32_e64 v3, null, 0, v1, vcc_lo
	v_lshlrev_b32_e32 v3, 2, v3
	ds_bpermute_b32 v6, v3, v2
	v_and_b32_e32 v3, 0xe0, v0
	v_sub_nc_u32_e64 v4, s1, v3 clamp
	v_add_nc_u32_e32 v3, 1, v1
	v_cmp_lt_u32_e32 vcc_lo, v3, v4
	v_mov_b32_e32 v3, v5
	s_and_saveexec_b32 s0, vcc_lo
	s_cbranch_execz .LBB279_47
; %bb.46:
	v_lshlrev_b32_e32 v3, 16, v2
	s_waitcnt lgkmcnt(0)
	v_lshlrev_b32_e32 v6, 16, v6
	v_mul_f32_e32 v3, v3, v6
	v_bfe_u32 v6, v3, 16, 1
	v_cmp_o_f32_e32 vcc_lo, v3, v3
	v_add3_u32 v3, v3, v6, 0x7fff
	v_mov_b32_e32 v6, 0x7fc0
	v_cndmask_b32_sdwa v3, v6, v3, vcc_lo dst_sel:DWORD dst_unused:UNUSED_PAD src0_sel:DWORD src1_sel:WORD_1
	v_and_b32_e32 v7, 0xffff, v3
.LBB279_47:
	s_or_b32 exec_lo, exec_lo, s0
	v_cmp_gt_u32_e32 vcc_lo, 30, v1
	v_add_nc_u32_e32 v8, 2, v1
	s_mov_b32 s0, exec_lo
	s_waitcnt lgkmcnt(0)
	v_cndmask_b32_e64 v6, 0, 2, vcc_lo
	v_add_lshl_u32 v6, v6, v1, 2
	ds_bpermute_b32 v6, v6, v7
	v_cmpx_lt_u32_e64 v8, v4
	s_cbranch_execz .LBB279_49
; %bb.48:
	v_lshlrev_b32_e32 v3, 16, v7
	s_waitcnt lgkmcnt(0)
	v_lshlrev_b32_e32 v6, 16, v6
	v_mul_f32_e32 v3, v3, v6
	v_bfe_u32 v6, v3, 16, 1
	v_cmp_o_f32_e32 vcc_lo, v3, v3
	v_add3_u32 v3, v3, v6, 0x7fff
	v_mov_b32_e32 v6, 0x7fc0
	v_cndmask_b32_sdwa v3, v6, v3, vcc_lo dst_sel:DWORD dst_unused:UNUSED_PAD src0_sel:DWORD src1_sel:WORD_1
	v_and_b32_e32 v7, 0xffff, v3
.LBB279_49:
	s_or_b32 exec_lo, exec_lo, s0
	v_cmp_gt_u32_e32 vcc_lo, 28, v1
	v_add_nc_u32_e32 v8, 4, v1
	s_mov_b32 s0, exec_lo
	s_waitcnt lgkmcnt(0)
	v_cndmask_b32_e64 v6, 0, 4, vcc_lo
	v_add_lshl_u32 v6, v6, v1, 2
	ds_bpermute_b32 v6, v6, v7
	v_cmpx_lt_u32_e64 v8, v4
	;; [unrolled: 22-line block ×3, first 2 shown]
	s_cbranch_execz .LBB279_53
; %bb.52:
	v_lshlrev_b32_e32 v3, 16, v7
	s_waitcnt lgkmcnt(0)
	v_lshlrev_b32_e32 v6, 16, v6
	v_mul_f32_e32 v3, v3, v6
	v_bfe_u32 v6, v3, 16, 1
	v_cmp_o_f32_e32 vcc_lo, v3, v3
	v_add3_u32 v3, v3, v6, 0x7fff
	v_mov_b32_e32 v6, 0x7fc0
	v_cndmask_b32_sdwa v3, v6, v3, vcc_lo dst_sel:DWORD dst_unused:UNUSED_PAD src0_sel:DWORD src1_sel:WORD_1
	v_and_b32_e32 v7, 0xffff, v3
.LBB279_53:
	s_or_b32 exec_lo, exec_lo, s0
	s_waitcnt lgkmcnt(0)
	v_lshlrev_b32_e32 v6, 2, v1
	v_add_nc_u32_e32 v9, 16, v1
	s_mov_b32 s0, exec_lo
	v_or_b32_e32 v8, 64, v6
	ds_bpermute_b32 v8, v8, v7
	v_cmpx_lt_u32_e64 v9, v4
	s_cbranch_execz .LBB279_55
; %bb.54:
	v_lshlrev_b32_e32 v3, 16, v7
	s_waitcnt lgkmcnt(0)
	v_lshlrev_b32_e32 v4, 16, v8
	v_mul_f32_e32 v3, v3, v4
	v_bfe_u32 v4, v3, 16, 1
	v_cmp_o_f32_e32 vcc_lo, v3, v3
	v_add3_u32 v3, v3, v4, 0x7fff
	v_mov_b32_e32 v4, 0x7fc0
	v_cndmask_b32_sdwa v3, v4, v3, vcc_lo dst_sel:DWORD dst_unused:UNUSED_PAD src0_sel:DWORD src1_sel:WORD_1
.LBB279_55:
	s_or_b32 exec_lo, exec_lo, s0
	s_mov_b32 s0, exec_lo
	v_cmpx_eq_u32_e32 0, v1
; %bb.56:
	v_lshrrev_b32_e32 v4, 4, v0
	v_and_b32_e32 v4, 14, v4
	ds_write_b16 v4, v3
; %bb.57:
	s_or_b32 exec_lo, exec_lo, s0
	s_mov_b32 s0, exec_lo
	s_waitcnt lgkmcnt(0)
	s_barrier
	buffer_gl0_inv
	v_cmpx_gt_u32_e32 8, v0
	s_cbranch_execz .LBB279_65
; %bb.58:
	v_lshlrev_b32_e32 v3, 1, v1
	v_and_b32_e32 v4, 7, v1
	s_add_i32 s1, s1, 31
	s_mov_b32 s2, exec_lo
	s_lshr_b32 s1, s1, 5
	ds_read_u16 v3, v3
	v_cmp_ne_u32_e32 vcc_lo, 7, v4
	v_add_nc_u32_e32 v9, 1, v4
	v_add_co_ci_u32_e64 v7, null, 0, v1, vcc_lo
	v_lshlrev_b32_e32 v8, 2, v7
	s_waitcnt lgkmcnt(0)
	v_and_b32_e32 v7, 0xffff, v3
	ds_bpermute_b32 v8, v8, v7
	v_cmpx_gt_u32_e64 s1, v9
	s_cbranch_execz .LBB279_60
; %bb.59:
	v_lshlrev_b32_e32 v3, 16, v7
	s_waitcnt lgkmcnt(0)
	v_lshlrev_b32_e32 v7, 16, v8
	v_mul_f32_e32 v3, v3, v7
	v_bfe_u32 v7, v3, 16, 1
	v_cmp_o_f32_e32 vcc_lo, v3, v3
	v_add3_u32 v3, v3, v7, 0x7fff
	v_mov_b32_e32 v7, 0x7fc0
	v_cndmask_b32_sdwa v3, v7, v3, vcc_lo dst_sel:DWORD dst_unused:UNUSED_PAD src0_sel:DWORD src1_sel:WORD_1
	v_and_b32_e32 v7, 0xffff, v3
.LBB279_60:
	s_or_b32 exec_lo, exec_lo, s2
	v_cmp_gt_u32_e32 vcc_lo, 6, v4
	v_add_nc_u32_e32 v9, 2, v4
	s_mov_b32 s2, exec_lo
	s_waitcnt lgkmcnt(0)
	v_cndmask_b32_e64 v8, 0, 2, vcc_lo
	v_add_lshl_u32 v8, v8, v1, 2
	ds_bpermute_b32 v8, v8, v7
	v_cmpx_gt_u32_e64 s1, v9
	s_cbranch_execz .LBB279_62
; %bb.61:
	v_lshlrev_b32_e32 v3, 16, v7
	s_waitcnt lgkmcnt(0)
	v_lshlrev_b32_e32 v7, 16, v8
	v_mul_f32_e32 v3, v3, v7
	v_bfe_u32 v7, v3, 16, 1
	v_cmp_o_f32_e32 vcc_lo, v3, v3
	v_add3_u32 v3, v3, v7, 0x7fff
	v_mov_b32_e32 v7, 0x7fc0
	v_cndmask_b32_sdwa v3, v7, v3, vcc_lo dst_sel:DWORD dst_unused:UNUSED_PAD src0_sel:DWORD src1_sel:WORD_1
	v_and_b32_e32 v7, 0xffff, v3
.LBB279_62:
	s_or_b32 exec_lo, exec_lo, s2
	v_or_b32_e32 v6, 16, v6
	v_add_nc_u32_e32 v4, 4, v4
	ds_bpermute_b32 v6, v6, v7
	v_cmp_gt_u32_e32 vcc_lo, s1, v4
	s_and_saveexec_b32 s1, vcc_lo
	s_cbranch_execz .LBB279_64
; %bb.63:
	v_lshlrev_b32_e32 v3, 16, v7
	s_waitcnt lgkmcnt(0)
	v_lshlrev_b32_e32 v4, 16, v6
	v_mul_f32_e32 v3, v3, v4
	v_bfe_u32 v4, v3, 16, 1
	v_cmp_o_f32_e32 vcc_lo, v3, v3
	v_add3_u32 v3, v3, v4, 0x7fff
	v_mov_b32_e32 v4, 0x7fc0
	v_cndmask_b32_sdwa v3, v4, v3, vcc_lo dst_sel:DWORD dst_unused:UNUSED_PAD src0_sel:DWORD src1_sel:WORD_1
.LBB279_64:
	s_or_b32 exec_lo, exec_lo, s1
.LBB279_65:
	s_or_b32 exec_lo, exec_lo, s0
	s_branch .LBB279_80
.LBB279_66:
	v_lshlrev_b32_e32 v1, 1, v1
	global_load_ushort v3, v1, s[20:21]
	s_or_b32 exec_lo, exec_lo, s23
	s_and_saveexec_b32 s20, vcc_lo
	s_cbranch_execz .LBB279_23
.LBB279_67:
	v_lshlrev_b32_e32 v1, 16, v12
	s_waitcnt vmcnt(0)
	v_lshlrev_b32_e32 v2, 16, v10
	v_mul_f32_e32 v1, v1, v2
	v_bfe_u32 v2, v1, 16, 1
	v_cmp_o_f32_e32 vcc_lo, v1, v1
	v_add3_u32 v1, v1, v2, 0x7fff
	v_mov_b32_e32 v2, 0x7fc0
	v_cndmask_b32_sdwa v12, v2, v1, vcc_lo dst_sel:DWORD dst_unused:UNUSED_PAD src0_sel:DWORD src1_sel:WORD_1
	s_or_b32 exec_lo, exec_lo, s20
	s_and_saveexec_b32 s20, s8
	s_cbranch_execz .LBB279_24
.LBB279_68:
	v_lshlrev_b32_e32 v1, 16, v12
	s_waitcnt vmcnt(0)
	v_lshlrev_b32_e32 v2, 16, v9
	v_mul_f32_e32 v1, v2, v1
	v_bfe_u32 v2, v1, 16, 1
	v_cmp_o_f32_e32 vcc_lo, v1, v1
	v_add3_u32 v1, v1, v2, 0x7fff
	v_mov_b32_e32 v2, 0x7fc0
	v_cndmask_b32_sdwa v12, v2, v1, vcc_lo dst_sel:DWORD dst_unused:UNUSED_PAD src0_sel:DWORD src1_sel:WORD_1
	s_or_b32 exec_lo, exec_lo, s20
	s_and_saveexec_b32 s8, s5
	s_cbranch_execz .LBB279_25
.LBB279_69:
	v_lshlrev_b32_e32 v1, 16, v12
	s_waitcnt vmcnt(0)
	v_lshlrev_b32_e32 v2, 16, v8
	v_mul_f32_e32 v1, v2, v1
	v_bfe_u32 v2, v1, 16, 1
	v_cmp_o_f32_e32 vcc_lo, v1, v1
	v_add3_u32 v1, v1, v2, 0x7fff
	v_mov_b32_e32 v2, 0x7fc0
	v_cndmask_b32_sdwa v12, v2, v1, vcc_lo dst_sel:DWORD dst_unused:UNUSED_PAD src0_sel:DWORD src1_sel:WORD_1
	s_or_b32 exec_lo, exec_lo, s8
	s_and_saveexec_b32 s5, s4
	s_cbranch_execz .LBB279_26
.LBB279_70:
	v_lshlrev_b32_e32 v1, 16, v12
	s_waitcnt vmcnt(0)
	v_lshlrev_b32_e32 v2, 16, v7
	v_mul_f32_e32 v1, v2, v1
	v_bfe_u32 v2, v1, 16, 1
	v_cmp_o_f32_e32 vcc_lo, v1, v1
	v_add3_u32 v1, v1, v2, 0x7fff
	v_mov_b32_e32 v2, 0x7fc0
	v_cndmask_b32_sdwa v12, v2, v1, vcc_lo dst_sel:DWORD dst_unused:UNUSED_PAD src0_sel:DWORD src1_sel:WORD_1
	s_or_b32 exec_lo, exec_lo, s5
	s_and_saveexec_b32 s4, s3
	s_cbranch_execz .LBB279_27
.LBB279_71:
	v_lshlrev_b32_e32 v1, 16, v12
	s_waitcnt vmcnt(0)
	v_lshlrev_b32_e32 v2, 16, v6
	v_mul_f32_e32 v1, v2, v1
	v_bfe_u32 v2, v1, 16, 1
	v_cmp_o_f32_e32 vcc_lo, v1, v1
	v_add3_u32 v1, v1, v2, 0x7fff
	v_mov_b32_e32 v2, 0x7fc0
	v_cndmask_b32_sdwa v12, v2, v1, vcc_lo dst_sel:DWORD dst_unused:UNUSED_PAD src0_sel:DWORD src1_sel:WORD_1
	s_or_b32 exec_lo, exec_lo, s4
	s_and_saveexec_b32 s3, s2
	s_cbranch_execz .LBB279_28
.LBB279_72:
	v_lshlrev_b32_e32 v1, 16, v12
	s_waitcnt vmcnt(0)
	v_lshlrev_b32_e32 v2, 16, v5
	v_mul_f32_e32 v1, v2, v1
	v_bfe_u32 v2, v1, 16, 1
	v_cmp_o_f32_e32 vcc_lo, v1, v1
	v_add3_u32 v1, v1, v2, 0x7fff
	v_mov_b32_e32 v2, 0x7fc0
	v_cndmask_b32_sdwa v12, v2, v1, vcc_lo dst_sel:DWORD dst_unused:UNUSED_PAD src0_sel:DWORD src1_sel:WORD_1
	s_or_b32 exec_lo, exec_lo, s3
	s_and_saveexec_b32 s2, s1
	s_cbranch_execz .LBB279_29
.LBB279_73:
	v_lshlrev_b32_e32 v1, 16, v12
	s_waitcnt vmcnt(0)
	v_lshlrev_b32_e32 v2, 16, v4
	v_mul_f32_e32 v1, v2, v1
	v_bfe_u32 v2, v1, 16, 1
	v_cmp_o_f32_e32 vcc_lo, v1, v1
	v_add3_u32 v1, v1, v2, 0x7fff
	v_mov_b32_e32 v2, 0x7fc0
	v_cndmask_b32_sdwa v12, v2, v1, vcc_lo dst_sel:DWORD dst_unused:UNUSED_PAD src0_sel:DWORD src1_sel:WORD_1
	s_or_b32 exec_lo, exec_lo, s2
	s_and_saveexec_b32 s1, s0
	s_cbranch_execnz .LBB279_30
	s_branch .LBB279_31
.LBB279_74:
                                        ; implicit-def: $vgpr3
	s_cbranch_execz .LBB279_80
; %bb.75:
	v_mov_b32_dpp v2, v2 quad_perm:[1,0,3,2] row_mask:0xf bank_mask:0xf
	v_lshlrev_b32_e32 v3, 16, v5
	v_mov_b32_e32 v4, 0x7fc0
	s_mov_b32 s0, exec_lo
	v_lshlrev_b32_e32 v2, 16, v2
	v_mul_f32_e32 v2, v3, v2
	v_bfe_u32 v3, v2, 16, 1
	v_cmp_o_f32_e32 vcc_lo, v2, v2
	v_add3_u32 v3, v2, v3, 0x7fff
	v_lshrrev_b32_e32 v3, 16, v3
	v_cndmask_b32_e32 v2, 0x7fc0, v3, vcc_lo
	v_mov_b32_dpp v3, v2 quad_perm:[2,3,0,1] row_mask:0xf bank_mask:0xf
	v_lshlrev_b32_e32 v2, 16, v2
	v_lshlrev_b32_e32 v3, 16, v3
	v_mul_f32_e32 v2, v3, v2
	v_bfe_u32 v3, v2, 16, 1
	v_cmp_o_f32_e32 vcc_lo, v2, v2
	v_add3_u32 v3, v2, v3, 0x7fff
	v_lshrrev_b32_e32 v3, 16, v3
	v_cndmask_b32_e32 v2, 0x7fc0, v3, vcc_lo
	v_mov_b32_dpp v3, v2 row_ror:4 row_mask:0xf bank_mask:0xf
	v_lshlrev_b32_e32 v2, 16, v2
	v_lshlrev_b32_e32 v3, 16, v3
	v_mul_f32_e32 v2, v3, v2
	v_bfe_u32 v3, v2, 16, 1
	v_cmp_o_f32_e32 vcc_lo, v2, v2
	v_add3_u32 v3, v2, v3, 0x7fff
	v_lshrrev_b32_e32 v3, 16, v3
	v_cndmask_b32_e32 v2, 0x7fc0, v3, vcc_lo
	v_mov_b32_dpp v3, v2 row_ror:8 row_mask:0xf bank_mask:0xf
	v_lshlrev_b32_e32 v2, 16, v2
	v_lshlrev_b32_e32 v3, 16, v3
	v_mul_f32_e32 v2, v3, v2
	v_bfe_u32 v3, v2, 16, 1
	v_cmp_o_f32_e32 vcc_lo, v2, v2
	v_add3_u32 v2, v2, v3, 0x7fff
	v_cndmask_b32_sdwa v2, v4, v2, vcc_lo dst_sel:DWORD dst_unused:UNUSED_PAD src0_sel:DWORD src1_sel:WORD_1
	ds_swizzle_b32 v3, v2 offset:swizzle(BROADCAST,32,15)
	v_lshlrev_b32_e32 v2, 16, v2
	s_waitcnt lgkmcnt(0)
	v_lshlrev_b32_e32 v3, 16, v3
	v_mul_f32_e32 v2, v3, v2
	v_bfe_u32 v3, v2, 16, 1
	v_cmp_o_f32_e32 vcc_lo, v2, v2
	v_add3_u32 v2, v2, v3, 0x7fff
	v_mov_b32_e32 v3, 0
	v_cndmask_b32_sdwa v2, v4, v2, vcc_lo dst_sel:DWORD dst_unused:UNUSED_PAD src0_sel:DWORD src1_sel:WORD_1
	ds_bpermute_b32 v3, v3, v2 offset:124
	v_cmpx_eq_u32_e32 0, v1
	s_cbranch_execz .LBB279_77
; %bb.76:
	v_lshrrev_b32_e32 v2, 4, v0
	v_and_b32_e32 v2, 14, v2
	s_waitcnt lgkmcnt(0)
	ds_write_b16 v2, v3
.LBB279_77:
	s_or_b32 exec_lo, exec_lo, s0
	s_mov_b32 s0, exec_lo
	s_waitcnt lgkmcnt(0)
	s_barrier
	buffer_gl0_inv
	v_cmpx_gt_u32_e32 32, v0
	s_cbranch_execz .LBB279_79
; %bb.78:
	v_and_b32_e32 v2, 7, v1
	v_lshlrev_b32_e32 v3, 1, v2
	v_cmp_ne_u32_e32 vcc_lo, 7, v2
	ds_read_u16 v3, v3
	v_add_co_ci_u32_e64 v4, null, 0, v1, vcc_lo
	v_cmp_gt_u32_e32 vcc_lo, 6, v2
	v_lshlrev_b32_e32 v4, 2, v4
	v_cndmask_b32_e64 v2, 0, 2, vcc_lo
	v_add_lshl_u32 v2, v2, v1, 2
	v_lshlrev_b32_e32 v1, 2, v1
	v_or_b32_e32 v1, 16, v1
	s_waitcnt lgkmcnt(0)
	ds_bpermute_b32 v4, v4, v3
	v_lshlrev_b32_e32 v3, 16, v3
	s_waitcnt lgkmcnt(0)
	v_lshlrev_b32_e32 v4, 16, v4
	v_mul_f32_e32 v3, v3, v4
	v_bfe_u32 v4, v3, 16, 1
	v_cmp_o_f32_e32 vcc_lo, v3, v3
	v_add3_u32 v4, v3, v4, 0x7fff
	v_lshrrev_b32_e32 v4, 16, v4
	v_cndmask_b32_e32 v3, 0x7fc0, v4, vcc_lo
	ds_bpermute_b32 v2, v2, v3
	v_lshlrev_b32_e32 v3, 16, v3
	s_waitcnt lgkmcnt(0)
	v_lshlrev_b32_e32 v2, 16, v2
	v_mul_f32_e32 v2, v2, v3
	v_bfe_u32 v3, v2, 16, 1
	v_cmp_o_f32_e32 vcc_lo, v2, v2
	v_add3_u32 v2, v2, v3, 0x7fff
	v_mov_b32_e32 v3, 0x7fc0
	v_cndmask_b32_sdwa v2, v3, v2, vcc_lo dst_sel:DWORD dst_unused:UNUSED_PAD src0_sel:DWORD src1_sel:WORD_1
	ds_bpermute_b32 v1, v1, v2
	v_lshlrev_b32_e32 v2, 16, v2
	s_waitcnt lgkmcnt(0)
	v_lshlrev_b32_e32 v1, 16, v1
	v_mul_f32_e32 v1, v1, v2
	v_bfe_u32 v2, v1, 16, 1
	v_cmp_o_f32_e32 vcc_lo, v1, v1
	v_add3_u32 v1, v1, v2, 0x7fff
	v_cndmask_b32_sdwa v3, v3, v1, vcc_lo dst_sel:DWORD dst_unused:UNUSED_PAD src0_sel:DWORD src1_sel:WORD_1
.LBB279_79:
	s_or_b32 exec_lo, exec_lo, s0
.LBB279_80:
	s_mov_b32 s0, exec_lo
                                        ; implicit-def: $vgpr1
	v_cmpx_eq_u32_e32 0, v0
	s_cbranch_execz .LBB279_82
; %bb.81:
	v_lshlrev_b32_e32 v0, 16, v3
	s_lshl_b32 s1, s22, 16
	s_or_b32 s9, s9, exec_lo
	v_mul_f32_e32 v0, s1, v0
	v_bfe_u32 v1, v0, 16, 1
	v_cmp_o_f32_e32 vcc_lo, v0, v0
	v_add3_u32 v0, v0, v1, 0x7fff
	v_mov_b32_e32 v1, 0x7fc0
	v_cndmask_b32_sdwa v1, v1, v0, vcc_lo dst_sel:DWORD dst_unused:UNUSED_PAD src0_sel:DWORD src1_sel:WORD_1
.LBB279_82:
	s_or_b32 exec_lo, exec_lo, s0
	s_and_saveexec_b32 s0, s9
	s_cbranch_execz .LBB279_84
.LBB279_83:
	s_lshl_b64 s[0:1], s[16:17], 1
	v_mov_b32_e32 v0, 0
	s_add_u32 s2, s14, s0
	s_addc_u32 s3, s15, s1
	s_lshl_b64 s[0:1], s[6:7], 1
	s_add_u32 s0, s2, s0
	s_addc_u32 s1, s3, s1
	global_store_short v0, v1, s[0:1]
.LBB279_84:
	s_endpgm
	.section	.rodata,"a",@progbits
	.p2align	6, 0x0
	.amdhsa_kernel _ZN7rocprim17ROCPRIM_400000_NS6detail17trampoline_kernelINS0_14default_configENS1_32segmented_reduce_config_selectorIN3c108BFloat16EEEZNS1_21segmented_reduce_implIS3_PKS6_PS6_PKlS6_N6hipcub16HIPCUB_304000_NS6detail27convert_result_type_wrapperISA_SB_N2at6native12_GLOBAL__N_110CustomProdEEEEE10hipError_tPvRmT0_T1_jT2_SS_T4_T3_P12ihipStream_tbEUlT_E_NS1_11comp_targetILNS1_3genE8ELNS1_11target_archE1030ELNS1_3gpuE2ELNS1_3repE0EEENS1_30default_config_static_selectorELNS0_4arch9wavefront6targetE0EEEvSR_
		.amdhsa_group_segment_fixed_size 16
		.amdhsa_private_segment_fixed_size 0
		.amdhsa_kernarg_size 48
		.amdhsa_user_sgpr_count 6
		.amdhsa_user_sgpr_private_segment_buffer 1
		.amdhsa_user_sgpr_dispatch_ptr 0
		.amdhsa_user_sgpr_queue_ptr 0
		.amdhsa_user_sgpr_kernarg_segment_ptr 1
		.amdhsa_user_sgpr_dispatch_id 0
		.amdhsa_user_sgpr_flat_scratch_init 0
		.amdhsa_user_sgpr_private_segment_size 0
		.amdhsa_wavefront_size32 1
		.amdhsa_uses_dynamic_stack 0
		.amdhsa_system_sgpr_private_segment_wavefront_offset 0
		.amdhsa_system_sgpr_workgroup_id_x 1
		.amdhsa_system_sgpr_workgroup_id_y 0
		.amdhsa_system_sgpr_workgroup_id_z 0
		.amdhsa_system_sgpr_workgroup_info 0
		.amdhsa_system_vgpr_workitem_id 0
		.amdhsa_next_free_vgpr 15
		.amdhsa_next_free_sgpr 24
		.amdhsa_reserve_vcc 1
		.amdhsa_reserve_flat_scratch 0
		.amdhsa_float_round_mode_32 0
		.amdhsa_float_round_mode_16_64 0
		.amdhsa_float_denorm_mode_32 3
		.amdhsa_float_denorm_mode_16_64 3
		.amdhsa_dx10_clamp 1
		.amdhsa_ieee_mode 1
		.amdhsa_fp16_overflow 0
		.amdhsa_workgroup_processor_mode 1
		.amdhsa_memory_ordered 1
		.amdhsa_forward_progress 1
		.amdhsa_shared_vgpr_count 0
		.amdhsa_exception_fp_ieee_invalid_op 0
		.amdhsa_exception_fp_denorm_src 0
		.amdhsa_exception_fp_ieee_div_zero 0
		.amdhsa_exception_fp_ieee_overflow 0
		.amdhsa_exception_fp_ieee_underflow 0
		.amdhsa_exception_fp_ieee_inexact 0
		.amdhsa_exception_int_div_zero 0
	.end_amdhsa_kernel
	.section	.text._ZN7rocprim17ROCPRIM_400000_NS6detail17trampoline_kernelINS0_14default_configENS1_32segmented_reduce_config_selectorIN3c108BFloat16EEEZNS1_21segmented_reduce_implIS3_PKS6_PS6_PKlS6_N6hipcub16HIPCUB_304000_NS6detail27convert_result_type_wrapperISA_SB_N2at6native12_GLOBAL__N_110CustomProdEEEEE10hipError_tPvRmT0_T1_jT2_SS_T4_T3_P12ihipStream_tbEUlT_E_NS1_11comp_targetILNS1_3genE8ELNS1_11target_archE1030ELNS1_3gpuE2ELNS1_3repE0EEENS1_30default_config_static_selectorELNS0_4arch9wavefront6targetE0EEEvSR_,"axG",@progbits,_ZN7rocprim17ROCPRIM_400000_NS6detail17trampoline_kernelINS0_14default_configENS1_32segmented_reduce_config_selectorIN3c108BFloat16EEEZNS1_21segmented_reduce_implIS3_PKS6_PS6_PKlS6_N6hipcub16HIPCUB_304000_NS6detail27convert_result_type_wrapperISA_SB_N2at6native12_GLOBAL__N_110CustomProdEEEEE10hipError_tPvRmT0_T1_jT2_SS_T4_T3_P12ihipStream_tbEUlT_E_NS1_11comp_targetILNS1_3genE8ELNS1_11target_archE1030ELNS1_3gpuE2ELNS1_3repE0EEENS1_30default_config_static_selectorELNS0_4arch9wavefront6targetE0EEEvSR_,comdat
.Lfunc_end279:
	.size	_ZN7rocprim17ROCPRIM_400000_NS6detail17trampoline_kernelINS0_14default_configENS1_32segmented_reduce_config_selectorIN3c108BFloat16EEEZNS1_21segmented_reduce_implIS3_PKS6_PS6_PKlS6_N6hipcub16HIPCUB_304000_NS6detail27convert_result_type_wrapperISA_SB_N2at6native12_GLOBAL__N_110CustomProdEEEEE10hipError_tPvRmT0_T1_jT2_SS_T4_T3_P12ihipStream_tbEUlT_E_NS1_11comp_targetILNS1_3genE8ELNS1_11target_archE1030ELNS1_3gpuE2ELNS1_3repE0EEENS1_30default_config_static_selectorELNS0_4arch9wavefront6targetE0EEEvSR_, .Lfunc_end279-_ZN7rocprim17ROCPRIM_400000_NS6detail17trampoline_kernelINS0_14default_configENS1_32segmented_reduce_config_selectorIN3c108BFloat16EEEZNS1_21segmented_reduce_implIS3_PKS6_PS6_PKlS6_N6hipcub16HIPCUB_304000_NS6detail27convert_result_type_wrapperISA_SB_N2at6native12_GLOBAL__N_110CustomProdEEEEE10hipError_tPvRmT0_T1_jT2_SS_T4_T3_P12ihipStream_tbEUlT_E_NS1_11comp_targetILNS1_3genE8ELNS1_11target_archE1030ELNS1_3gpuE2ELNS1_3repE0EEENS1_30default_config_static_selectorELNS0_4arch9wavefront6targetE0EEEvSR_
                                        ; -- End function
	.set _ZN7rocprim17ROCPRIM_400000_NS6detail17trampoline_kernelINS0_14default_configENS1_32segmented_reduce_config_selectorIN3c108BFloat16EEEZNS1_21segmented_reduce_implIS3_PKS6_PS6_PKlS6_N6hipcub16HIPCUB_304000_NS6detail27convert_result_type_wrapperISA_SB_N2at6native12_GLOBAL__N_110CustomProdEEEEE10hipError_tPvRmT0_T1_jT2_SS_T4_T3_P12ihipStream_tbEUlT_E_NS1_11comp_targetILNS1_3genE8ELNS1_11target_archE1030ELNS1_3gpuE2ELNS1_3repE0EEENS1_30default_config_static_selectorELNS0_4arch9wavefront6targetE0EEEvSR_.num_vgpr, 15
	.set _ZN7rocprim17ROCPRIM_400000_NS6detail17trampoline_kernelINS0_14default_configENS1_32segmented_reduce_config_selectorIN3c108BFloat16EEEZNS1_21segmented_reduce_implIS3_PKS6_PS6_PKlS6_N6hipcub16HIPCUB_304000_NS6detail27convert_result_type_wrapperISA_SB_N2at6native12_GLOBAL__N_110CustomProdEEEEE10hipError_tPvRmT0_T1_jT2_SS_T4_T3_P12ihipStream_tbEUlT_E_NS1_11comp_targetILNS1_3genE8ELNS1_11target_archE1030ELNS1_3gpuE2ELNS1_3repE0EEENS1_30default_config_static_selectorELNS0_4arch9wavefront6targetE0EEEvSR_.num_agpr, 0
	.set _ZN7rocprim17ROCPRIM_400000_NS6detail17trampoline_kernelINS0_14default_configENS1_32segmented_reduce_config_selectorIN3c108BFloat16EEEZNS1_21segmented_reduce_implIS3_PKS6_PS6_PKlS6_N6hipcub16HIPCUB_304000_NS6detail27convert_result_type_wrapperISA_SB_N2at6native12_GLOBAL__N_110CustomProdEEEEE10hipError_tPvRmT0_T1_jT2_SS_T4_T3_P12ihipStream_tbEUlT_E_NS1_11comp_targetILNS1_3genE8ELNS1_11target_archE1030ELNS1_3gpuE2ELNS1_3repE0EEENS1_30default_config_static_selectorELNS0_4arch9wavefront6targetE0EEEvSR_.numbered_sgpr, 24
	.set _ZN7rocprim17ROCPRIM_400000_NS6detail17trampoline_kernelINS0_14default_configENS1_32segmented_reduce_config_selectorIN3c108BFloat16EEEZNS1_21segmented_reduce_implIS3_PKS6_PS6_PKlS6_N6hipcub16HIPCUB_304000_NS6detail27convert_result_type_wrapperISA_SB_N2at6native12_GLOBAL__N_110CustomProdEEEEE10hipError_tPvRmT0_T1_jT2_SS_T4_T3_P12ihipStream_tbEUlT_E_NS1_11comp_targetILNS1_3genE8ELNS1_11target_archE1030ELNS1_3gpuE2ELNS1_3repE0EEENS1_30default_config_static_selectorELNS0_4arch9wavefront6targetE0EEEvSR_.num_named_barrier, 0
	.set _ZN7rocprim17ROCPRIM_400000_NS6detail17trampoline_kernelINS0_14default_configENS1_32segmented_reduce_config_selectorIN3c108BFloat16EEEZNS1_21segmented_reduce_implIS3_PKS6_PS6_PKlS6_N6hipcub16HIPCUB_304000_NS6detail27convert_result_type_wrapperISA_SB_N2at6native12_GLOBAL__N_110CustomProdEEEEE10hipError_tPvRmT0_T1_jT2_SS_T4_T3_P12ihipStream_tbEUlT_E_NS1_11comp_targetILNS1_3genE8ELNS1_11target_archE1030ELNS1_3gpuE2ELNS1_3repE0EEENS1_30default_config_static_selectorELNS0_4arch9wavefront6targetE0EEEvSR_.private_seg_size, 0
	.set _ZN7rocprim17ROCPRIM_400000_NS6detail17trampoline_kernelINS0_14default_configENS1_32segmented_reduce_config_selectorIN3c108BFloat16EEEZNS1_21segmented_reduce_implIS3_PKS6_PS6_PKlS6_N6hipcub16HIPCUB_304000_NS6detail27convert_result_type_wrapperISA_SB_N2at6native12_GLOBAL__N_110CustomProdEEEEE10hipError_tPvRmT0_T1_jT2_SS_T4_T3_P12ihipStream_tbEUlT_E_NS1_11comp_targetILNS1_3genE8ELNS1_11target_archE1030ELNS1_3gpuE2ELNS1_3repE0EEENS1_30default_config_static_selectorELNS0_4arch9wavefront6targetE0EEEvSR_.uses_vcc, 1
	.set _ZN7rocprim17ROCPRIM_400000_NS6detail17trampoline_kernelINS0_14default_configENS1_32segmented_reduce_config_selectorIN3c108BFloat16EEEZNS1_21segmented_reduce_implIS3_PKS6_PS6_PKlS6_N6hipcub16HIPCUB_304000_NS6detail27convert_result_type_wrapperISA_SB_N2at6native12_GLOBAL__N_110CustomProdEEEEE10hipError_tPvRmT0_T1_jT2_SS_T4_T3_P12ihipStream_tbEUlT_E_NS1_11comp_targetILNS1_3genE8ELNS1_11target_archE1030ELNS1_3gpuE2ELNS1_3repE0EEENS1_30default_config_static_selectorELNS0_4arch9wavefront6targetE0EEEvSR_.uses_flat_scratch, 0
	.set _ZN7rocprim17ROCPRIM_400000_NS6detail17trampoline_kernelINS0_14default_configENS1_32segmented_reduce_config_selectorIN3c108BFloat16EEEZNS1_21segmented_reduce_implIS3_PKS6_PS6_PKlS6_N6hipcub16HIPCUB_304000_NS6detail27convert_result_type_wrapperISA_SB_N2at6native12_GLOBAL__N_110CustomProdEEEEE10hipError_tPvRmT0_T1_jT2_SS_T4_T3_P12ihipStream_tbEUlT_E_NS1_11comp_targetILNS1_3genE8ELNS1_11target_archE1030ELNS1_3gpuE2ELNS1_3repE0EEENS1_30default_config_static_selectorELNS0_4arch9wavefront6targetE0EEEvSR_.has_dyn_sized_stack, 0
	.set _ZN7rocprim17ROCPRIM_400000_NS6detail17trampoline_kernelINS0_14default_configENS1_32segmented_reduce_config_selectorIN3c108BFloat16EEEZNS1_21segmented_reduce_implIS3_PKS6_PS6_PKlS6_N6hipcub16HIPCUB_304000_NS6detail27convert_result_type_wrapperISA_SB_N2at6native12_GLOBAL__N_110CustomProdEEEEE10hipError_tPvRmT0_T1_jT2_SS_T4_T3_P12ihipStream_tbEUlT_E_NS1_11comp_targetILNS1_3genE8ELNS1_11target_archE1030ELNS1_3gpuE2ELNS1_3repE0EEENS1_30default_config_static_selectorELNS0_4arch9wavefront6targetE0EEEvSR_.has_recursion, 0
	.set _ZN7rocprim17ROCPRIM_400000_NS6detail17trampoline_kernelINS0_14default_configENS1_32segmented_reduce_config_selectorIN3c108BFloat16EEEZNS1_21segmented_reduce_implIS3_PKS6_PS6_PKlS6_N6hipcub16HIPCUB_304000_NS6detail27convert_result_type_wrapperISA_SB_N2at6native12_GLOBAL__N_110CustomProdEEEEE10hipError_tPvRmT0_T1_jT2_SS_T4_T3_P12ihipStream_tbEUlT_E_NS1_11comp_targetILNS1_3genE8ELNS1_11target_archE1030ELNS1_3gpuE2ELNS1_3repE0EEENS1_30default_config_static_selectorELNS0_4arch9wavefront6targetE0EEEvSR_.has_indirect_call, 0
	.section	.AMDGPU.csdata,"",@progbits
; Kernel info:
; codeLenInByte = 4972
; TotalNumSgprs: 26
; NumVgprs: 15
; ScratchSize: 0
; MemoryBound: 0
; FloatMode: 240
; IeeeMode: 1
; LDSByteSize: 16 bytes/workgroup (compile time only)
; SGPRBlocks: 0
; VGPRBlocks: 1
; NumSGPRsForWavesPerEU: 26
; NumVGPRsForWavesPerEU: 15
; Occupancy: 16
; WaveLimiterHint : 1
; COMPUTE_PGM_RSRC2:SCRATCH_EN: 0
; COMPUTE_PGM_RSRC2:USER_SGPR: 6
; COMPUTE_PGM_RSRC2:TRAP_HANDLER: 0
; COMPUTE_PGM_RSRC2:TGID_X_EN: 1
; COMPUTE_PGM_RSRC2:TGID_Y_EN: 0
; COMPUTE_PGM_RSRC2:TGID_Z_EN: 0
; COMPUTE_PGM_RSRC2:TIDIG_COMP_CNT: 0
	.section	.AMDGPU.gpr_maximums,"",@progbits
	.set amdgpu.max_num_vgpr, 0
	.set amdgpu.max_num_agpr, 0
	.set amdgpu.max_num_sgpr, 0
	.section	.AMDGPU.csdata,"",@progbits
	.type	__hip_cuid_2aefc746d661d5ce,@object ; @__hip_cuid_2aefc746d661d5ce
	.section	.bss,"aw",@nobits
	.globl	__hip_cuid_2aefc746d661d5ce
__hip_cuid_2aefc746d661d5ce:
	.byte	0                               ; 0x0
	.size	__hip_cuid_2aefc746d661d5ce, 1

	.ident	"AMD clang version 22.0.0git (https://github.com/RadeonOpenCompute/llvm-project roc-7.2.4 26084 f58b06dce1f9c15707c5f808fd002e18c2accf7e)"
	.section	".note.GNU-stack","",@progbits
	.addrsig
	.addrsig_sym __hip_cuid_2aefc746d661d5ce
	.amdgpu_metadata
---
amdhsa.kernels:
  - .args:
      - .offset:         0
        .size:           4
        .value_kind:     by_value
      - .address_space:  global
        .offset:         8
        .size:           8
        .value_kind:     global_buffer
      - .address_space:  global
        .offset:         16
        .size:           8
        .value_kind:     global_buffer
      - .address_space:  global
        .offset:         24
        .size:           8
        .value_kind:     global_buffer
      - .address_space:  global
        .offset:         32
        .size:           8
        .value_kind:     global_buffer
      - .address_space:  global
        .offset:         40
        .size:           8
        .value_kind:     global_buffer
      - .address_space:  global
        .offset:         48
        .size:           8
        .value_kind:     global_buffer
      - .offset:         56
        .size:           8
        .value_kind:     by_value
      - .offset:         64
        .size:           8
        .value_kind:     by_value
      - .offset:         72
        .size:           8
        .value_kind:     by_value
      - .offset:         80
        .size:           8
        .value_kind:     by_value
      - .offset:         88
        .size:           8
        .value_kind:     by_value
      - .offset:         96
        .size:           8
        .value_kind:     by_value
      - .offset:         104
        .size:           8
        .value_kind:     by_value
      - .offset:         112
        .size:           8
        .value_kind:     by_value
      - .offset:         120
        .size:           8
        .value_kind:     by_value
      - .offset:         128
        .size:           8
        .value_kind:     by_value
      - .offset:         136
        .size:           4
        .value_kind:     hidden_block_count_x
      - .offset:         140
        .size:           4
        .value_kind:     hidden_block_count_y
      - .offset:         144
        .size:           4
        .value_kind:     hidden_block_count_z
      - .offset:         148
        .size:           2
        .value_kind:     hidden_group_size_x
      - .offset:         150
        .size:           2
        .value_kind:     hidden_group_size_y
      - .offset:         152
        .size:           2
        .value_kind:     hidden_group_size_z
      - .offset:         154
        .size:           2
        .value_kind:     hidden_remainder_x
      - .offset:         156
        .size:           2
        .value_kind:     hidden_remainder_y
      - .offset:         158
        .size:           2
        .value_kind:     hidden_remainder_z
      - .offset:         176
        .size:           8
        .value_kind:     hidden_global_offset_x
      - .offset:         184
        .size:           8
        .value_kind:     hidden_global_offset_y
      - .offset:         192
        .size:           8
        .value_kind:     hidden_global_offset_z
      - .offset:         200
        .size:           2
        .value_kind:     hidden_grid_dims
    .group_segment_fixed_size: 0
    .kernarg_segment_align: 8
    .kernarg_segment_size: 392
    .language:       OpenCL C
    .language_version:
      - 2
      - 0
    .max_flat_workgroup_size: 1024
    .name:           _ZN2at6native12_GLOBAL__N_130segment_reduce_backward_kernelIdiEEvNS0_13ReductionTypeEPT_PKS4_S7_S7_PKT0_SA_llS4_lllllll
    .private_segment_fixed_size: 0
    .sgpr_count:     54
    .sgpr_spill_count: 0
    .symbol:         _ZN2at6native12_GLOBAL__N_130segment_reduce_backward_kernelIdiEEvNS0_13ReductionTypeEPT_PKS4_S7_S7_PKT0_SA_llS4_lllllll.kd
    .uniform_work_group_size: 1
    .uses_dynamic_stack: false
    .vgpr_count:     37
    .vgpr_spill_count: 0
    .wavefront_size: 32
    .workgroup_processor_mode: 1
  - .args:
      - .offset:         0
        .size:           4
        .value_kind:     by_value
      - .address_space:  global
        .offset:         8
        .size:           8
        .value_kind:     global_buffer
      - .address_space:  global
        .offset:         16
        .size:           8
        .value_kind:     global_buffer
      - .address_space:  global
        .offset:         24
        .size:           8
        .value_kind:     global_buffer
      - .address_space:  global
        .offset:         32
        .size:           8
        .value_kind:     global_buffer
      - .address_space:  global
        .offset:         40
        .size:           8
        .value_kind:     global_buffer
      - .address_space:  global
        .offset:         48
        .size:           8
        .value_kind:     global_buffer
      - .offset:         56
        .size:           8
        .value_kind:     by_value
      - .offset:         64
        .size:           8
        .value_kind:     by_value
      - .offset:         72
        .size:           4
        .value_kind:     by_value
      - .offset:         80
        .size:           8
        .value_kind:     by_value
      - .offset:         88
        .size:           8
        .value_kind:     by_value
      - .offset:         96
        .size:           8
        .value_kind:     by_value
      - .offset:         104
        .size:           8
        .value_kind:     by_value
      - .offset:         112
        .size:           8
        .value_kind:     by_value
      - .offset:         120
        .size:           8
        .value_kind:     by_value
      - .offset:         128
        .size:           8
        .value_kind:     by_value
      - .offset:         136
        .size:           4
        .value_kind:     hidden_block_count_x
      - .offset:         140
        .size:           4
        .value_kind:     hidden_block_count_y
      - .offset:         144
        .size:           4
        .value_kind:     hidden_block_count_z
      - .offset:         148
        .size:           2
        .value_kind:     hidden_group_size_x
      - .offset:         150
        .size:           2
        .value_kind:     hidden_group_size_y
      - .offset:         152
        .size:           2
        .value_kind:     hidden_group_size_z
      - .offset:         154
        .size:           2
        .value_kind:     hidden_remainder_x
      - .offset:         156
        .size:           2
        .value_kind:     hidden_remainder_y
      - .offset:         158
        .size:           2
        .value_kind:     hidden_remainder_z
      - .offset:         176
        .size:           8
        .value_kind:     hidden_global_offset_x
      - .offset:         184
        .size:           8
        .value_kind:     hidden_global_offset_y
      - .offset:         192
        .size:           8
        .value_kind:     hidden_global_offset_z
      - .offset:         200
        .size:           2
        .value_kind:     hidden_grid_dims
    .group_segment_fixed_size: 0
    .kernarg_segment_align: 8
    .kernarg_segment_size: 392
    .language:       OpenCL C
    .language_version:
      - 2
      - 0
    .max_flat_workgroup_size: 1024
    .name:           _ZN2at6native12_GLOBAL__N_130segment_reduce_backward_kernelIfiEEvNS0_13ReductionTypeEPT_PKS4_S7_S7_PKT0_SA_llS4_lllllll
    .private_segment_fixed_size: 0
    .sgpr_count:     46
    .sgpr_spill_count: 0
    .symbol:         _ZN2at6native12_GLOBAL__N_130segment_reduce_backward_kernelIfiEEvNS0_13ReductionTypeEPT_PKS4_S7_S7_PKT0_SA_llS4_lllllll.kd
    .uniform_work_group_size: 1
    .uses_dynamic_stack: false
    .vgpr_count:     32
    .vgpr_spill_count: 0
    .wavefront_size: 32
    .workgroup_processor_mode: 1
  - .args:
      - .offset:         0
        .size:           4
        .value_kind:     by_value
      - .address_space:  global
        .offset:         8
        .size:           8
        .value_kind:     global_buffer
      - .address_space:  global
        .offset:         16
        .size:           8
        .value_kind:     global_buffer
      - .address_space:  global
        .offset:         24
        .size:           8
        .value_kind:     global_buffer
      - .address_space:  global
        .offset:         32
        .size:           8
        .value_kind:     global_buffer
      - .address_space:  global
        .offset:         40
        .size:           8
        .value_kind:     global_buffer
      - .address_space:  global
        .offset:         48
        .size:           8
        .value_kind:     global_buffer
      - .offset:         56
        .size:           8
        .value_kind:     by_value
      - .offset:         64
        .size:           8
        .value_kind:     by_value
      - .offset:         72
        .size:           2
        .value_kind:     by_value
      - .offset:         80
        .size:           8
        .value_kind:     by_value
      - .offset:         88
        .size:           8
        .value_kind:     by_value
      - .offset:         96
        .size:           8
        .value_kind:     by_value
      - .offset:         104
        .size:           8
        .value_kind:     by_value
      - .offset:         112
        .size:           8
        .value_kind:     by_value
      - .offset:         120
        .size:           8
        .value_kind:     by_value
      - .offset:         128
        .size:           8
        .value_kind:     by_value
      - .offset:         136
        .size:           4
        .value_kind:     hidden_block_count_x
      - .offset:         140
        .size:           4
        .value_kind:     hidden_block_count_y
      - .offset:         144
        .size:           4
        .value_kind:     hidden_block_count_z
      - .offset:         148
        .size:           2
        .value_kind:     hidden_group_size_x
      - .offset:         150
        .size:           2
        .value_kind:     hidden_group_size_y
      - .offset:         152
        .size:           2
        .value_kind:     hidden_group_size_z
      - .offset:         154
        .size:           2
        .value_kind:     hidden_remainder_x
      - .offset:         156
        .size:           2
        .value_kind:     hidden_remainder_y
      - .offset:         158
        .size:           2
        .value_kind:     hidden_remainder_z
      - .offset:         176
        .size:           8
        .value_kind:     hidden_global_offset_x
      - .offset:         184
        .size:           8
        .value_kind:     hidden_global_offset_y
      - .offset:         192
        .size:           8
        .value_kind:     hidden_global_offset_z
      - .offset:         200
        .size:           2
        .value_kind:     hidden_grid_dims
    .group_segment_fixed_size: 0
    .kernarg_segment_align: 8
    .kernarg_segment_size: 392
    .language:       OpenCL C
    .language_version:
      - 2
      - 0
    .max_flat_workgroup_size: 1024
    .name:           _ZN2at6native12_GLOBAL__N_130segment_reduce_backward_kernelIN3c108BFloat16EiEEvNS0_13ReductionTypeEPT_PKS6_S9_S9_PKT0_SC_llS6_lllllll
    .private_segment_fixed_size: 0
    .sgpr_count:     46
    .sgpr_spill_count: 0
    .symbol:         _ZN2at6native12_GLOBAL__N_130segment_reduce_backward_kernelIN3c108BFloat16EiEEvNS0_13ReductionTypeEPT_PKS6_S9_S9_PKT0_SC_llS6_lllllll.kd
    .uniform_work_group_size: 1
    .uses_dynamic_stack: false
    .vgpr_count:     35
    .vgpr_spill_count: 0
    .wavefront_size: 32
    .workgroup_processor_mode: 1
  - .args:
      - .offset:         0
        .size:           4
        .value_kind:     by_value
      - .address_space:  global
        .offset:         8
        .size:           8
        .value_kind:     global_buffer
      - .address_space:  global
        .offset:         16
        .size:           8
        .value_kind:     global_buffer
      - .address_space:  global
        .offset:         24
        .size:           8
        .value_kind:     global_buffer
      - .address_space:  global
        .offset:         32
        .size:           8
        .value_kind:     global_buffer
      - .address_space:  global
        .offset:         40
        .size:           8
        .value_kind:     global_buffer
      - .address_space:  global
        .offset:         48
        .size:           8
        .value_kind:     global_buffer
      - .offset:         56
        .size:           8
        .value_kind:     by_value
      - .offset:         64
        .size:           8
        .value_kind:     by_value
      - .offset:         72
        .size:           2
        .value_kind:     by_value
      - .offset:         80
        .size:           8
        .value_kind:     by_value
      - .offset:         88
        .size:           8
        .value_kind:     by_value
      - .offset:         96
        .size:           8
        .value_kind:     by_value
      - .offset:         104
        .size:           8
        .value_kind:     by_value
      - .offset:         112
        .size:           8
        .value_kind:     by_value
      - .offset:         120
        .size:           8
        .value_kind:     by_value
      - .offset:         128
        .size:           8
        .value_kind:     by_value
      - .offset:         136
        .size:           4
        .value_kind:     hidden_block_count_x
      - .offset:         140
        .size:           4
        .value_kind:     hidden_block_count_y
      - .offset:         144
        .size:           4
        .value_kind:     hidden_block_count_z
      - .offset:         148
        .size:           2
        .value_kind:     hidden_group_size_x
      - .offset:         150
        .size:           2
        .value_kind:     hidden_group_size_y
      - .offset:         152
        .size:           2
        .value_kind:     hidden_group_size_z
      - .offset:         154
        .size:           2
        .value_kind:     hidden_remainder_x
      - .offset:         156
        .size:           2
        .value_kind:     hidden_remainder_y
      - .offset:         158
        .size:           2
        .value_kind:     hidden_remainder_z
      - .offset:         176
        .size:           8
        .value_kind:     hidden_global_offset_x
      - .offset:         184
        .size:           8
        .value_kind:     hidden_global_offset_y
      - .offset:         192
        .size:           8
        .value_kind:     hidden_global_offset_z
      - .offset:         200
        .size:           2
        .value_kind:     hidden_grid_dims
    .group_segment_fixed_size: 0
    .kernarg_segment_align: 8
    .kernarg_segment_size: 392
    .language:       OpenCL C
    .language_version:
      - 2
      - 0
    .max_flat_workgroup_size: 1024
    .name:           _ZN2at6native12_GLOBAL__N_130segment_reduce_backward_kernelIN3c104HalfEiEEvNS0_13ReductionTypeEPT_PKS6_S9_S9_PKT0_SC_llS6_lllllll
    .private_segment_fixed_size: 0
    .sgpr_count:     46
    .sgpr_spill_count: 0
    .symbol:         _ZN2at6native12_GLOBAL__N_130segment_reduce_backward_kernelIN3c104HalfEiEEvNS0_13ReductionTypeEPT_PKS6_S9_S9_PKT0_SC_llS6_lllllll.kd
    .uniform_work_group_size: 1
    .uses_dynamic_stack: false
    .vgpr_count:     35
    .vgpr_spill_count: 0
    .wavefront_size: 32
    .workgroup_processor_mode: 1
  - .args:
      - .offset:         0
        .size:           4
        .value_kind:     by_value
      - .address_space:  global
        .offset:         8
        .size:           8
        .value_kind:     global_buffer
      - .address_space:  global
        .offset:         16
        .size:           8
        .value_kind:     global_buffer
      - .address_space:  global
        .offset:         24
        .size:           8
        .value_kind:     global_buffer
      - .address_space:  global
        .offset:         32
        .size:           8
        .value_kind:     global_buffer
      - .address_space:  global
        .offset:         40
        .size:           8
        .value_kind:     global_buffer
      - .address_space:  global
        .offset:         48
        .size:           8
        .value_kind:     global_buffer
      - .offset:         56
        .size:           8
        .value_kind:     by_value
      - .offset:         64
        .size:           8
        .value_kind:     by_value
      - .offset:         72
        .size:           8
        .value_kind:     by_value
      - .offset:         80
        .size:           8
        .value_kind:     by_value
      - .offset:         88
        .size:           8
        .value_kind:     by_value
      - .offset:         96
        .size:           8
        .value_kind:     by_value
      - .offset:         104
        .size:           8
        .value_kind:     by_value
      - .offset:         112
        .size:           8
        .value_kind:     by_value
      - .offset:         120
        .size:           8
        .value_kind:     by_value
      - .offset:         128
        .size:           8
        .value_kind:     by_value
      - .offset:         136
        .size:           4
        .value_kind:     hidden_block_count_x
      - .offset:         140
        .size:           4
        .value_kind:     hidden_block_count_y
      - .offset:         144
        .size:           4
        .value_kind:     hidden_block_count_z
      - .offset:         148
        .size:           2
        .value_kind:     hidden_group_size_x
      - .offset:         150
        .size:           2
        .value_kind:     hidden_group_size_y
      - .offset:         152
        .size:           2
        .value_kind:     hidden_group_size_z
      - .offset:         154
        .size:           2
        .value_kind:     hidden_remainder_x
      - .offset:         156
        .size:           2
        .value_kind:     hidden_remainder_y
      - .offset:         158
        .size:           2
        .value_kind:     hidden_remainder_z
      - .offset:         176
        .size:           8
        .value_kind:     hidden_global_offset_x
      - .offset:         184
        .size:           8
        .value_kind:     hidden_global_offset_y
      - .offset:         192
        .size:           8
        .value_kind:     hidden_global_offset_z
      - .offset:         200
        .size:           2
        .value_kind:     hidden_grid_dims
    .group_segment_fixed_size: 0
    .kernarg_segment_align: 8
    .kernarg_segment_size: 392
    .language:       OpenCL C
    .language_version:
      - 2
      - 0
    .max_flat_workgroup_size: 1024
    .name:           _ZN2at6native12_GLOBAL__N_130segment_reduce_backward_kernelIdlEEvNS0_13ReductionTypeEPT_PKS4_S7_S7_PKT0_SA_llS4_lllllll
    .private_segment_fixed_size: 0
    .sgpr_count:     54
    .sgpr_spill_count: 0
    .symbol:         _ZN2at6native12_GLOBAL__N_130segment_reduce_backward_kernelIdlEEvNS0_13ReductionTypeEPT_PKS4_S7_S7_PKT0_SA_llS4_lllllll.kd
    .uniform_work_group_size: 1
    .uses_dynamic_stack: false
    .vgpr_count:     36
    .vgpr_spill_count: 0
    .wavefront_size: 32
    .workgroup_processor_mode: 1
  - .args:
      - .offset:         0
        .size:           4
        .value_kind:     by_value
      - .address_space:  global
        .offset:         8
        .size:           8
        .value_kind:     global_buffer
      - .address_space:  global
        .offset:         16
        .size:           8
        .value_kind:     global_buffer
      - .address_space:  global
        .offset:         24
        .size:           8
        .value_kind:     global_buffer
      - .address_space:  global
        .offset:         32
        .size:           8
        .value_kind:     global_buffer
      - .address_space:  global
        .offset:         40
        .size:           8
        .value_kind:     global_buffer
      - .address_space:  global
        .offset:         48
        .size:           8
        .value_kind:     global_buffer
      - .offset:         56
        .size:           8
        .value_kind:     by_value
      - .offset:         64
        .size:           8
        .value_kind:     by_value
      - .offset:         72
        .size:           4
        .value_kind:     by_value
      - .offset:         80
        .size:           8
        .value_kind:     by_value
      - .offset:         88
        .size:           8
        .value_kind:     by_value
      - .offset:         96
        .size:           8
        .value_kind:     by_value
      - .offset:         104
        .size:           8
        .value_kind:     by_value
      - .offset:         112
        .size:           8
        .value_kind:     by_value
      - .offset:         120
        .size:           8
        .value_kind:     by_value
      - .offset:         128
        .size:           8
        .value_kind:     by_value
      - .offset:         136
        .size:           4
        .value_kind:     hidden_block_count_x
      - .offset:         140
        .size:           4
        .value_kind:     hidden_block_count_y
      - .offset:         144
        .size:           4
        .value_kind:     hidden_block_count_z
      - .offset:         148
        .size:           2
        .value_kind:     hidden_group_size_x
      - .offset:         150
        .size:           2
        .value_kind:     hidden_group_size_y
      - .offset:         152
        .size:           2
        .value_kind:     hidden_group_size_z
      - .offset:         154
        .size:           2
        .value_kind:     hidden_remainder_x
      - .offset:         156
        .size:           2
        .value_kind:     hidden_remainder_y
      - .offset:         158
        .size:           2
        .value_kind:     hidden_remainder_z
      - .offset:         176
        .size:           8
        .value_kind:     hidden_global_offset_x
      - .offset:         184
        .size:           8
        .value_kind:     hidden_global_offset_y
      - .offset:         192
        .size:           8
        .value_kind:     hidden_global_offset_z
      - .offset:         200
        .size:           2
        .value_kind:     hidden_grid_dims
    .group_segment_fixed_size: 0
    .kernarg_segment_align: 8
    .kernarg_segment_size: 392
    .language:       OpenCL C
    .language_version:
      - 2
      - 0
    .max_flat_workgroup_size: 1024
    .name:           _ZN2at6native12_GLOBAL__N_130segment_reduce_backward_kernelIflEEvNS0_13ReductionTypeEPT_PKS4_S7_S7_PKT0_SA_llS4_lllllll
    .private_segment_fixed_size: 0
    .sgpr_count:     46
    .sgpr_spill_count: 0
    .symbol:         _ZN2at6native12_GLOBAL__N_130segment_reduce_backward_kernelIflEEvNS0_13ReductionTypeEPT_PKS4_S7_S7_PKT0_SA_llS4_lllllll.kd
    .uniform_work_group_size: 1
    .uses_dynamic_stack: false
    .vgpr_count:     31
    .vgpr_spill_count: 0
    .wavefront_size: 32
    .workgroup_processor_mode: 1
  - .args:
      - .offset:         0
        .size:           4
        .value_kind:     by_value
      - .address_space:  global
        .offset:         8
        .size:           8
        .value_kind:     global_buffer
      - .address_space:  global
        .offset:         16
        .size:           8
        .value_kind:     global_buffer
      - .address_space:  global
        .offset:         24
        .size:           8
        .value_kind:     global_buffer
      - .address_space:  global
        .offset:         32
        .size:           8
        .value_kind:     global_buffer
      - .address_space:  global
        .offset:         40
        .size:           8
        .value_kind:     global_buffer
      - .address_space:  global
        .offset:         48
        .size:           8
        .value_kind:     global_buffer
      - .offset:         56
        .size:           8
        .value_kind:     by_value
      - .offset:         64
        .size:           8
        .value_kind:     by_value
      - .offset:         72
        .size:           2
        .value_kind:     by_value
      - .offset:         80
        .size:           8
        .value_kind:     by_value
      - .offset:         88
        .size:           8
        .value_kind:     by_value
      - .offset:         96
        .size:           8
        .value_kind:     by_value
      - .offset:         104
        .size:           8
        .value_kind:     by_value
      - .offset:         112
        .size:           8
        .value_kind:     by_value
      - .offset:         120
        .size:           8
        .value_kind:     by_value
      - .offset:         128
        .size:           8
        .value_kind:     by_value
      - .offset:         136
        .size:           4
        .value_kind:     hidden_block_count_x
      - .offset:         140
        .size:           4
        .value_kind:     hidden_block_count_y
      - .offset:         144
        .size:           4
        .value_kind:     hidden_block_count_z
      - .offset:         148
        .size:           2
        .value_kind:     hidden_group_size_x
      - .offset:         150
        .size:           2
        .value_kind:     hidden_group_size_y
      - .offset:         152
        .size:           2
        .value_kind:     hidden_group_size_z
      - .offset:         154
        .size:           2
        .value_kind:     hidden_remainder_x
      - .offset:         156
        .size:           2
        .value_kind:     hidden_remainder_y
      - .offset:         158
        .size:           2
        .value_kind:     hidden_remainder_z
      - .offset:         176
        .size:           8
        .value_kind:     hidden_global_offset_x
      - .offset:         184
        .size:           8
        .value_kind:     hidden_global_offset_y
      - .offset:         192
        .size:           8
        .value_kind:     hidden_global_offset_z
      - .offset:         200
        .size:           2
        .value_kind:     hidden_grid_dims
    .group_segment_fixed_size: 0
    .kernarg_segment_align: 8
    .kernarg_segment_size: 392
    .language:       OpenCL C
    .language_version:
      - 2
      - 0
    .max_flat_workgroup_size: 1024
    .name:           _ZN2at6native12_GLOBAL__N_130segment_reduce_backward_kernelIN3c108BFloat16ElEEvNS0_13ReductionTypeEPT_PKS6_S9_S9_PKT0_SC_llS6_lllllll
    .private_segment_fixed_size: 0
    .sgpr_count:     46
    .sgpr_spill_count: 0
    .symbol:         _ZN2at6native12_GLOBAL__N_130segment_reduce_backward_kernelIN3c108BFloat16ElEEvNS0_13ReductionTypeEPT_PKS6_S9_S9_PKT0_SC_llS6_lllllll.kd
    .uniform_work_group_size: 1
    .uses_dynamic_stack: false
    .vgpr_count:     34
    .vgpr_spill_count: 0
    .wavefront_size: 32
    .workgroup_processor_mode: 1
  - .args:
      - .offset:         0
        .size:           4
        .value_kind:     by_value
      - .address_space:  global
        .offset:         8
        .size:           8
        .value_kind:     global_buffer
      - .address_space:  global
        .offset:         16
        .size:           8
        .value_kind:     global_buffer
      - .address_space:  global
        .offset:         24
        .size:           8
        .value_kind:     global_buffer
      - .address_space:  global
        .offset:         32
        .size:           8
        .value_kind:     global_buffer
      - .address_space:  global
        .offset:         40
        .size:           8
        .value_kind:     global_buffer
      - .address_space:  global
        .offset:         48
        .size:           8
        .value_kind:     global_buffer
      - .offset:         56
        .size:           8
        .value_kind:     by_value
      - .offset:         64
        .size:           8
        .value_kind:     by_value
      - .offset:         72
        .size:           2
        .value_kind:     by_value
      - .offset:         80
        .size:           8
        .value_kind:     by_value
      - .offset:         88
        .size:           8
        .value_kind:     by_value
      - .offset:         96
        .size:           8
        .value_kind:     by_value
      - .offset:         104
        .size:           8
        .value_kind:     by_value
      - .offset:         112
        .size:           8
        .value_kind:     by_value
      - .offset:         120
        .size:           8
        .value_kind:     by_value
      - .offset:         128
        .size:           8
        .value_kind:     by_value
      - .offset:         136
        .size:           4
        .value_kind:     hidden_block_count_x
      - .offset:         140
        .size:           4
        .value_kind:     hidden_block_count_y
      - .offset:         144
        .size:           4
        .value_kind:     hidden_block_count_z
      - .offset:         148
        .size:           2
        .value_kind:     hidden_group_size_x
      - .offset:         150
        .size:           2
        .value_kind:     hidden_group_size_y
      - .offset:         152
        .size:           2
        .value_kind:     hidden_group_size_z
      - .offset:         154
        .size:           2
        .value_kind:     hidden_remainder_x
      - .offset:         156
        .size:           2
        .value_kind:     hidden_remainder_y
      - .offset:         158
        .size:           2
        .value_kind:     hidden_remainder_z
      - .offset:         176
        .size:           8
        .value_kind:     hidden_global_offset_x
      - .offset:         184
        .size:           8
        .value_kind:     hidden_global_offset_y
      - .offset:         192
        .size:           8
        .value_kind:     hidden_global_offset_z
      - .offset:         200
        .size:           2
        .value_kind:     hidden_grid_dims
    .group_segment_fixed_size: 0
    .kernarg_segment_align: 8
    .kernarg_segment_size: 392
    .language:       OpenCL C
    .language_version:
      - 2
      - 0
    .max_flat_workgroup_size: 1024
    .name:           _ZN2at6native12_GLOBAL__N_130segment_reduce_backward_kernelIN3c104HalfElEEvNS0_13ReductionTypeEPT_PKS6_S9_S9_PKT0_SC_llS6_lllllll
    .private_segment_fixed_size: 0
    .sgpr_count:     46
    .sgpr_spill_count: 0
    .symbol:         _ZN2at6native12_GLOBAL__N_130segment_reduce_backward_kernelIN3c104HalfElEEvNS0_13ReductionTypeEPT_PKS6_S9_S9_PKT0_SC_llS6_lllllll.kd
    .uniform_work_group_size: 1
    .uses_dynamic_stack: false
    .vgpr_count:     34
    .vgpr_spill_count: 0
    .wavefront_size: 32
    .workgroup_processor_mode: 1
  - .args:
      - .offset:         0
        .size:           4
        .value_kind:     by_value
      - .address_space:  global
        .offset:         8
        .size:           8
        .value_kind:     global_buffer
      - .address_space:  global
        .offset:         16
        .size:           8
        .value_kind:     global_buffer
      - .address_space:  global
        .offset:         24
        .size:           8
        .value_kind:     global_buffer
      - .address_space:  global
        .offset:         32
        .size:           8
        .value_kind:     global_buffer
      - .offset:         40
        .size:           8
        .value_kind:     by_value
      - .offset:         48
        .size:           8
        .value_kind:     by_value
      - .offset:         56
        .size:           1
        .value_kind:     by_value
      - .offset:         64
        .size:           8
        .value_kind:     by_value
      - .offset:         72
        .size:           8
        .value_kind:     by_value
      - .offset:         80
        .size:           8
        .value_kind:     by_value
      - .offset:         88
        .size:           8
        .value_kind:     by_value
      - .offset:         96
        .size:           8
        .value_kind:     by_value
      - .offset:         104
        .size:           8
        .value_kind:     by_value
      - .offset:         112
        .size:           8
        .value_kind:     by_value
      - .offset:         120
        .size:           8
        .value_kind:     by_value
      - .offset:         128
        .size:           4
        .value_kind:     hidden_block_count_x
      - .offset:         132
        .size:           4
        .value_kind:     hidden_block_count_y
      - .offset:         136
        .size:           4
        .value_kind:     hidden_block_count_z
      - .offset:         140
        .size:           2
        .value_kind:     hidden_group_size_x
      - .offset:         142
        .size:           2
        .value_kind:     hidden_group_size_y
      - .offset:         144
        .size:           2
        .value_kind:     hidden_group_size_z
      - .offset:         146
        .size:           2
        .value_kind:     hidden_remainder_x
      - .offset:         148
        .size:           2
        .value_kind:     hidden_remainder_y
      - .offset:         150
        .size:           2
        .value_kind:     hidden_remainder_z
      - .offset:         168
        .size:           8
        .value_kind:     hidden_global_offset_x
      - .offset:         176
        .size:           8
        .value_kind:     hidden_global_offset_y
      - .offset:         184
        .size:           8
        .value_kind:     hidden_global_offset_z
      - .offset:         192
        .size:           2
        .value_kind:     hidden_grid_dims
    .group_segment_fixed_size: 0
    .kernarg_segment_align: 8
    .kernarg_segment_size: 384
    .language:       OpenCL C
    .language_version:
      - 2
      - 0
    .max_flat_workgroup_size: 1024
    .name:           _ZN2at6native12_GLOBAL__N_129segment_reduce_forward_kernelIdiEEvNS0_13ReductionTypeEPT_PKS4_PKT0_SA_llbS4_lllllll
    .private_segment_fixed_size: 0
    .sgpr_count:     46
    .sgpr_spill_count: 0
    .symbol:         _ZN2at6native12_GLOBAL__N_129segment_reduce_forward_kernelIdiEEvNS0_13ReductionTypeEPT_PKS4_PKT0_SA_llbS4_lllllll.kd
    .uniform_work_group_size: 1
    .uses_dynamic_stack: false
    .vgpr_count:     22
    .vgpr_spill_count: 0
    .wavefront_size: 32
    .workgroup_processor_mode: 1
  - .args:
      - .offset:         0
        .size:           56
        .value_kind:     by_value
    .group_segment_fixed_size: 0
    .kernarg_segment_align: 8
    .kernarg_segment_size: 56
    .language:       OpenCL C
    .language_version:
      - 2
      - 0
    .max_flat_workgroup_size: 256
    .name:           _ZN7rocprim17ROCPRIM_400000_NS6detail17trampoline_kernelINS0_14default_configENS1_32segmented_reduce_config_selectorIdEEZNS1_21segmented_reduce_implIS3_PKdPdPKidN6hipcub16HIPCUB_304000_NS6detail27convert_result_type_wrapperIS8_S9_N2at6native12_GLOBAL__N_19CustomMaxEEEEE10hipError_tPvRmT0_T1_jT2_SQ_T4_T3_P12ihipStream_tbEUlT_E_NS1_11comp_targetILNS1_3genE0ELNS1_11target_archE4294967295ELNS1_3gpuE0ELNS1_3repE0EEENS1_30default_config_static_selectorELNS0_4arch9wavefront6targetE0EEEvSP_
    .private_segment_fixed_size: 0
    .sgpr_count:     0
    .sgpr_spill_count: 0
    .symbol:         _ZN7rocprim17ROCPRIM_400000_NS6detail17trampoline_kernelINS0_14default_configENS1_32segmented_reduce_config_selectorIdEEZNS1_21segmented_reduce_implIS3_PKdPdPKidN6hipcub16HIPCUB_304000_NS6detail27convert_result_type_wrapperIS8_S9_N2at6native12_GLOBAL__N_19CustomMaxEEEEE10hipError_tPvRmT0_T1_jT2_SQ_T4_T3_P12ihipStream_tbEUlT_E_NS1_11comp_targetILNS1_3genE0ELNS1_11target_archE4294967295ELNS1_3gpuE0ELNS1_3repE0EEENS1_30default_config_static_selectorELNS0_4arch9wavefront6targetE0EEEvSP_.kd
    .uniform_work_group_size: 1
    .uses_dynamic_stack: false
    .vgpr_count:     0
    .vgpr_spill_count: 0
    .wavefront_size: 32
    .workgroup_processor_mode: 1
  - .args:
      - .offset:         0
        .size:           56
        .value_kind:     by_value
    .group_segment_fixed_size: 0
    .kernarg_segment_align: 8
    .kernarg_segment_size: 56
    .language:       OpenCL C
    .language_version:
      - 2
      - 0
    .max_flat_workgroup_size: 256
    .name:           _ZN7rocprim17ROCPRIM_400000_NS6detail17trampoline_kernelINS0_14default_configENS1_32segmented_reduce_config_selectorIdEEZNS1_21segmented_reduce_implIS3_PKdPdPKidN6hipcub16HIPCUB_304000_NS6detail27convert_result_type_wrapperIS8_S9_N2at6native12_GLOBAL__N_19CustomMaxEEEEE10hipError_tPvRmT0_T1_jT2_SQ_T4_T3_P12ihipStream_tbEUlT_E_NS1_11comp_targetILNS1_3genE5ELNS1_11target_archE942ELNS1_3gpuE9ELNS1_3repE0EEENS1_30default_config_static_selectorELNS0_4arch9wavefront6targetE0EEEvSP_
    .private_segment_fixed_size: 0
    .sgpr_count:     0
    .sgpr_spill_count: 0
    .symbol:         _ZN7rocprim17ROCPRIM_400000_NS6detail17trampoline_kernelINS0_14default_configENS1_32segmented_reduce_config_selectorIdEEZNS1_21segmented_reduce_implIS3_PKdPdPKidN6hipcub16HIPCUB_304000_NS6detail27convert_result_type_wrapperIS8_S9_N2at6native12_GLOBAL__N_19CustomMaxEEEEE10hipError_tPvRmT0_T1_jT2_SQ_T4_T3_P12ihipStream_tbEUlT_E_NS1_11comp_targetILNS1_3genE5ELNS1_11target_archE942ELNS1_3gpuE9ELNS1_3repE0EEENS1_30default_config_static_selectorELNS0_4arch9wavefront6targetE0EEEvSP_.kd
    .uniform_work_group_size: 1
    .uses_dynamic_stack: false
    .vgpr_count:     0
    .vgpr_spill_count: 0
    .wavefront_size: 32
    .workgroup_processor_mode: 1
  - .args:
      - .offset:         0
        .size:           56
        .value_kind:     by_value
    .group_segment_fixed_size: 0
    .kernarg_segment_align: 8
    .kernarg_segment_size: 56
    .language:       OpenCL C
    .language_version:
      - 2
      - 0
    .max_flat_workgroup_size: 256
    .name:           _ZN7rocprim17ROCPRIM_400000_NS6detail17trampoline_kernelINS0_14default_configENS1_32segmented_reduce_config_selectorIdEEZNS1_21segmented_reduce_implIS3_PKdPdPKidN6hipcub16HIPCUB_304000_NS6detail27convert_result_type_wrapperIS8_S9_N2at6native12_GLOBAL__N_19CustomMaxEEEEE10hipError_tPvRmT0_T1_jT2_SQ_T4_T3_P12ihipStream_tbEUlT_E_NS1_11comp_targetILNS1_3genE10ELNS1_11target_archE1201ELNS1_3gpuE5ELNS1_3repE0EEENS1_30default_config_static_selectorELNS0_4arch9wavefront6targetE0EEEvSP_
    .private_segment_fixed_size: 0
    .sgpr_count:     0
    .sgpr_spill_count: 0
    .symbol:         _ZN7rocprim17ROCPRIM_400000_NS6detail17trampoline_kernelINS0_14default_configENS1_32segmented_reduce_config_selectorIdEEZNS1_21segmented_reduce_implIS3_PKdPdPKidN6hipcub16HIPCUB_304000_NS6detail27convert_result_type_wrapperIS8_S9_N2at6native12_GLOBAL__N_19CustomMaxEEEEE10hipError_tPvRmT0_T1_jT2_SQ_T4_T3_P12ihipStream_tbEUlT_E_NS1_11comp_targetILNS1_3genE10ELNS1_11target_archE1201ELNS1_3gpuE5ELNS1_3repE0EEENS1_30default_config_static_selectorELNS0_4arch9wavefront6targetE0EEEvSP_.kd
    .uniform_work_group_size: 1
    .uses_dynamic_stack: false
    .vgpr_count:     0
    .vgpr_spill_count: 0
    .wavefront_size: 32
    .workgroup_processor_mode: 1
  - .args:
      - .offset:         0
        .size:           56
        .value_kind:     by_value
    .group_segment_fixed_size: 0
    .kernarg_segment_align: 8
    .kernarg_segment_size: 56
    .language:       OpenCL C
    .language_version:
      - 2
      - 0
    .max_flat_workgroup_size: 256
    .name:           _ZN7rocprim17ROCPRIM_400000_NS6detail17trampoline_kernelINS0_14default_configENS1_32segmented_reduce_config_selectorIdEEZNS1_21segmented_reduce_implIS3_PKdPdPKidN6hipcub16HIPCUB_304000_NS6detail27convert_result_type_wrapperIS8_S9_N2at6native12_GLOBAL__N_19CustomMaxEEEEE10hipError_tPvRmT0_T1_jT2_SQ_T4_T3_P12ihipStream_tbEUlT_E_NS1_11comp_targetILNS1_3genE4ELNS1_11target_archE910ELNS1_3gpuE8ELNS1_3repE0EEENS1_30default_config_static_selectorELNS0_4arch9wavefront6targetE0EEEvSP_
    .private_segment_fixed_size: 0
    .sgpr_count:     0
    .sgpr_spill_count: 0
    .symbol:         _ZN7rocprim17ROCPRIM_400000_NS6detail17trampoline_kernelINS0_14default_configENS1_32segmented_reduce_config_selectorIdEEZNS1_21segmented_reduce_implIS3_PKdPdPKidN6hipcub16HIPCUB_304000_NS6detail27convert_result_type_wrapperIS8_S9_N2at6native12_GLOBAL__N_19CustomMaxEEEEE10hipError_tPvRmT0_T1_jT2_SQ_T4_T3_P12ihipStream_tbEUlT_E_NS1_11comp_targetILNS1_3genE4ELNS1_11target_archE910ELNS1_3gpuE8ELNS1_3repE0EEENS1_30default_config_static_selectorELNS0_4arch9wavefront6targetE0EEEvSP_.kd
    .uniform_work_group_size: 1
    .uses_dynamic_stack: false
    .vgpr_count:     0
    .vgpr_spill_count: 0
    .wavefront_size: 32
    .workgroup_processor_mode: 1
  - .args:
      - .offset:         0
        .size:           56
        .value_kind:     by_value
    .group_segment_fixed_size: 0
    .kernarg_segment_align: 8
    .kernarg_segment_size: 56
    .language:       OpenCL C
    .language_version:
      - 2
      - 0
    .max_flat_workgroup_size: 256
    .name:           _ZN7rocprim17ROCPRIM_400000_NS6detail17trampoline_kernelINS0_14default_configENS1_32segmented_reduce_config_selectorIdEEZNS1_21segmented_reduce_implIS3_PKdPdPKidN6hipcub16HIPCUB_304000_NS6detail27convert_result_type_wrapperIS8_S9_N2at6native12_GLOBAL__N_19CustomMaxEEEEE10hipError_tPvRmT0_T1_jT2_SQ_T4_T3_P12ihipStream_tbEUlT_E_NS1_11comp_targetILNS1_3genE3ELNS1_11target_archE908ELNS1_3gpuE7ELNS1_3repE0EEENS1_30default_config_static_selectorELNS0_4arch9wavefront6targetE0EEEvSP_
    .private_segment_fixed_size: 0
    .sgpr_count:     0
    .sgpr_spill_count: 0
    .symbol:         _ZN7rocprim17ROCPRIM_400000_NS6detail17trampoline_kernelINS0_14default_configENS1_32segmented_reduce_config_selectorIdEEZNS1_21segmented_reduce_implIS3_PKdPdPKidN6hipcub16HIPCUB_304000_NS6detail27convert_result_type_wrapperIS8_S9_N2at6native12_GLOBAL__N_19CustomMaxEEEEE10hipError_tPvRmT0_T1_jT2_SQ_T4_T3_P12ihipStream_tbEUlT_E_NS1_11comp_targetILNS1_3genE3ELNS1_11target_archE908ELNS1_3gpuE7ELNS1_3repE0EEENS1_30default_config_static_selectorELNS0_4arch9wavefront6targetE0EEEvSP_.kd
    .uniform_work_group_size: 1
    .uses_dynamic_stack: false
    .vgpr_count:     0
    .vgpr_spill_count: 0
    .wavefront_size: 32
    .workgroup_processor_mode: 1
  - .args:
      - .offset:         0
        .size:           56
        .value_kind:     by_value
    .group_segment_fixed_size: 0
    .kernarg_segment_align: 8
    .kernarg_segment_size: 56
    .language:       OpenCL C
    .language_version:
      - 2
      - 0
    .max_flat_workgroup_size: 256
    .name:           _ZN7rocprim17ROCPRIM_400000_NS6detail17trampoline_kernelINS0_14default_configENS1_32segmented_reduce_config_selectorIdEEZNS1_21segmented_reduce_implIS3_PKdPdPKidN6hipcub16HIPCUB_304000_NS6detail27convert_result_type_wrapperIS8_S9_N2at6native12_GLOBAL__N_19CustomMaxEEEEE10hipError_tPvRmT0_T1_jT2_SQ_T4_T3_P12ihipStream_tbEUlT_E_NS1_11comp_targetILNS1_3genE2ELNS1_11target_archE906ELNS1_3gpuE6ELNS1_3repE0EEENS1_30default_config_static_selectorELNS0_4arch9wavefront6targetE0EEEvSP_
    .private_segment_fixed_size: 0
    .sgpr_count:     0
    .sgpr_spill_count: 0
    .symbol:         _ZN7rocprim17ROCPRIM_400000_NS6detail17trampoline_kernelINS0_14default_configENS1_32segmented_reduce_config_selectorIdEEZNS1_21segmented_reduce_implIS3_PKdPdPKidN6hipcub16HIPCUB_304000_NS6detail27convert_result_type_wrapperIS8_S9_N2at6native12_GLOBAL__N_19CustomMaxEEEEE10hipError_tPvRmT0_T1_jT2_SQ_T4_T3_P12ihipStream_tbEUlT_E_NS1_11comp_targetILNS1_3genE2ELNS1_11target_archE906ELNS1_3gpuE6ELNS1_3repE0EEENS1_30default_config_static_selectorELNS0_4arch9wavefront6targetE0EEEvSP_.kd
    .uniform_work_group_size: 1
    .uses_dynamic_stack: false
    .vgpr_count:     0
    .vgpr_spill_count: 0
    .wavefront_size: 32
    .workgroup_processor_mode: 1
  - .args:
      - .offset:         0
        .size:           56
        .value_kind:     by_value
    .group_segment_fixed_size: 0
    .kernarg_segment_align: 8
    .kernarg_segment_size: 56
    .language:       OpenCL C
    .language_version:
      - 2
      - 0
    .max_flat_workgroup_size: 256
    .name:           _ZN7rocprim17ROCPRIM_400000_NS6detail17trampoline_kernelINS0_14default_configENS1_32segmented_reduce_config_selectorIdEEZNS1_21segmented_reduce_implIS3_PKdPdPKidN6hipcub16HIPCUB_304000_NS6detail27convert_result_type_wrapperIS8_S9_N2at6native12_GLOBAL__N_19CustomMaxEEEEE10hipError_tPvRmT0_T1_jT2_SQ_T4_T3_P12ihipStream_tbEUlT_E_NS1_11comp_targetILNS1_3genE9ELNS1_11target_archE1100ELNS1_3gpuE3ELNS1_3repE0EEENS1_30default_config_static_selectorELNS0_4arch9wavefront6targetE0EEEvSP_
    .private_segment_fixed_size: 0
    .sgpr_count:     0
    .sgpr_spill_count: 0
    .symbol:         _ZN7rocprim17ROCPRIM_400000_NS6detail17trampoline_kernelINS0_14default_configENS1_32segmented_reduce_config_selectorIdEEZNS1_21segmented_reduce_implIS3_PKdPdPKidN6hipcub16HIPCUB_304000_NS6detail27convert_result_type_wrapperIS8_S9_N2at6native12_GLOBAL__N_19CustomMaxEEEEE10hipError_tPvRmT0_T1_jT2_SQ_T4_T3_P12ihipStream_tbEUlT_E_NS1_11comp_targetILNS1_3genE9ELNS1_11target_archE1100ELNS1_3gpuE3ELNS1_3repE0EEENS1_30default_config_static_selectorELNS0_4arch9wavefront6targetE0EEEvSP_.kd
    .uniform_work_group_size: 1
    .uses_dynamic_stack: false
    .vgpr_count:     0
    .vgpr_spill_count: 0
    .wavefront_size: 32
    .workgroup_processor_mode: 1
  - .args:
      - .offset:         0
        .size:           56
        .value_kind:     by_value
    .group_segment_fixed_size: 64
    .kernarg_segment_align: 8
    .kernarg_segment_size: 56
    .language:       OpenCL C
    .language_version:
      - 2
      - 0
    .max_flat_workgroup_size: 256
    .name:           _ZN7rocprim17ROCPRIM_400000_NS6detail17trampoline_kernelINS0_14default_configENS1_32segmented_reduce_config_selectorIdEEZNS1_21segmented_reduce_implIS3_PKdPdPKidN6hipcub16HIPCUB_304000_NS6detail27convert_result_type_wrapperIS8_S9_N2at6native12_GLOBAL__N_19CustomMaxEEEEE10hipError_tPvRmT0_T1_jT2_SQ_T4_T3_P12ihipStream_tbEUlT_E_NS1_11comp_targetILNS1_3genE8ELNS1_11target_archE1030ELNS1_3gpuE2ELNS1_3repE0EEENS1_30default_config_static_selectorELNS0_4arch9wavefront6targetE0EEEvSP_
    .private_segment_fixed_size: 0
    .sgpr_count:     20
    .sgpr_spill_count: 0
    .symbol:         _ZN7rocprim17ROCPRIM_400000_NS6detail17trampoline_kernelINS0_14default_configENS1_32segmented_reduce_config_selectorIdEEZNS1_21segmented_reduce_implIS3_PKdPdPKidN6hipcub16HIPCUB_304000_NS6detail27convert_result_type_wrapperIS8_S9_N2at6native12_GLOBAL__N_19CustomMaxEEEEE10hipError_tPvRmT0_T1_jT2_SQ_T4_T3_P12ihipStream_tbEUlT_E_NS1_11comp_targetILNS1_3genE8ELNS1_11target_archE1030ELNS1_3gpuE2ELNS1_3repE0EEENS1_30default_config_static_selectorELNS0_4arch9wavefront6targetE0EEEvSP_.kd
    .uniform_work_group_size: 1
    .uses_dynamic_stack: false
    .vgpr_count:     50
    .vgpr_spill_count: 0
    .wavefront_size: 32
    .workgroup_processor_mode: 1
  - .args:
      - .offset:         0
        .size:           56
        .value_kind:     by_value
    .group_segment_fixed_size: 0
    .kernarg_segment_align: 8
    .kernarg_segment_size: 56
    .language:       OpenCL C
    .language_version:
      - 2
      - 0
    .max_flat_workgroup_size: 256
    .name:           _ZN7rocprim17ROCPRIM_400000_NS6detail17trampoline_kernelINS0_14default_configENS1_32segmented_reduce_config_selectorIdEEZNS1_21segmented_reduce_implIS3_PKdPdPKidN6hipcub16HIPCUB_304000_NS6detail27convert_result_type_wrapperIS8_S9_N2at6native12_GLOBAL__N_19CustomSumEEEEE10hipError_tPvRmT0_T1_jT2_SQ_T4_T3_P12ihipStream_tbEUlT_E_NS1_11comp_targetILNS1_3genE0ELNS1_11target_archE4294967295ELNS1_3gpuE0ELNS1_3repE0EEENS1_30default_config_static_selectorELNS0_4arch9wavefront6targetE0EEEvSP_
    .private_segment_fixed_size: 0
    .sgpr_count:     0
    .sgpr_spill_count: 0
    .symbol:         _ZN7rocprim17ROCPRIM_400000_NS6detail17trampoline_kernelINS0_14default_configENS1_32segmented_reduce_config_selectorIdEEZNS1_21segmented_reduce_implIS3_PKdPdPKidN6hipcub16HIPCUB_304000_NS6detail27convert_result_type_wrapperIS8_S9_N2at6native12_GLOBAL__N_19CustomSumEEEEE10hipError_tPvRmT0_T1_jT2_SQ_T4_T3_P12ihipStream_tbEUlT_E_NS1_11comp_targetILNS1_3genE0ELNS1_11target_archE4294967295ELNS1_3gpuE0ELNS1_3repE0EEENS1_30default_config_static_selectorELNS0_4arch9wavefront6targetE0EEEvSP_.kd
    .uniform_work_group_size: 1
    .uses_dynamic_stack: false
    .vgpr_count:     0
    .vgpr_spill_count: 0
    .wavefront_size: 32
    .workgroup_processor_mode: 1
  - .args:
      - .offset:         0
        .size:           56
        .value_kind:     by_value
    .group_segment_fixed_size: 0
    .kernarg_segment_align: 8
    .kernarg_segment_size: 56
    .language:       OpenCL C
    .language_version:
      - 2
      - 0
    .max_flat_workgroup_size: 256
    .name:           _ZN7rocprim17ROCPRIM_400000_NS6detail17trampoline_kernelINS0_14default_configENS1_32segmented_reduce_config_selectorIdEEZNS1_21segmented_reduce_implIS3_PKdPdPKidN6hipcub16HIPCUB_304000_NS6detail27convert_result_type_wrapperIS8_S9_N2at6native12_GLOBAL__N_19CustomSumEEEEE10hipError_tPvRmT0_T1_jT2_SQ_T4_T3_P12ihipStream_tbEUlT_E_NS1_11comp_targetILNS1_3genE5ELNS1_11target_archE942ELNS1_3gpuE9ELNS1_3repE0EEENS1_30default_config_static_selectorELNS0_4arch9wavefront6targetE0EEEvSP_
    .private_segment_fixed_size: 0
    .sgpr_count:     0
    .sgpr_spill_count: 0
    .symbol:         _ZN7rocprim17ROCPRIM_400000_NS6detail17trampoline_kernelINS0_14default_configENS1_32segmented_reduce_config_selectorIdEEZNS1_21segmented_reduce_implIS3_PKdPdPKidN6hipcub16HIPCUB_304000_NS6detail27convert_result_type_wrapperIS8_S9_N2at6native12_GLOBAL__N_19CustomSumEEEEE10hipError_tPvRmT0_T1_jT2_SQ_T4_T3_P12ihipStream_tbEUlT_E_NS1_11comp_targetILNS1_3genE5ELNS1_11target_archE942ELNS1_3gpuE9ELNS1_3repE0EEENS1_30default_config_static_selectorELNS0_4arch9wavefront6targetE0EEEvSP_.kd
    .uniform_work_group_size: 1
    .uses_dynamic_stack: false
    .vgpr_count:     0
    .vgpr_spill_count: 0
    .wavefront_size: 32
    .workgroup_processor_mode: 1
  - .args:
      - .offset:         0
        .size:           56
        .value_kind:     by_value
    .group_segment_fixed_size: 0
    .kernarg_segment_align: 8
    .kernarg_segment_size: 56
    .language:       OpenCL C
    .language_version:
      - 2
      - 0
    .max_flat_workgroup_size: 256
    .name:           _ZN7rocprim17ROCPRIM_400000_NS6detail17trampoline_kernelINS0_14default_configENS1_32segmented_reduce_config_selectorIdEEZNS1_21segmented_reduce_implIS3_PKdPdPKidN6hipcub16HIPCUB_304000_NS6detail27convert_result_type_wrapperIS8_S9_N2at6native12_GLOBAL__N_19CustomSumEEEEE10hipError_tPvRmT0_T1_jT2_SQ_T4_T3_P12ihipStream_tbEUlT_E_NS1_11comp_targetILNS1_3genE10ELNS1_11target_archE1201ELNS1_3gpuE5ELNS1_3repE0EEENS1_30default_config_static_selectorELNS0_4arch9wavefront6targetE0EEEvSP_
    .private_segment_fixed_size: 0
    .sgpr_count:     0
    .sgpr_spill_count: 0
    .symbol:         _ZN7rocprim17ROCPRIM_400000_NS6detail17trampoline_kernelINS0_14default_configENS1_32segmented_reduce_config_selectorIdEEZNS1_21segmented_reduce_implIS3_PKdPdPKidN6hipcub16HIPCUB_304000_NS6detail27convert_result_type_wrapperIS8_S9_N2at6native12_GLOBAL__N_19CustomSumEEEEE10hipError_tPvRmT0_T1_jT2_SQ_T4_T3_P12ihipStream_tbEUlT_E_NS1_11comp_targetILNS1_3genE10ELNS1_11target_archE1201ELNS1_3gpuE5ELNS1_3repE0EEENS1_30default_config_static_selectorELNS0_4arch9wavefront6targetE0EEEvSP_.kd
    .uniform_work_group_size: 1
    .uses_dynamic_stack: false
    .vgpr_count:     0
    .vgpr_spill_count: 0
    .wavefront_size: 32
    .workgroup_processor_mode: 1
  - .args:
      - .offset:         0
        .size:           56
        .value_kind:     by_value
    .group_segment_fixed_size: 0
    .kernarg_segment_align: 8
    .kernarg_segment_size: 56
    .language:       OpenCL C
    .language_version:
      - 2
      - 0
    .max_flat_workgroup_size: 256
    .name:           _ZN7rocprim17ROCPRIM_400000_NS6detail17trampoline_kernelINS0_14default_configENS1_32segmented_reduce_config_selectorIdEEZNS1_21segmented_reduce_implIS3_PKdPdPKidN6hipcub16HIPCUB_304000_NS6detail27convert_result_type_wrapperIS8_S9_N2at6native12_GLOBAL__N_19CustomSumEEEEE10hipError_tPvRmT0_T1_jT2_SQ_T4_T3_P12ihipStream_tbEUlT_E_NS1_11comp_targetILNS1_3genE4ELNS1_11target_archE910ELNS1_3gpuE8ELNS1_3repE0EEENS1_30default_config_static_selectorELNS0_4arch9wavefront6targetE0EEEvSP_
    .private_segment_fixed_size: 0
    .sgpr_count:     0
    .sgpr_spill_count: 0
    .symbol:         _ZN7rocprim17ROCPRIM_400000_NS6detail17trampoline_kernelINS0_14default_configENS1_32segmented_reduce_config_selectorIdEEZNS1_21segmented_reduce_implIS3_PKdPdPKidN6hipcub16HIPCUB_304000_NS6detail27convert_result_type_wrapperIS8_S9_N2at6native12_GLOBAL__N_19CustomSumEEEEE10hipError_tPvRmT0_T1_jT2_SQ_T4_T3_P12ihipStream_tbEUlT_E_NS1_11comp_targetILNS1_3genE4ELNS1_11target_archE910ELNS1_3gpuE8ELNS1_3repE0EEENS1_30default_config_static_selectorELNS0_4arch9wavefront6targetE0EEEvSP_.kd
    .uniform_work_group_size: 1
    .uses_dynamic_stack: false
    .vgpr_count:     0
    .vgpr_spill_count: 0
    .wavefront_size: 32
    .workgroup_processor_mode: 1
  - .args:
      - .offset:         0
        .size:           56
        .value_kind:     by_value
    .group_segment_fixed_size: 0
    .kernarg_segment_align: 8
    .kernarg_segment_size: 56
    .language:       OpenCL C
    .language_version:
      - 2
      - 0
    .max_flat_workgroup_size: 256
    .name:           _ZN7rocprim17ROCPRIM_400000_NS6detail17trampoline_kernelINS0_14default_configENS1_32segmented_reduce_config_selectorIdEEZNS1_21segmented_reduce_implIS3_PKdPdPKidN6hipcub16HIPCUB_304000_NS6detail27convert_result_type_wrapperIS8_S9_N2at6native12_GLOBAL__N_19CustomSumEEEEE10hipError_tPvRmT0_T1_jT2_SQ_T4_T3_P12ihipStream_tbEUlT_E_NS1_11comp_targetILNS1_3genE3ELNS1_11target_archE908ELNS1_3gpuE7ELNS1_3repE0EEENS1_30default_config_static_selectorELNS0_4arch9wavefront6targetE0EEEvSP_
    .private_segment_fixed_size: 0
    .sgpr_count:     0
    .sgpr_spill_count: 0
    .symbol:         _ZN7rocprim17ROCPRIM_400000_NS6detail17trampoline_kernelINS0_14default_configENS1_32segmented_reduce_config_selectorIdEEZNS1_21segmented_reduce_implIS3_PKdPdPKidN6hipcub16HIPCUB_304000_NS6detail27convert_result_type_wrapperIS8_S9_N2at6native12_GLOBAL__N_19CustomSumEEEEE10hipError_tPvRmT0_T1_jT2_SQ_T4_T3_P12ihipStream_tbEUlT_E_NS1_11comp_targetILNS1_3genE3ELNS1_11target_archE908ELNS1_3gpuE7ELNS1_3repE0EEENS1_30default_config_static_selectorELNS0_4arch9wavefront6targetE0EEEvSP_.kd
    .uniform_work_group_size: 1
    .uses_dynamic_stack: false
    .vgpr_count:     0
    .vgpr_spill_count: 0
    .wavefront_size: 32
    .workgroup_processor_mode: 1
  - .args:
      - .offset:         0
        .size:           56
        .value_kind:     by_value
    .group_segment_fixed_size: 0
    .kernarg_segment_align: 8
    .kernarg_segment_size: 56
    .language:       OpenCL C
    .language_version:
      - 2
      - 0
    .max_flat_workgroup_size: 256
    .name:           _ZN7rocprim17ROCPRIM_400000_NS6detail17trampoline_kernelINS0_14default_configENS1_32segmented_reduce_config_selectorIdEEZNS1_21segmented_reduce_implIS3_PKdPdPKidN6hipcub16HIPCUB_304000_NS6detail27convert_result_type_wrapperIS8_S9_N2at6native12_GLOBAL__N_19CustomSumEEEEE10hipError_tPvRmT0_T1_jT2_SQ_T4_T3_P12ihipStream_tbEUlT_E_NS1_11comp_targetILNS1_3genE2ELNS1_11target_archE906ELNS1_3gpuE6ELNS1_3repE0EEENS1_30default_config_static_selectorELNS0_4arch9wavefront6targetE0EEEvSP_
    .private_segment_fixed_size: 0
    .sgpr_count:     0
    .sgpr_spill_count: 0
    .symbol:         _ZN7rocprim17ROCPRIM_400000_NS6detail17trampoline_kernelINS0_14default_configENS1_32segmented_reduce_config_selectorIdEEZNS1_21segmented_reduce_implIS3_PKdPdPKidN6hipcub16HIPCUB_304000_NS6detail27convert_result_type_wrapperIS8_S9_N2at6native12_GLOBAL__N_19CustomSumEEEEE10hipError_tPvRmT0_T1_jT2_SQ_T4_T3_P12ihipStream_tbEUlT_E_NS1_11comp_targetILNS1_3genE2ELNS1_11target_archE906ELNS1_3gpuE6ELNS1_3repE0EEENS1_30default_config_static_selectorELNS0_4arch9wavefront6targetE0EEEvSP_.kd
    .uniform_work_group_size: 1
    .uses_dynamic_stack: false
    .vgpr_count:     0
    .vgpr_spill_count: 0
    .wavefront_size: 32
    .workgroup_processor_mode: 1
  - .args:
      - .offset:         0
        .size:           56
        .value_kind:     by_value
    .group_segment_fixed_size: 0
    .kernarg_segment_align: 8
    .kernarg_segment_size: 56
    .language:       OpenCL C
    .language_version:
      - 2
      - 0
    .max_flat_workgroup_size: 256
    .name:           _ZN7rocprim17ROCPRIM_400000_NS6detail17trampoline_kernelINS0_14default_configENS1_32segmented_reduce_config_selectorIdEEZNS1_21segmented_reduce_implIS3_PKdPdPKidN6hipcub16HIPCUB_304000_NS6detail27convert_result_type_wrapperIS8_S9_N2at6native12_GLOBAL__N_19CustomSumEEEEE10hipError_tPvRmT0_T1_jT2_SQ_T4_T3_P12ihipStream_tbEUlT_E_NS1_11comp_targetILNS1_3genE9ELNS1_11target_archE1100ELNS1_3gpuE3ELNS1_3repE0EEENS1_30default_config_static_selectorELNS0_4arch9wavefront6targetE0EEEvSP_
    .private_segment_fixed_size: 0
    .sgpr_count:     0
    .sgpr_spill_count: 0
    .symbol:         _ZN7rocprim17ROCPRIM_400000_NS6detail17trampoline_kernelINS0_14default_configENS1_32segmented_reduce_config_selectorIdEEZNS1_21segmented_reduce_implIS3_PKdPdPKidN6hipcub16HIPCUB_304000_NS6detail27convert_result_type_wrapperIS8_S9_N2at6native12_GLOBAL__N_19CustomSumEEEEE10hipError_tPvRmT0_T1_jT2_SQ_T4_T3_P12ihipStream_tbEUlT_E_NS1_11comp_targetILNS1_3genE9ELNS1_11target_archE1100ELNS1_3gpuE3ELNS1_3repE0EEENS1_30default_config_static_selectorELNS0_4arch9wavefront6targetE0EEEvSP_.kd
    .uniform_work_group_size: 1
    .uses_dynamic_stack: false
    .vgpr_count:     0
    .vgpr_spill_count: 0
    .wavefront_size: 32
    .workgroup_processor_mode: 1
  - .args:
      - .offset:         0
        .size:           56
        .value_kind:     by_value
    .group_segment_fixed_size: 64
    .kernarg_segment_align: 8
    .kernarg_segment_size: 56
    .language:       OpenCL C
    .language_version:
      - 2
      - 0
    .max_flat_workgroup_size: 256
    .name:           _ZN7rocprim17ROCPRIM_400000_NS6detail17trampoline_kernelINS0_14default_configENS1_32segmented_reduce_config_selectorIdEEZNS1_21segmented_reduce_implIS3_PKdPdPKidN6hipcub16HIPCUB_304000_NS6detail27convert_result_type_wrapperIS8_S9_N2at6native12_GLOBAL__N_19CustomSumEEEEE10hipError_tPvRmT0_T1_jT2_SQ_T4_T3_P12ihipStream_tbEUlT_E_NS1_11comp_targetILNS1_3genE8ELNS1_11target_archE1030ELNS1_3gpuE2ELNS1_3repE0EEENS1_30default_config_static_selectorELNS0_4arch9wavefront6targetE0EEEvSP_
    .private_segment_fixed_size: 0
    .sgpr_count:     33
    .sgpr_spill_count: 0
    .symbol:         _ZN7rocprim17ROCPRIM_400000_NS6detail17trampoline_kernelINS0_14default_configENS1_32segmented_reduce_config_selectorIdEEZNS1_21segmented_reduce_implIS3_PKdPdPKidN6hipcub16HIPCUB_304000_NS6detail27convert_result_type_wrapperIS8_S9_N2at6native12_GLOBAL__N_19CustomSumEEEEE10hipError_tPvRmT0_T1_jT2_SQ_T4_T3_P12ihipStream_tbEUlT_E_NS1_11comp_targetILNS1_3genE8ELNS1_11target_archE1030ELNS1_3gpuE2ELNS1_3repE0EEENS1_30default_config_static_selectorELNS0_4arch9wavefront6targetE0EEEvSP_.kd
    .uniform_work_group_size: 1
    .uses_dynamic_stack: false
    .vgpr_count:     38
    .vgpr_spill_count: 0
    .wavefront_size: 32
    .workgroup_processor_mode: 1
  - .args:
      - .address_space:  global
        .offset:         0
        .size:           8
        .value_kind:     global_buffer
      - .address_space:  global
        .offset:         8
        .size:           8
        .value_kind:     global_buffer
      - .offset:         16
        .size:           8
        .value_kind:     by_value
      - .offset:         24
        .size:           1
        .value_kind:     by_value
      - .offset:         32
        .size:           8
        .value_kind:     by_value
      - .offset:         40
        .size:           4
        .value_kind:     hidden_block_count_x
      - .offset:         44
        .size:           4
        .value_kind:     hidden_block_count_y
      - .offset:         48
        .size:           4
        .value_kind:     hidden_block_count_z
      - .offset:         52
        .size:           2
        .value_kind:     hidden_group_size_x
      - .offset:         54
        .size:           2
        .value_kind:     hidden_group_size_y
      - .offset:         56
        .size:           2
        .value_kind:     hidden_group_size_z
      - .offset:         58
        .size:           2
        .value_kind:     hidden_remainder_x
      - .offset:         60
        .size:           2
        .value_kind:     hidden_remainder_y
      - .offset:         62
        .size:           2
        .value_kind:     hidden_remainder_z
      - .offset:         80
        .size:           8
        .value_kind:     hidden_global_offset_x
      - .offset:         88
        .size:           8
        .value_kind:     hidden_global_offset_y
      - .offset:         96
        .size:           8
        .value_kind:     hidden_global_offset_z
      - .offset:         104
        .size:           2
        .value_kind:     hidden_grid_dims
    .group_segment_fixed_size: 0
    .kernarg_segment_align: 8
    .kernarg_segment_size: 296
    .language:       OpenCL C
    .language_version:
      - 2
      - 0
    .max_flat_workgroup_size: 1024
    .name:           _ZN2at6native12_GLOBAL__N_119post_sum_div_kernelIdiEEvPT_PKT0_lbS3_
    .private_segment_fixed_size: 0
    .sgpr_count:     20
    .sgpr_spill_count: 0
    .symbol:         _ZN2at6native12_GLOBAL__N_119post_sum_div_kernelIdiEEvPT_PKT0_lbS3_.kd
    .uniform_work_group_size: 1
    .uses_dynamic_stack: false
    .vgpr_count:     18
    .vgpr_spill_count: 0
    .wavefront_size: 32
    .workgroup_processor_mode: 1
  - .args:
      - .offset:         0
        .size:           56
        .value_kind:     by_value
    .group_segment_fixed_size: 0
    .kernarg_segment_align: 8
    .kernarg_segment_size: 56
    .language:       OpenCL C
    .language_version:
      - 2
      - 0
    .max_flat_workgroup_size: 256
    .name:           _ZN7rocprim17ROCPRIM_400000_NS6detail17trampoline_kernelINS0_14default_configENS1_32segmented_reduce_config_selectorIdEEZNS1_21segmented_reduce_implIS3_PKdPdPKidN6hipcub16HIPCUB_304000_NS6detail27convert_result_type_wrapperIS8_S9_N2at6native12_GLOBAL__N_19CustomMinEEEEE10hipError_tPvRmT0_T1_jT2_SQ_T4_T3_P12ihipStream_tbEUlT_E_NS1_11comp_targetILNS1_3genE0ELNS1_11target_archE4294967295ELNS1_3gpuE0ELNS1_3repE0EEENS1_30default_config_static_selectorELNS0_4arch9wavefront6targetE0EEEvSP_
    .private_segment_fixed_size: 0
    .sgpr_count:     0
    .sgpr_spill_count: 0
    .symbol:         _ZN7rocprim17ROCPRIM_400000_NS6detail17trampoline_kernelINS0_14default_configENS1_32segmented_reduce_config_selectorIdEEZNS1_21segmented_reduce_implIS3_PKdPdPKidN6hipcub16HIPCUB_304000_NS6detail27convert_result_type_wrapperIS8_S9_N2at6native12_GLOBAL__N_19CustomMinEEEEE10hipError_tPvRmT0_T1_jT2_SQ_T4_T3_P12ihipStream_tbEUlT_E_NS1_11comp_targetILNS1_3genE0ELNS1_11target_archE4294967295ELNS1_3gpuE0ELNS1_3repE0EEENS1_30default_config_static_selectorELNS0_4arch9wavefront6targetE0EEEvSP_.kd
    .uniform_work_group_size: 1
    .uses_dynamic_stack: false
    .vgpr_count:     0
    .vgpr_spill_count: 0
    .wavefront_size: 32
    .workgroup_processor_mode: 1
  - .args:
      - .offset:         0
        .size:           56
        .value_kind:     by_value
    .group_segment_fixed_size: 0
    .kernarg_segment_align: 8
    .kernarg_segment_size: 56
    .language:       OpenCL C
    .language_version:
      - 2
      - 0
    .max_flat_workgroup_size: 256
    .name:           _ZN7rocprim17ROCPRIM_400000_NS6detail17trampoline_kernelINS0_14default_configENS1_32segmented_reduce_config_selectorIdEEZNS1_21segmented_reduce_implIS3_PKdPdPKidN6hipcub16HIPCUB_304000_NS6detail27convert_result_type_wrapperIS8_S9_N2at6native12_GLOBAL__N_19CustomMinEEEEE10hipError_tPvRmT0_T1_jT2_SQ_T4_T3_P12ihipStream_tbEUlT_E_NS1_11comp_targetILNS1_3genE5ELNS1_11target_archE942ELNS1_3gpuE9ELNS1_3repE0EEENS1_30default_config_static_selectorELNS0_4arch9wavefront6targetE0EEEvSP_
    .private_segment_fixed_size: 0
    .sgpr_count:     0
    .sgpr_spill_count: 0
    .symbol:         _ZN7rocprim17ROCPRIM_400000_NS6detail17trampoline_kernelINS0_14default_configENS1_32segmented_reduce_config_selectorIdEEZNS1_21segmented_reduce_implIS3_PKdPdPKidN6hipcub16HIPCUB_304000_NS6detail27convert_result_type_wrapperIS8_S9_N2at6native12_GLOBAL__N_19CustomMinEEEEE10hipError_tPvRmT0_T1_jT2_SQ_T4_T3_P12ihipStream_tbEUlT_E_NS1_11comp_targetILNS1_3genE5ELNS1_11target_archE942ELNS1_3gpuE9ELNS1_3repE0EEENS1_30default_config_static_selectorELNS0_4arch9wavefront6targetE0EEEvSP_.kd
    .uniform_work_group_size: 1
    .uses_dynamic_stack: false
    .vgpr_count:     0
    .vgpr_spill_count: 0
    .wavefront_size: 32
    .workgroup_processor_mode: 1
  - .args:
      - .offset:         0
        .size:           56
        .value_kind:     by_value
    .group_segment_fixed_size: 0
    .kernarg_segment_align: 8
    .kernarg_segment_size: 56
    .language:       OpenCL C
    .language_version:
      - 2
      - 0
    .max_flat_workgroup_size: 256
    .name:           _ZN7rocprim17ROCPRIM_400000_NS6detail17trampoline_kernelINS0_14default_configENS1_32segmented_reduce_config_selectorIdEEZNS1_21segmented_reduce_implIS3_PKdPdPKidN6hipcub16HIPCUB_304000_NS6detail27convert_result_type_wrapperIS8_S9_N2at6native12_GLOBAL__N_19CustomMinEEEEE10hipError_tPvRmT0_T1_jT2_SQ_T4_T3_P12ihipStream_tbEUlT_E_NS1_11comp_targetILNS1_3genE10ELNS1_11target_archE1201ELNS1_3gpuE5ELNS1_3repE0EEENS1_30default_config_static_selectorELNS0_4arch9wavefront6targetE0EEEvSP_
    .private_segment_fixed_size: 0
    .sgpr_count:     0
    .sgpr_spill_count: 0
    .symbol:         _ZN7rocprim17ROCPRIM_400000_NS6detail17trampoline_kernelINS0_14default_configENS1_32segmented_reduce_config_selectorIdEEZNS1_21segmented_reduce_implIS3_PKdPdPKidN6hipcub16HIPCUB_304000_NS6detail27convert_result_type_wrapperIS8_S9_N2at6native12_GLOBAL__N_19CustomMinEEEEE10hipError_tPvRmT0_T1_jT2_SQ_T4_T3_P12ihipStream_tbEUlT_E_NS1_11comp_targetILNS1_3genE10ELNS1_11target_archE1201ELNS1_3gpuE5ELNS1_3repE0EEENS1_30default_config_static_selectorELNS0_4arch9wavefront6targetE0EEEvSP_.kd
    .uniform_work_group_size: 1
    .uses_dynamic_stack: false
    .vgpr_count:     0
    .vgpr_spill_count: 0
    .wavefront_size: 32
    .workgroup_processor_mode: 1
  - .args:
      - .offset:         0
        .size:           56
        .value_kind:     by_value
    .group_segment_fixed_size: 0
    .kernarg_segment_align: 8
    .kernarg_segment_size: 56
    .language:       OpenCL C
    .language_version:
      - 2
      - 0
    .max_flat_workgroup_size: 256
    .name:           _ZN7rocprim17ROCPRIM_400000_NS6detail17trampoline_kernelINS0_14default_configENS1_32segmented_reduce_config_selectorIdEEZNS1_21segmented_reduce_implIS3_PKdPdPKidN6hipcub16HIPCUB_304000_NS6detail27convert_result_type_wrapperIS8_S9_N2at6native12_GLOBAL__N_19CustomMinEEEEE10hipError_tPvRmT0_T1_jT2_SQ_T4_T3_P12ihipStream_tbEUlT_E_NS1_11comp_targetILNS1_3genE4ELNS1_11target_archE910ELNS1_3gpuE8ELNS1_3repE0EEENS1_30default_config_static_selectorELNS0_4arch9wavefront6targetE0EEEvSP_
    .private_segment_fixed_size: 0
    .sgpr_count:     0
    .sgpr_spill_count: 0
    .symbol:         _ZN7rocprim17ROCPRIM_400000_NS6detail17trampoline_kernelINS0_14default_configENS1_32segmented_reduce_config_selectorIdEEZNS1_21segmented_reduce_implIS3_PKdPdPKidN6hipcub16HIPCUB_304000_NS6detail27convert_result_type_wrapperIS8_S9_N2at6native12_GLOBAL__N_19CustomMinEEEEE10hipError_tPvRmT0_T1_jT2_SQ_T4_T3_P12ihipStream_tbEUlT_E_NS1_11comp_targetILNS1_3genE4ELNS1_11target_archE910ELNS1_3gpuE8ELNS1_3repE0EEENS1_30default_config_static_selectorELNS0_4arch9wavefront6targetE0EEEvSP_.kd
    .uniform_work_group_size: 1
    .uses_dynamic_stack: false
    .vgpr_count:     0
    .vgpr_spill_count: 0
    .wavefront_size: 32
    .workgroup_processor_mode: 1
  - .args:
      - .offset:         0
        .size:           56
        .value_kind:     by_value
    .group_segment_fixed_size: 0
    .kernarg_segment_align: 8
    .kernarg_segment_size: 56
    .language:       OpenCL C
    .language_version:
      - 2
      - 0
    .max_flat_workgroup_size: 256
    .name:           _ZN7rocprim17ROCPRIM_400000_NS6detail17trampoline_kernelINS0_14default_configENS1_32segmented_reduce_config_selectorIdEEZNS1_21segmented_reduce_implIS3_PKdPdPKidN6hipcub16HIPCUB_304000_NS6detail27convert_result_type_wrapperIS8_S9_N2at6native12_GLOBAL__N_19CustomMinEEEEE10hipError_tPvRmT0_T1_jT2_SQ_T4_T3_P12ihipStream_tbEUlT_E_NS1_11comp_targetILNS1_3genE3ELNS1_11target_archE908ELNS1_3gpuE7ELNS1_3repE0EEENS1_30default_config_static_selectorELNS0_4arch9wavefront6targetE0EEEvSP_
    .private_segment_fixed_size: 0
    .sgpr_count:     0
    .sgpr_spill_count: 0
    .symbol:         _ZN7rocprim17ROCPRIM_400000_NS6detail17trampoline_kernelINS0_14default_configENS1_32segmented_reduce_config_selectorIdEEZNS1_21segmented_reduce_implIS3_PKdPdPKidN6hipcub16HIPCUB_304000_NS6detail27convert_result_type_wrapperIS8_S9_N2at6native12_GLOBAL__N_19CustomMinEEEEE10hipError_tPvRmT0_T1_jT2_SQ_T4_T3_P12ihipStream_tbEUlT_E_NS1_11comp_targetILNS1_3genE3ELNS1_11target_archE908ELNS1_3gpuE7ELNS1_3repE0EEENS1_30default_config_static_selectorELNS0_4arch9wavefront6targetE0EEEvSP_.kd
    .uniform_work_group_size: 1
    .uses_dynamic_stack: false
    .vgpr_count:     0
    .vgpr_spill_count: 0
    .wavefront_size: 32
    .workgroup_processor_mode: 1
  - .args:
      - .offset:         0
        .size:           56
        .value_kind:     by_value
    .group_segment_fixed_size: 0
    .kernarg_segment_align: 8
    .kernarg_segment_size: 56
    .language:       OpenCL C
    .language_version:
      - 2
      - 0
    .max_flat_workgroup_size: 256
    .name:           _ZN7rocprim17ROCPRIM_400000_NS6detail17trampoline_kernelINS0_14default_configENS1_32segmented_reduce_config_selectorIdEEZNS1_21segmented_reduce_implIS3_PKdPdPKidN6hipcub16HIPCUB_304000_NS6detail27convert_result_type_wrapperIS8_S9_N2at6native12_GLOBAL__N_19CustomMinEEEEE10hipError_tPvRmT0_T1_jT2_SQ_T4_T3_P12ihipStream_tbEUlT_E_NS1_11comp_targetILNS1_3genE2ELNS1_11target_archE906ELNS1_3gpuE6ELNS1_3repE0EEENS1_30default_config_static_selectorELNS0_4arch9wavefront6targetE0EEEvSP_
    .private_segment_fixed_size: 0
    .sgpr_count:     0
    .sgpr_spill_count: 0
    .symbol:         _ZN7rocprim17ROCPRIM_400000_NS6detail17trampoline_kernelINS0_14default_configENS1_32segmented_reduce_config_selectorIdEEZNS1_21segmented_reduce_implIS3_PKdPdPKidN6hipcub16HIPCUB_304000_NS6detail27convert_result_type_wrapperIS8_S9_N2at6native12_GLOBAL__N_19CustomMinEEEEE10hipError_tPvRmT0_T1_jT2_SQ_T4_T3_P12ihipStream_tbEUlT_E_NS1_11comp_targetILNS1_3genE2ELNS1_11target_archE906ELNS1_3gpuE6ELNS1_3repE0EEENS1_30default_config_static_selectorELNS0_4arch9wavefront6targetE0EEEvSP_.kd
    .uniform_work_group_size: 1
    .uses_dynamic_stack: false
    .vgpr_count:     0
    .vgpr_spill_count: 0
    .wavefront_size: 32
    .workgroup_processor_mode: 1
  - .args:
      - .offset:         0
        .size:           56
        .value_kind:     by_value
    .group_segment_fixed_size: 0
    .kernarg_segment_align: 8
    .kernarg_segment_size: 56
    .language:       OpenCL C
    .language_version:
      - 2
      - 0
    .max_flat_workgroup_size: 256
    .name:           _ZN7rocprim17ROCPRIM_400000_NS6detail17trampoline_kernelINS0_14default_configENS1_32segmented_reduce_config_selectorIdEEZNS1_21segmented_reduce_implIS3_PKdPdPKidN6hipcub16HIPCUB_304000_NS6detail27convert_result_type_wrapperIS8_S9_N2at6native12_GLOBAL__N_19CustomMinEEEEE10hipError_tPvRmT0_T1_jT2_SQ_T4_T3_P12ihipStream_tbEUlT_E_NS1_11comp_targetILNS1_3genE9ELNS1_11target_archE1100ELNS1_3gpuE3ELNS1_3repE0EEENS1_30default_config_static_selectorELNS0_4arch9wavefront6targetE0EEEvSP_
    .private_segment_fixed_size: 0
    .sgpr_count:     0
    .sgpr_spill_count: 0
    .symbol:         _ZN7rocprim17ROCPRIM_400000_NS6detail17trampoline_kernelINS0_14default_configENS1_32segmented_reduce_config_selectorIdEEZNS1_21segmented_reduce_implIS3_PKdPdPKidN6hipcub16HIPCUB_304000_NS6detail27convert_result_type_wrapperIS8_S9_N2at6native12_GLOBAL__N_19CustomMinEEEEE10hipError_tPvRmT0_T1_jT2_SQ_T4_T3_P12ihipStream_tbEUlT_E_NS1_11comp_targetILNS1_3genE9ELNS1_11target_archE1100ELNS1_3gpuE3ELNS1_3repE0EEENS1_30default_config_static_selectorELNS0_4arch9wavefront6targetE0EEEvSP_.kd
    .uniform_work_group_size: 1
    .uses_dynamic_stack: false
    .vgpr_count:     0
    .vgpr_spill_count: 0
    .wavefront_size: 32
    .workgroup_processor_mode: 1
  - .args:
      - .offset:         0
        .size:           56
        .value_kind:     by_value
    .group_segment_fixed_size: 64
    .kernarg_segment_align: 8
    .kernarg_segment_size: 56
    .language:       OpenCL C
    .language_version:
      - 2
      - 0
    .max_flat_workgroup_size: 256
    .name:           _ZN7rocprim17ROCPRIM_400000_NS6detail17trampoline_kernelINS0_14default_configENS1_32segmented_reduce_config_selectorIdEEZNS1_21segmented_reduce_implIS3_PKdPdPKidN6hipcub16HIPCUB_304000_NS6detail27convert_result_type_wrapperIS8_S9_N2at6native12_GLOBAL__N_19CustomMinEEEEE10hipError_tPvRmT0_T1_jT2_SQ_T4_T3_P12ihipStream_tbEUlT_E_NS1_11comp_targetILNS1_3genE8ELNS1_11target_archE1030ELNS1_3gpuE2ELNS1_3repE0EEENS1_30default_config_static_selectorELNS0_4arch9wavefront6targetE0EEEvSP_
    .private_segment_fixed_size: 0
    .sgpr_count:     20
    .sgpr_spill_count: 0
    .symbol:         _ZN7rocprim17ROCPRIM_400000_NS6detail17trampoline_kernelINS0_14default_configENS1_32segmented_reduce_config_selectorIdEEZNS1_21segmented_reduce_implIS3_PKdPdPKidN6hipcub16HIPCUB_304000_NS6detail27convert_result_type_wrapperIS8_S9_N2at6native12_GLOBAL__N_19CustomMinEEEEE10hipError_tPvRmT0_T1_jT2_SQ_T4_T3_P12ihipStream_tbEUlT_E_NS1_11comp_targetILNS1_3genE8ELNS1_11target_archE1030ELNS1_3gpuE2ELNS1_3repE0EEENS1_30default_config_static_selectorELNS0_4arch9wavefront6targetE0EEEvSP_.kd
    .uniform_work_group_size: 1
    .uses_dynamic_stack: false
    .vgpr_count:     50
    .vgpr_spill_count: 0
    .wavefront_size: 32
    .workgroup_processor_mode: 1
  - .args:
      - .offset:         0
        .size:           56
        .value_kind:     by_value
    .group_segment_fixed_size: 0
    .kernarg_segment_align: 8
    .kernarg_segment_size: 56
    .language:       OpenCL C
    .language_version:
      - 2
      - 0
    .max_flat_workgroup_size: 256
    .name:           _ZN7rocprim17ROCPRIM_400000_NS6detail17trampoline_kernelINS0_14default_configENS1_32segmented_reduce_config_selectorIdEEZNS1_21segmented_reduce_implIS3_PKdPdPKidN6hipcub16HIPCUB_304000_NS6detail27convert_result_type_wrapperIS8_S9_N2at6native12_GLOBAL__N_110CustomProdEEEEE10hipError_tPvRmT0_T1_jT2_SQ_T4_T3_P12ihipStream_tbEUlT_E_NS1_11comp_targetILNS1_3genE0ELNS1_11target_archE4294967295ELNS1_3gpuE0ELNS1_3repE0EEENS1_30default_config_static_selectorELNS0_4arch9wavefront6targetE0EEEvSP_
    .private_segment_fixed_size: 0
    .sgpr_count:     0
    .sgpr_spill_count: 0
    .symbol:         _ZN7rocprim17ROCPRIM_400000_NS6detail17trampoline_kernelINS0_14default_configENS1_32segmented_reduce_config_selectorIdEEZNS1_21segmented_reduce_implIS3_PKdPdPKidN6hipcub16HIPCUB_304000_NS6detail27convert_result_type_wrapperIS8_S9_N2at6native12_GLOBAL__N_110CustomProdEEEEE10hipError_tPvRmT0_T1_jT2_SQ_T4_T3_P12ihipStream_tbEUlT_E_NS1_11comp_targetILNS1_3genE0ELNS1_11target_archE4294967295ELNS1_3gpuE0ELNS1_3repE0EEENS1_30default_config_static_selectorELNS0_4arch9wavefront6targetE0EEEvSP_.kd
    .uniform_work_group_size: 1
    .uses_dynamic_stack: false
    .vgpr_count:     0
    .vgpr_spill_count: 0
    .wavefront_size: 32
    .workgroup_processor_mode: 1
  - .args:
      - .offset:         0
        .size:           56
        .value_kind:     by_value
    .group_segment_fixed_size: 0
    .kernarg_segment_align: 8
    .kernarg_segment_size: 56
    .language:       OpenCL C
    .language_version:
      - 2
      - 0
    .max_flat_workgroup_size: 256
    .name:           _ZN7rocprim17ROCPRIM_400000_NS6detail17trampoline_kernelINS0_14default_configENS1_32segmented_reduce_config_selectorIdEEZNS1_21segmented_reduce_implIS3_PKdPdPKidN6hipcub16HIPCUB_304000_NS6detail27convert_result_type_wrapperIS8_S9_N2at6native12_GLOBAL__N_110CustomProdEEEEE10hipError_tPvRmT0_T1_jT2_SQ_T4_T3_P12ihipStream_tbEUlT_E_NS1_11comp_targetILNS1_3genE5ELNS1_11target_archE942ELNS1_3gpuE9ELNS1_3repE0EEENS1_30default_config_static_selectorELNS0_4arch9wavefront6targetE0EEEvSP_
    .private_segment_fixed_size: 0
    .sgpr_count:     0
    .sgpr_spill_count: 0
    .symbol:         _ZN7rocprim17ROCPRIM_400000_NS6detail17trampoline_kernelINS0_14default_configENS1_32segmented_reduce_config_selectorIdEEZNS1_21segmented_reduce_implIS3_PKdPdPKidN6hipcub16HIPCUB_304000_NS6detail27convert_result_type_wrapperIS8_S9_N2at6native12_GLOBAL__N_110CustomProdEEEEE10hipError_tPvRmT0_T1_jT2_SQ_T4_T3_P12ihipStream_tbEUlT_E_NS1_11comp_targetILNS1_3genE5ELNS1_11target_archE942ELNS1_3gpuE9ELNS1_3repE0EEENS1_30default_config_static_selectorELNS0_4arch9wavefront6targetE0EEEvSP_.kd
    .uniform_work_group_size: 1
    .uses_dynamic_stack: false
    .vgpr_count:     0
    .vgpr_spill_count: 0
    .wavefront_size: 32
    .workgroup_processor_mode: 1
  - .args:
      - .offset:         0
        .size:           56
        .value_kind:     by_value
    .group_segment_fixed_size: 0
    .kernarg_segment_align: 8
    .kernarg_segment_size: 56
    .language:       OpenCL C
    .language_version:
      - 2
      - 0
    .max_flat_workgroup_size: 256
    .name:           _ZN7rocprim17ROCPRIM_400000_NS6detail17trampoline_kernelINS0_14default_configENS1_32segmented_reduce_config_selectorIdEEZNS1_21segmented_reduce_implIS3_PKdPdPKidN6hipcub16HIPCUB_304000_NS6detail27convert_result_type_wrapperIS8_S9_N2at6native12_GLOBAL__N_110CustomProdEEEEE10hipError_tPvRmT0_T1_jT2_SQ_T4_T3_P12ihipStream_tbEUlT_E_NS1_11comp_targetILNS1_3genE10ELNS1_11target_archE1201ELNS1_3gpuE5ELNS1_3repE0EEENS1_30default_config_static_selectorELNS0_4arch9wavefront6targetE0EEEvSP_
    .private_segment_fixed_size: 0
    .sgpr_count:     0
    .sgpr_spill_count: 0
    .symbol:         _ZN7rocprim17ROCPRIM_400000_NS6detail17trampoline_kernelINS0_14default_configENS1_32segmented_reduce_config_selectorIdEEZNS1_21segmented_reduce_implIS3_PKdPdPKidN6hipcub16HIPCUB_304000_NS6detail27convert_result_type_wrapperIS8_S9_N2at6native12_GLOBAL__N_110CustomProdEEEEE10hipError_tPvRmT0_T1_jT2_SQ_T4_T3_P12ihipStream_tbEUlT_E_NS1_11comp_targetILNS1_3genE10ELNS1_11target_archE1201ELNS1_3gpuE5ELNS1_3repE0EEENS1_30default_config_static_selectorELNS0_4arch9wavefront6targetE0EEEvSP_.kd
    .uniform_work_group_size: 1
    .uses_dynamic_stack: false
    .vgpr_count:     0
    .vgpr_spill_count: 0
    .wavefront_size: 32
    .workgroup_processor_mode: 1
  - .args:
      - .offset:         0
        .size:           56
        .value_kind:     by_value
    .group_segment_fixed_size: 0
    .kernarg_segment_align: 8
    .kernarg_segment_size: 56
    .language:       OpenCL C
    .language_version:
      - 2
      - 0
    .max_flat_workgroup_size: 256
    .name:           _ZN7rocprim17ROCPRIM_400000_NS6detail17trampoline_kernelINS0_14default_configENS1_32segmented_reduce_config_selectorIdEEZNS1_21segmented_reduce_implIS3_PKdPdPKidN6hipcub16HIPCUB_304000_NS6detail27convert_result_type_wrapperIS8_S9_N2at6native12_GLOBAL__N_110CustomProdEEEEE10hipError_tPvRmT0_T1_jT2_SQ_T4_T3_P12ihipStream_tbEUlT_E_NS1_11comp_targetILNS1_3genE4ELNS1_11target_archE910ELNS1_3gpuE8ELNS1_3repE0EEENS1_30default_config_static_selectorELNS0_4arch9wavefront6targetE0EEEvSP_
    .private_segment_fixed_size: 0
    .sgpr_count:     0
    .sgpr_spill_count: 0
    .symbol:         _ZN7rocprim17ROCPRIM_400000_NS6detail17trampoline_kernelINS0_14default_configENS1_32segmented_reduce_config_selectorIdEEZNS1_21segmented_reduce_implIS3_PKdPdPKidN6hipcub16HIPCUB_304000_NS6detail27convert_result_type_wrapperIS8_S9_N2at6native12_GLOBAL__N_110CustomProdEEEEE10hipError_tPvRmT0_T1_jT2_SQ_T4_T3_P12ihipStream_tbEUlT_E_NS1_11comp_targetILNS1_3genE4ELNS1_11target_archE910ELNS1_3gpuE8ELNS1_3repE0EEENS1_30default_config_static_selectorELNS0_4arch9wavefront6targetE0EEEvSP_.kd
    .uniform_work_group_size: 1
    .uses_dynamic_stack: false
    .vgpr_count:     0
    .vgpr_spill_count: 0
    .wavefront_size: 32
    .workgroup_processor_mode: 1
  - .args:
      - .offset:         0
        .size:           56
        .value_kind:     by_value
    .group_segment_fixed_size: 0
    .kernarg_segment_align: 8
    .kernarg_segment_size: 56
    .language:       OpenCL C
    .language_version:
      - 2
      - 0
    .max_flat_workgroup_size: 256
    .name:           _ZN7rocprim17ROCPRIM_400000_NS6detail17trampoline_kernelINS0_14default_configENS1_32segmented_reduce_config_selectorIdEEZNS1_21segmented_reduce_implIS3_PKdPdPKidN6hipcub16HIPCUB_304000_NS6detail27convert_result_type_wrapperIS8_S9_N2at6native12_GLOBAL__N_110CustomProdEEEEE10hipError_tPvRmT0_T1_jT2_SQ_T4_T3_P12ihipStream_tbEUlT_E_NS1_11comp_targetILNS1_3genE3ELNS1_11target_archE908ELNS1_3gpuE7ELNS1_3repE0EEENS1_30default_config_static_selectorELNS0_4arch9wavefront6targetE0EEEvSP_
    .private_segment_fixed_size: 0
    .sgpr_count:     0
    .sgpr_spill_count: 0
    .symbol:         _ZN7rocprim17ROCPRIM_400000_NS6detail17trampoline_kernelINS0_14default_configENS1_32segmented_reduce_config_selectorIdEEZNS1_21segmented_reduce_implIS3_PKdPdPKidN6hipcub16HIPCUB_304000_NS6detail27convert_result_type_wrapperIS8_S9_N2at6native12_GLOBAL__N_110CustomProdEEEEE10hipError_tPvRmT0_T1_jT2_SQ_T4_T3_P12ihipStream_tbEUlT_E_NS1_11comp_targetILNS1_3genE3ELNS1_11target_archE908ELNS1_3gpuE7ELNS1_3repE0EEENS1_30default_config_static_selectorELNS0_4arch9wavefront6targetE0EEEvSP_.kd
    .uniform_work_group_size: 1
    .uses_dynamic_stack: false
    .vgpr_count:     0
    .vgpr_spill_count: 0
    .wavefront_size: 32
    .workgroup_processor_mode: 1
  - .args:
      - .offset:         0
        .size:           56
        .value_kind:     by_value
    .group_segment_fixed_size: 0
    .kernarg_segment_align: 8
    .kernarg_segment_size: 56
    .language:       OpenCL C
    .language_version:
      - 2
      - 0
    .max_flat_workgroup_size: 256
    .name:           _ZN7rocprim17ROCPRIM_400000_NS6detail17trampoline_kernelINS0_14default_configENS1_32segmented_reduce_config_selectorIdEEZNS1_21segmented_reduce_implIS3_PKdPdPKidN6hipcub16HIPCUB_304000_NS6detail27convert_result_type_wrapperIS8_S9_N2at6native12_GLOBAL__N_110CustomProdEEEEE10hipError_tPvRmT0_T1_jT2_SQ_T4_T3_P12ihipStream_tbEUlT_E_NS1_11comp_targetILNS1_3genE2ELNS1_11target_archE906ELNS1_3gpuE6ELNS1_3repE0EEENS1_30default_config_static_selectorELNS0_4arch9wavefront6targetE0EEEvSP_
    .private_segment_fixed_size: 0
    .sgpr_count:     0
    .sgpr_spill_count: 0
    .symbol:         _ZN7rocprim17ROCPRIM_400000_NS6detail17trampoline_kernelINS0_14default_configENS1_32segmented_reduce_config_selectorIdEEZNS1_21segmented_reduce_implIS3_PKdPdPKidN6hipcub16HIPCUB_304000_NS6detail27convert_result_type_wrapperIS8_S9_N2at6native12_GLOBAL__N_110CustomProdEEEEE10hipError_tPvRmT0_T1_jT2_SQ_T4_T3_P12ihipStream_tbEUlT_E_NS1_11comp_targetILNS1_3genE2ELNS1_11target_archE906ELNS1_3gpuE6ELNS1_3repE0EEENS1_30default_config_static_selectorELNS0_4arch9wavefront6targetE0EEEvSP_.kd
    .uniform_work_group_size: 1
    .uses_dynamic_stack: false
    .vgpr_count:     0
    .vgpr_spill_count: 0
    .wavefront_size: 32
    .workgroup_processor_mode: 1
  - .args:
      - .offset:         0
        .size:           56
        .value_kind:     by_value
    .group_segment_fixed_size: 0
    .kernarg_segment_align: 8
    .kernarg_segment_size: 56
    .language:       OpenCL C
    .language_version:
      - 2
      - 0
    .max_flat_workgroup_size: 256
    .name:           _ZN7rocprim17ROCPRIM_400000_NS6detail17trampoline_kernelINS0_14default_configENS1_32segmented_reduce_config_selectorIdEEZNS1_21segmented_reduce_implIS3_PKdPdPKidN6hipcub16HIPCUB_304000_NS6detail27convert_result_type_wrapperIS8_S9_N2at6native12_GLOBAL__N_110CustomProdEEEEE10hipError_tPvRmT0_T1_jT2_SQ_T4_T3_P12ihipStream_tbEUlT_E_NS1_11comp_targetILNS1_3genE9ELNS1_11target_archE1100ELNS1_3gpuE3ELNS1_3repE0EEENS1_30default_config_static_selectorELNS0_4arch9wavefront6targetE0EEEvSP_
    .private_segment_fixed_size: 0
    .sgpr_count:     0
    .sgpr_spill_count: 0
    .symbol:         _ZN7rocprim17ROCPRIM_400000_NS6detail17trampoline_kernelINS0_14default_configENS1_32segmented_reduce_config_selectorIdEEZNS1_21segmented_reduce_implIS3_PKdPdPKidN6hipcub16HIPCUB_304000_NS6detail27convert_result_type_wrapperIS8_S9_N2at6native12_GLOBAL__N_110CustomProdEEEEE10hipError_tPvRmT0_T1_jT2_SQ_T4_T3_P12ihipStream_tbEUlT_E_NS1_11comp_targetILNS1_3genE9ELNS1_11target_archE1100ELNS1_3gpuE3ELNS1_3repE0EEENS1_30default_config_static_selectorELNS0_4arch9wavefront6targetE0EEEvSP_.kd
    .uniform_work_group_size: 1
    .uses_dynamic_stack: false
    .vgpr_count:     0
    .vgpr_spill_count: 0
    .wavefront_size: 32
    .workgroup_processor_mode: 1
  - .args:
      - .offset:         0
        .size:           56
        .value_kind:     by_value
    .group_segment_fixed_size: 64
    .kernarg_segment_align: 8
    .kernarg_segment_size: 56
    .language:       OpenCL C
    .language_version:
      - 2
      - 0
    .max_flat_workgroup_size: 256
    .name:           _ZN7rocprim17ROCPRIM_400000_NS6detail17trampoline_kernelINS0_14default_configENS1_32segmented_reduce_config_selectorIdEEZNS1_21segmented_reduce_implIS3_PKdPdPKidN6hipcub16HIPCUB_304000_NS6detail27convert_result_type_wrapperIS8_S9_N2at6native12_GLOBAL__N_110CustomProdEEEEE10hipError_tPvRmT0_T1_jT2_SQ_T4_T3_P12ihipStream_tbEUlT_E_NS1_11comp_targetILNS1_3genE8ELNS1_11target_archE1030ELNS1_3gpuE2ELNS1_3repE0EEENS1_30default_config_static_selectorELNS0_4arch9wavefront6targetE0EEEvSP_
    .private_segment_fixed_size: 0
    .sgpr_count:     33
    .sgpr_spill_count: 0
    .symbol:         _ZN7rocprim17ROCPRIM_400000_NS6detail17trampoline_kernelINS0_14default_configENS1_32segmented_reduce_config_selectorIdEEZNS1_21segmented_reduce_implIS3_PKdPdPKidN6hipcub16HIPCUB_304000_NS6detail27convert_result_type_wrapperIS8_S9_N2at6native12_GLOBAL__N_110CustomProdEEEEE10hipError_tPvRmT0_T1_jT2_SQ_T4_T3_P12ihipStream_tbEUlT_E_NS1_11comp_targetILNS1_3genE8ELNS1_11target_archE1030ELNS1_3gpuE2ELNS1_3repE0EEENS1_30default_config_static_selectorELNS0_4arch9wavefront6targetE0EEEvSP_.kd
    .uniform_work_group_size: 1
    .uses_dynamic_stack: false
    .vgpr_count:     38
    .vgpr_spill_count: 0
    .wavefront_size: 32
    .workgroup_processor_mode: 1
  - .args:
      - .offset:         0
        .size:           4
        .value_kind:     by_value
      - .address_space:  global
        .offset:         8
        .size:           8
        .value_kind:     global_buffer
      - .address_space:  global
        .offset:         16
        .size:           8
        .value_kind:     global_buffer
      - .address_space:  global
        .offset:         24
        .size:           8
        .value_kind:     global_buffer
      - .address_space:  global
        .offset:         32
        .size:           8
        .value_kind:     global_buffer
      - .offset:         40
        .size:           8
        .value_kind:     by_value
      - .offset:         48
        .size:           8
        .value_kind:     by_value
      - .offset:         56
        .size:           1
        .value_kind:     by_value
      - .offset:         60
        .size:           4
        .value_kind:     by_value
      - .offset:         64
        .size:           8
        .value_kind:     by_value
      - .offset:         72
        .size:           8
        .value_kind:     by_value
      - .offset:         80
        .size:           8
        .value_kind:     by_value
      - .offset:         88
        .size:           8
        .value_kind:     by_value
      - .offset:         96
        .size:           8
        .value_kind:     by_value
      - .offset:         104
        .size:           8
        .value_kind:     by_value
      - .offset:         112
        .size:           8
        .value_kind:     by_value
      - .offset:         120
        .size:           4
        .value_kind:     hidden_block_count_x
      - .offset:         124
        .size:           4
        .value_kind:     hidden_block_count_y
      - .offset:         128
        .size:           4
        .value_kind:     hidden_block_count_z
      - .offset:         132
        .size:           2
        .value_kind:     hidden_group_size_x
      - .offset:         134
        .size:           2
        .value_kind:     hidden_group_size_y
      - .offset:         136
        .size:           2
        .value_kind:     hidden_group_size_z
      - .offset:         138
        .size:           2
        .value_kind:     hidden_remainder_x
      - .offset:         140
        .size:           2
        .value_kind:     hidden_remainder_y
      - .offset:         142
        .size:           2
        .value_kind:     hidden_remainder_z
      - .offset:         160
        .size:           8
        .value_kind:     hidden_global_offset_x
      - .offset:         168
        .size:           8
        .value_kind:     hidden_global_offset_y
      - .offset:         176
        .size:           8
        .value_kind:     hidden_global_offset_z
      - .offset:         184
        .size:           2
        .value_kind:     hidden_grid_dims
    .group_segment_fixed_size: 0
    .kernarg_segment_align: 8
    .kernarg_segment_size: 376
    .language:       OpenCL C
    .language_version:
      - 2
      - 0
    .max_flat_workgroup_size: 1024
    .name:           _ZN2at6native12_GLOBAL__N_129segment_reduce_forward_kernelIfiEEvNS0_13ReductionTypeEPT_PKS4_PKT0_SA_llbS4_lllllll
    .private_segment_fixed_size: 0
    .sgpr_count:     44
    .sgpr_spill_count: 0
    .symbol:         _ZN2at6native12_GLOBAL__N_129segment_reduce_forward_kernelIfiEEvNS0_13ReductionTypeEPT_PKS4_PKT0_SA_llbS4_lllllll.kd
    .uniform_work_group_size: 1
    .uses_dynamic_stack: false
    .vgpr_count:     20
    .vgpr_spill_count: 0
    .wavefront_size: 32
    .workgroup_processor_mode: 1
  - .args:
      - .offset:         0
        .size:           48
        .value_kind:     by_value
    .group_segment_fixed_size: 0
    .kernarg_segment_align: 8
    .kernarg_segment_size: 48
    .language:       OpenCL C
    .language_version:
      - 2
      - 0
    .max_flat_workgroup_size: 256
    .name:           _ZN7rocprim17ROCPRIM_400000_NS6detail17trampoline_kernelINS0_14default_configENS1_32segmented_reduce_config_selectorIfEEZNS1_21segmented_reduce_implIS3_PKfPfPKifN6hipcub16HIPCUB_304000_NS6detail27convert_result_type_wrapperIS8_S9_N2at6native12_GLOBAL__N_19CustomMaxEEEEE10hipError_tPvRmT0_T1_jT2_SQ_T4_T3_P12ihipStream_tbEUlT_E_NS1_11comp_targetILNS1_3genE0ELNS1_11target_archE4294967295ELNS1_3gpuE0ELNS1_3repE0EEENS1_30default_config_static_selectorELNS0_4arch9wavefront6targetE0EEEvSP_
    .private_segment_fixed_size: 0
    .sgpr_count:     0
    .sgpr_spill_count: 0
    .symbol:         _ZN7rocprim17ROCPRIM_400000_NS6detail17trampoline_kernelINS0_14default_configENS1_32segmented_reduce_config_selectorIfEEZNS1_21segmented_reduce_implIS3_PKfPfPKifN6hipcub16HIPCUB_304000_NS6detail27convert_result_type_wrapperIS8_S9_N2at6native12_GLOBAL__N_19CustomMaxEEEEE10hipError_tPvRmT0_T1_jT2_SQ_T4_T3_P12ihipStream_tbEUlT_E_NS1_11comp_targetILNS1_3genE0ELNS1_11target_archE4294967295ELNS1_3gpuE0ELNS1_3repE0EEENS1_30default_config_static_selectorELNS0_4arch9wavefront6targetE0EEEvSP_.kd
    .uniform_work_group_size: 1
    .uses_dynamic_stack: false
    .vgpr_count:     0
    .vgpr_spill_count: 0
    .wavefront_size: 32
    .workgroup_processor_mode: 1
  - .args:
      - .offset:         0
        .size:           48
        .value_kind:     by_value
    .group_segment_fixed_size: 0
    .kernarg_segment_align: 8
    .kernarg_segment_size: 48
    .language:       OpenCL C
    .language_version:
      - 2
      - 0
    .max_flat_workgroup_size: 256
    .name:           _ZN7rocprim17ROCPRIM_400000_NS6detail17trampoline_kernelINS0_14default_configENS1_32segmented_reduce_config_selectorIfEEZNS1_21segmented_reduce_implIS3_PKfPfPKifN6hipcub16HIPCUB_304000_NS6detail27convert_result_type_wrapperIS8_S9_N2at6native12_GLOBAL__N_19CustomMaxEEEEE10hipError_tPvRmT0_T1_jT2_SQ_T4_T3_P12ihipStream_tbEUlT_E_NS1_11comp_targetILNS1_3genE5ELNS1_11target_archE942ELNS1_3gpuE9ELNS1_3repE0EEENS1_30default_config_static_selectorELNS0_4arch9wavefront6targetE0EEEvSP_
    .private_segment_fixed_size: 0
    .sgpr_count:     0
    .sgpr_spill_count: 0
    .symbol:         _ZN7rocprim17ROCPRIM_400000_NS6detail17trampoline_kernelINS0_14default_configENS1_32segmented_reduce_config_selectorIfEEZNS1_21segmented_reduce_implIS3_PKfPfPKifN6hipcub16HIPCUB_304000_NS6detail27convert_result_type_wrapperIS8_S9_N2at6native12_GLOBAL__N_19CustomMaxEEEEE10hipError_tPvRmT0_T1_jT2_SQ_T4_T3_P12ihipStream_tbEUlT_E_NS1_11comp_targetILNS1_3genE5ELNS1_11target_archE942ELNS1_3gpuE9ELNS1_3repE0EEENS1_30default_config_static_selectorELNS0_4arch9wavefront6targetE0EEEvSP_.kd
    .uniform_work_group_size: 1
    .uses_dynamic_stack: false
    .vgpr_count:     0
    .vgpr_spill_count: 0
    .wavefront_size: 32
    .workgroup_processor_mode: 1
  - .args:
      - .offset:         0
        .size:           48
        .value_kind:     by_value
    .group_segment_fixed_size: 0
    .kernarg_segment_align: 8
    .kernarg_segment_size: 48
    .language:       OpenCL C
    .language_version:
      - 2
      - 0
    .max_flat_workgroup_size: 256
    .name:           _ZN7rocprim17ROCPRIM_400000_NS6detail17trampoline_kernelINS0_14default_configENS1_32segmented_reduce_config_selectorIfEEZNS1_21segmented_reduce_implIS3_PKfPfPKifN6hipcub16HIPCUB_304000_NS6detail27convert_result_type_wrapperIS8_S9_N2at6native12_GLOBAL__N_19CustomMaxEEEEE10hipError_tPvRmT0_T1_jT2_SQ_T4_T3_P12ihipStream_tbEUlT_E_NS1_11comp_targetILNS1_3genE10ELNS1_11target_archE1201ELNS1_3gpuE5ELNS1_3repE0EEENS1_30default_config_static_selectorELNS0_4arch9wavefront6targetE0EEEvSP_
    .private_segment_fixed_size: 0
    .sgpr_count:     0
    .sgpr_spill_count: 0
    .symbol:         _ZN7rocprim17ROCPRIM_400000_NS6detail17trampoline_kernelINS0_14default_configENS1_32segmented_reduce_config_selectorIfEEZNS1_21segmented_reduce_implIS3_PKfPfPKifN6hipcub16HIPCUB_304000_NS6detail27convert_result_type_wrapperIS8_S9_N2at6native12_GLOBAL__N_19CustomMaxEEEEE10hipError_tPvRmT0_T1_jT2_SQ_T4_T3_P12ihipStream_tbEUlT_E_NS1_11comp_targetILNS1_3genE10ELNS1_11target_archE1201ELNS1_3gpuE5ELNS1_3repE0EEENS1_30default_config_static_selectorELNS0_4arch9wavefront6targetE0EEEvSP_.kd
    .uniform_work_group_size: 1
    .uses_dynamic_stack: false
    .vgpr_count:     0
    .vgpr_spill_count: 0
    .wavefront_size: 32
    .workgroup_processor_mode: 1
  - .args:
      - .offset:         0
        .size:           48
        .value_kind:     by_value
    .group_segment_fixed_size: 0
    .kernarg_segment_align: 8
    .kernarg_segment_size: 48
    .language:       OpenCL C
    .language_version:
      - 2
      - 0
    .max_flat_workgroup_size: 256
    .name:           _ZN7rocprim17ROCPRIM_400000_NS6detail17trampoline_kernelINS0_14default_configENS1_32segmented_reduce_config_selectorIfEEZNS1_21segmented_reduce_implIS3_PKfPfPKifN6hipcub16HIPCUB_304000_NS6detail27convert_result_type_wrapperIS8_S9_N2at6native12_GLOBAL__N_19CustomMaxEEEEE10hipError_tPvRmT0_T1_jT2_SQ_T4_T3_P12ihipStream_tbEUlT_E_NS1_11comp_targetILNS1_3genE4ELNS1_11target_archE910ELNS1_3gpuE8ELNS1_3repE0EEENS1_30default_config_static_selectorELNS0_4arch9wavefront6targetE0EEEvSP_
    .private_segment_fixed_size: 0
    .sgpr_count:     0
    .sgpr_spill_count: 0
    .symbol:         _ZN7rocprim17ROCPRIM_400000_NS6detail17trampoline_kernelINS0_14default_configENS1_32segmented_reduce_config_selectorIfEEZNS1_21segmented_reduce_implIS3_PKfPfPKifN6hipcub16HIPCUB_304000_NS6detail27convert_result_type_wrapperIS8_S9_N2at6native12_GLOBAL__N_19CustomMaxEEEEE10hipError_tPvRmT0_T1_jT2_SQ_T4_T3_P12ihipStream_tbEUlT_E_NS1_11comp_targetILNS1_3genE4ELNS1_11target_archE910ELNS1_3gpuE8ELNS1_3repE0EEENS1_30default_config_static_selectorELNS0_4arch9wavefront6targetE0EEEvSP_.kd
    .uniform_work_group_size: 1
    .uses_dynamic_stack: false
    .vgpr_count:     0
    .vgpr_spill_count: 0
    .wavefront_size: 32
    .workgroup_processor_mode: 1
  - .args:
      - .offset:         0
        .size:           48
        .value_kind:     by_value
    .group_segment_fixed_size: 0
    .kernarg_segment_align: 8
    .kernarg_segment_size: 48
    .language:       OpenCL C
    .language_version:
      - 2
      - 0
    .max_flat_workgroup_size: 256
    .name:           _ZN7rocprim17ROCPRIM_400000_NS6detail17trampoline_kernelINS0_14default_configENS1_32segmented_reduce_config_selectorIfEEZNS1_21segmented_reduce_implIS3_PKfPfPKifN6hipcub16HIPCUB_304000_NS6detail27convert_result_type_wrapperIS8_S9_N2at6native12_GLOBAL__N_19CustomMaxEEEEE10hipError_tPvRmT0_T1_jT2_SQ_T4_T3_P12ihipStream_tbEUlT_E_NS1_11comp_targetILNS1_3genE3ELNS1_11target_archE908ELNS1_3gpuE7ELNS1_3repE0EEENS1_30default_config_static_selectorELNS0_4arch9wavefront6targetE0EEEvSP_
    .private_segment_fixed_size: 0
    .sgpr_count:     0
    .sgpr_spill_count: 0
    .symbol:         _ZN7rocprim17ROCPRIM_400000_NS6detail17trampoline_kernelINS0_14default_configENS1_32segmented_reduce_config_selectorIfEEZNS1_21segmented_reduce_implIS3_PKfPfPKifN6hipcub16HIPCUB_304000_NS6detail27convert_result_type_wrapperIS8_S9_N2at6native12_GLOBAL__N_19CustomMaxEEEEE10hipError_tPvRmT0_T1_jT2_SQ_T4_T3_P12ihipStream_tbEUlT_E_NS1_11comp_targetILNS1_3genE3ELNS1_11target_archE908ELNS1_3gpuE7ELNS1_3repE0EEENS1_30default_config_static_selectorELNS0_4arch9wavefront6targetE0EEEvSP_.kd
    .uniform_work_group_size: 1
    .uses_dynamic_stack: false
    .vgpr_count:     0
    .vgpr_spill_count: 0
    .wavefront_size: 32
    .workgroup_processor_mode: 1
  - .args:
      - .offset:         0
        .size:           48
        .value_kind:     by_value
    .group_segment_fixed_size: 0
    .kernarg_segment_align: 8
    .kernarg_segment_size: 48
    .language:       OpenCL C
    .language_version:
      - 2
      - 0
    .max_flat_workgroup_size: 256
    .name:           _ZN7rocprim17ROCPRIM_400000_NS6detail17trampoline_kernelINS0_14default_configENS1_32segmented_reduce_config_selectorIfEEZNS1_21segmented_reduce_implIS3_PKfPfPKifN6hipcub16HIPCUB_304000_NS6detail27convert_result_type_wrapperIS8_S9_N2at6native12_GLOBAL__N_19CustomMaxEEEEE10hipError_tPvRmT0_T1_jT2_SQ_T4_T3_P12ihipStream_tbEUlT_E_NS1_11comp_targetILNS1_3genE2ELNS1_11target_archE906ELNS1_3gpuE6ELNS1_3repE0EEENS1_30default_config_static_selectorELNS0_4arch9wavefront6targetE0EEEvSP_
    .private_segment_fixed_size: 0
    .sgpr_count:     0
    .sgpr_spill_count: 0
    .symbol:         _ZN7rocprim17ROCPRIM_400000_NS6detail17trampoline_kernelINS0_14default_configENS1_32segmented_reduce_config_selectorIfEEZNS1_21segmented_reduce_implIS3_PKfPfPKifN6hipcub16HIPCUB_304000_NS6detail27convert_result_type_wrapperIS8_S9_N2at6native12_GLOBAL__N_19CustomMaxEEEEE10hipError_tPvRmT0_T1_jT2_SQ_T4_T3_P12ihipStream_tbEUlT_E_NS1_11comp_targetILNS1_3genE2ELNS1_11target_archE906ELNS1_3gpuE6ELNS1_3repE0EEENS1_30default_config_static_selectorELNS0_4arch9wavefront6targetE0EEEvSP_.kd
    .uniform_work_group_size: 1
    .uses_dynamic_stack: false
    .vgpr_count:     0
    .vgpr_spill_count: 0
    .wavefront_size: 32
    .workgroup_processor_mode: 1
  - .args:
      - .offset:         0
        .size:           48
        .value_kind:     by_value
    .group_segment_fixed_size: 0
    .kernarg_segment_align: 8
    .kernarg_segment_size: 48
    .language:       OpenCL C
    .language_version:
      - 2
      - 0
    .max_flat_workgroup_size: 256
    .name:           _ZN7rocprim17ROCPRIM_400000_NS6detail17trampoline_kernelINS0_14default_configENS1_32segmented_reduce_config_selectorIfEEZNS1_21segmented_reduce_implIS3_PKfPfPKifN6hipcub16HIPCUB_304000_NS6detail27convert_result_type_wrapperIS8_S9_N2at6native12_GLOBAL__N_19CustomMaxEEEEE10hipError_tPvRmT0_T1_jT2_SQ_T4_T3_P12ihipStream_tbEUlT_E_NS1_11comp_targetILNS1_3genE9ELNS1_11target_archE1100ELNS1_3gpuE3ELNS1_3repE0EEENS1_30default_config_static_selectorELNS0_4arch9wavefront6targetE0EEEvSP_
    .private_segment_fixed_size: 0
    .sgpr_count:     0
    .sgpr_spill_count: 0
    .symbol:         _ZN7rocprim17ROCPRIM_400000_NS6detail17trampoline_kernelINS0_14default_configENS1_32segmented_reduce_config_selectorIfEEZNS1_21segmented_reduce_implIS3_PKfPfPKifN6hipcub16HIPCUB_304000_NS6detail27convert_result_type_wrapperIS8_S9_N2at6native12_GLOBAL__N_19CustomMaxEEEEE10hipError_tPvRmT0_T1_jT2_SQ_T4_T3_P12ihipStream_tbEUlT_E_NS1_11comp_targetILNS1_3genE9ELNS1_11target_archE1100ELNS1_3gpuE3ELNS1_3repE0EEENS1_30default_config_static_selectorELNS0_4arch9wavefront6targetE0EEEvSP_.kd
    .uniform_work_group_size: 1
    .uses_dynamic_stack: false
    .vgpr_count:     0
    .vgpr_spill_count: 0
    .wavefront_size: 32
    .workgroup_processor_mode: 1
  - .args:
      - .offset:         0
        .size:           48
        .value_kind:     by_value
    .group_segment_fixed_size: 32
    .kernarg_segment_align: 8
    .kernarg_segment_size: 48
    .language:       OpenCL C
    .language_version:
      - 2
      - 0
    .max_flat_workgroup_size: 256
    .name:           _ZN7rocprim17ROCPRIM_400000_NS6detail17trampoline_kernelINS0_14default_configENS1_32segmented_reduce_config_selectorIfEEZNS1_21segmented_reduce_implIS3_PKfPfPKifN6hipcub16HIPCUB_304000_NS6detail27convert_result_type_wrapperIS8_S9_N2at6native12_GLOBAL__N_19CustomMaxEEEEE10hipError_tPvRmT0_T1_jT2_SQ_T4_T3_P12ihipStream_tbEUlT_E_NS1_11comp_targetILNS1_3genE8ELNS1_11target_archE1030ELNS1_3gpuE2ELNS1_3repE0EEENS1_30default_config_static_selectorELNS0_4arch9wavefront6targetE0EEEvSP_
    .private_segment_fixed_size: 0
    .sgpr_count:     19
    .sgpr_spill_count: 0
    .symbol:         _ZN7rocprim17ROCPRIM_400000_NS6detail17trampoline_kernelINS0_14default_configENS1_32segmented_reduce_config_selectorIfEEZNS1_21segmented_reduce_implIS3_PKfPfPKifN6hipcub16HIPCUB_304000_NS6detail27convert_result_type_wrapperIS8_S9_N2at6native12_GLOBAL__N_19CustomMaxEEEEE10hipError_tPvRmT0_T1_jT2_SQ_T4_T3_P12ihipStream_tbEUlT_E_NS1_11comp_targetILNS1_3genE8ELNS1_11target_archE1030ELNS1_3gpuE2ELNS1_3repE0EEENS1_30default_config_static_selectorELNS0_4arch9wavefront6targetE0EEEvSP_.kd
    .uniform_work_group_size: 1
    .uses_dynamic_stack: false
    .vgpr_count:     33
    .vgpr_spill_count: 0
    .wavefront_size: 32
    .workgroup_processor_mode: 1
  - .args:
      - .offset:         0
        .size:           48
        .value_kind:     by_value
    .group_segment_fixed_size: 0
    .kernarg_segment_align: 8
    .kernarg_segment_size: 48
    .language:       OpenCL C
    .language_version:
      - 2
      - 0
    .max_flat_workgroup_size: 256
    .name:           _ZN7rocprim17ROCPRIM_400000_NS6detail17trampoline_kernelINS0_14default_configENS1_32segmented_reduce_config_selectorIfEEZNS1_21segmented_reduce_implIS3_PKfPfPKifN6hipcub16HIPCUB_304000_NS6detail27convert_result_type_wrapperIS8_S9_N2at6native12_GLOBAL__N_19CustomSumEEEEE10hipError_tPvRmT0_T1_jT2_SQ_T4_T3_P12ihipStream_tbEUlT_E_NS1_11comp_targetILNS1_3genE0ELNS1_11target_archE4294967295ELNS1_3gpuE0ELNS1_3repE0EEENS1_30default_config_static_selectorELNS0_4arch9wavefront6targetE0EEEvSP_
    .private_segment_fixed_size: 0
    .sgpr_count:     0
    .sgpr_spill_count: 0
    .symbol:         _ZN7rocprim17ROCPRIM_400000_NS6detail17trampoline_kernelINS0_14default_configENS1_32segmented_reduce_config_selectorIfEEZNS1_21segmented_reduce_implIS3_PKfPfPKifN6hipcub16HIPCUB_304000_NS6detail27convert_result_type_wrapperIS8_S9_N2at6native12_GLOBAL__N_19CustomSumEEEEE10hipError_tPvRmT0_T1_jT2_SQ_T4_T3_P12ihipStream_tbEUlT_E_NS1_11comp_targetILNS1_3genE0ELNS1_11target_archE4294967295ELNS1_3gpuE0ELNS1_3repE0EEENS1_30default_config_static_selectorELNS0_4arch9wavefront6targetE0EEEvSP_.kd
    .uniform_work_group_size: 1
    .uses_dynamic_stack: false
    .vgpr_count:     0
    .vgpr_spill_count: 0
    .wavefront_size: 32
    .workgroup_processor_mode: 1
  - .args:
      - .offset:         0
        .size:           48
        .value_kind:     by_value
    .group_segment_fixed_size: 0
    .kernarg_segment_align: 8
    .kernarg_segment_size: 48
    .language:       OpenCL C
    .language_version:
      - 2
      - 0
    .max_flat_workgroup_size: 256
    .name:           _ZN7rocprim17ROCPRIM_400000_NS6detail17trampoline_kernelINS0_14default_configENS1_32segmented_reduce_config_selectorIfEEZNS1_21segmented_reduce_implIS3_PKfPfPKifN6hipcub16HIPCUB_304000_NS6detail27convert_result_type_wrapperIS8_S9_N2at6native12_GLOBAL__N_19CustomSumEEEEE10hipError_tPvRmT0_T1_jT2_SQ_T4_T3_P12ihipStream_tbEUlT_E_NS1_11comp_targetILNS1_3genE5ELNS1_11target_archE942ELNS1_3gpuE9ELNS1_3repE0EEENS1_30default_config_static_selectorELNS0_4arch9wavefront6targetE0EEEvSP_
    .private_segment_fixed_size: 0
    .sgpr_count:     0
    .sgpr_spill_count: 0
    .symbol:         _ZN7rocprim17ROCPRIM_400000_NS6detail17trampoline_kernelINS0_14default_configENS1_32segmented_reduce_config_selectorIfEEZNS1_21segmented_reduce_implIS3_PKfPfPKifN6hipcub16HIPCUB_304000_NS6detail27convert_result_type_wrapperIS8_S9_N2at6native12_GLOBAL__N_19CustomSumEEEEE10hipError_tPvRmT0_T1_jT2_SQ_T4_T3_P12ihipStream_tbEUlT_E_NS1_11comp_targetILNS1_3genE5ELNS1_11target_archE942ELNS1_3gpuE9ELNS1_3repE0EEENS1_30default_config_static_selectorELNS0_4arch9wavefront6targetE0EEEvSP_.kd
    .uniform_work_group_size: 1
    .uses_dynamic_stack: false
    .vgpr_count:     0
    .vgpr_spill_count: 0
    .wavefront_size: 32
    .workgroup_processor_mode: 1
  - .args:
      - .offset:         0
        .size:           48
        .value_kind:     by_value
    .group_segment_fixed_size: 0
    .kernarg_segment_align: 8
    .kernarg_segment_size: 48
    .language:       OpenCL C
    .language_version:
      - 2
      - 0
    .max_flat_workgroup_size: 256
    .name:           _ZN7rocprim17ROCPRIM_400000_NS6detail17trampoline_kernelINS0_14default_configENS1_32segmented_reduce_config_selectorIfEEZNS1_21segmented_reduce_implIS3_PKfPfPKifN6hipcub16HIPCUB_304000_NS6detail27convert_result_type_wrapperIS8_S9_N2at6native12_GLOBAL__N_19CustomSumEEEEE10hipError_tPvRmT0_T1_jT2_SQ_T4_T3_P12ihipStream_tbEUlT_E_NS1_11comp_targetILNS1_3genE10ELNS1_11target_archE1201ELNS1_3gpuE5ELNS1_3repE0EEENS1_30default_config_static_selectorELNS0_4arch9wavefront6targetE0EEEvSP_
    .private_segment_fixed_size: 0
    .sgpr_count:     0
    .sgpr_spill_count: 0
    .symbol:         _ZN7rocprim17ROCPRIM_400000_NS6detail17trampoline_kernelINS0_14default_configENS1_32segmented_reduce_config_selectorIfEEZNS1_21segmented_reduce_implIS3_PKfPfPKifN6hipcub16HIPCUB_304000_NS6detail27convert_result_type_wrapperIS8_S9_N2at6native12_GLOBAL__N_19CustomSumEEEEE10hipError_tPvRmT0_T1_jT2_SQ_T4_T3_P12ihipStream_tbEUlT_E_NS1_11comp_targetILNS1_3genE10ELNS1_11target_archE1201ELNS1_3gpuE5ELNS1_3repE0EEENS1_30default_config_static_selectorELNS0_4arch9wavefront6targetE0EEEvSP_.kd
    .uniform_work_group_size: 1
    .uses_dynamic_stack: false
    .vgpr_count:     0
    .vgpr_spill_count: 0
    .wavefront_size: 32
    .workgroup_processor_mode: 1
  - .args:
      - .offset:         0
        .size:           48
        .value_kind:     by_value
    .group_segment_fixed_size: 0
    .kernarg_segment_align: 8
    .kernarg_segment_size: 48
    .language:       OpenCL C
    .language_version:
      - 2
      - 0
    .max_flat_workgroup_size: 256
    .name:           _ZN7rocprim17ROCPRIM_400000_NS6detail17trampoline_kernelINS0_14default_configENS1_32segmented_reduce_config_selectorIfEEZNS1_21segmented_reduce_implIS3_PKfPfPKifN6hipcub16HIPCUB_304000_NS6detail27convert_result_type_wrapperIS8_S9_N2at6native12_GLOBAL__N_19CustomSumEEEEE10hipError_tPvRmT0_T1_jT2_SQ_T4_T3_P12ihipStream_tbEUlT_E_NS1_11comp_targetILNS1_3genE4ELNS1_11target_archE910ELNS1_3gpuE8ELNS1_3repE0EEENS1_30default_config_static_selectorELNS0_4arch9wavefront6targetE0EEEvSP_
    .private_segment_fixed_size: 0
    .sgpr_count:     0
    .sgpr_spill_count: 0
    .symbol:         _ZN7rocprim17ROCPRIM_400000_NS6detail17trampoline_kernelINS0_14default_configENS1_32segmented_reduce_config_selectorIfEEZNS1_21segmented_reduce_implIS3_PKfPfPKifN6hipcub16HIPCUB_304000_NS6detail27convert_result_type_wrapperIS8_S9_N2at6native12_GLOBAL__N_19CustomSumEEEEE10hipError_tPvRmT0_T1_jT2_SQ_T4_T3_P12ihipStream_tbEUlT_E_NS1_11comp_targetILNS1_3genE4ELNS1_11target_archE910ELNS1_3gpuE8ELNS1_3repE0EEENS1_30default_config_static_selectorELNS0_4arch9wavefront6targetE0EEEvSP_.kd
    .uniform_work_group_size: 1
    .uses_dynamic_stack: false
    .vgpr_count:     0
    .vgpr_spill_count: 0
    .wavefront_size: 32
    .workgroup_processor_mode: 1
  - .args:
      - .offset:         0
        .size:           48
        .value_kind:     by_value
    .group_segment_fixed_size: 0
    .kernarg_segment_align: 8
    .kernarg_segment_size: 48
    .language:       OpenCL C
    .language_version:
      - 2
      - 0
    .max_flat_workgroup_size: 256
    .name:           _ZN7rocprim17ROCPRIM_400000_NS6detail17trampoline_kernelINS0_14default_configENS1_32segmented_reduce_config_selectorIfEEZNS1_21segmented_reduce_implIS3_PKfPfPKifN6hipcub16HIPCUB_304000_NS6detail27convert_result_type_wrapperIS8_S9_N2at6native12_GLOBAL__N_19CustomSumEEEEE10hipError_tPvRmT0_T1_jT2_SQ_T4_T3_P12ihipStream_tbEUlT_E_NS1_11comp_targetILNS1_3genE3ELNS1_11target_archE908ELNS1_3gpuE7ELNS1_3repE0EEENS1_30default_config_static_selectorELNS0_4arch9wavefront6targetE0EEEvSP_
    .private_segment_fixed_size: 0
    .sgpr_count:     0
    .sgpr_spill_count: 0
    .symbol:         _ZN7rocprim17ROCPRIM_400000_NS6detail17trampoline_kernelINS0_14default_configENS1_32segmented_reduce_config_selectorIfEEZNS1_21segmented_reduce_implIS3_PKfPfPKifN6hipcub16HIPCUB_304000_NS6detail27convert_result_type_wrapperIS8_S9_N2at6native12_GLOBAL__N_19CustomSumEEEEE10hipError_tPvRmT0_T1_jT2_SQ_T4_T3_P12ihipStream_tbEUlT_E_NS1_11comp_targetILNS1_3genE3ELNS1_11target_archE908ELNS1_3gpuE7ELNS1_3repE0EEENS1_30default_config_static_selectorELNS0_4arch9wavefront6targetE0EEEvSP_.kd
    .uniform_work_group_size: 1
    .uses_dynamic_stack: false
    .vgpr_count:     0
    .vgpr_spill_count: 0
    .wavefront_size: 32
    .workgroup_processor_mode: 1
  - .args:
      - .offset:         0
        .size:           48
        .value_kind:     by_value
    .group_segment_fixed_size: 0
    .kernarg_segment_align: 8
    .kernarg_segment_size: 48
    .language:       OpenCL C
    .language_version:
      - 2
      - 0
    .max_flat_workgroup_size: 256
    .name:           _ZN7rocprim17ROCPRIM_400000_NS6detail17trampoline_kernelINS0_14default_configENS1_32segmented_reduce_config_selectorIfEEZNS1_21segmented_reduce_implIS3_PKfPfPKifN6hipcub16HIPCUB_304000_NS6detail27convert_result_type_wrapperIS8_S9_N2at6native12_GLOBAL__N_19CustomSumEEEEE10hipError_tPvRmT0_T1_jT2_SQ_T4_T3_P12ihipStream_tbEUlT_E_NS1_11comp_targetILNS1_3genE2ELNS1_11target_archE906ELNS1_3gpuE6ELNS1_3repE0EEENS1_30default_config_static_selectorELNS0_4arch9wavefront6targetE0EEEvSP_
    .private_segment_fixed_size: 0
    .sgpr_count:     0
    .sgpr_spill_count: 0
    .symbol:         _ZN7rocprim17ROCPRIM_400000_NS6detail17trampoline_kernelINS0_14default_configENS1_32segmented_reduce_config_selectorIfEEZNS1_21segmented_reduce_implIS3_PKfPfPKifN6hipcub16HIPCUB_304000_NS6detail27convert_result_type_wrapperIS8_S9_N2at6native12_GLOBAL__N_19CustomSumEEEEE10hipError_tPvRmT0_T1_jT2_SQ_T4_T3_P12ihipStream_tbEUlT_E_NS1_11comp_targetILNS1_3genE2ELNS1_11target_archE906ELNS1_3gpuE6ELNS1_3repE0EEENS1_30default_config_static_selectorELNS0_4arch9wavefront6targetE0EEEvSP_.kd
    .uniform_work_group_size: 1
    .uses_dynamic_stack: false
    .vgpr_count:     0
    .vgpr_spill_count: 0
    .wavefront_size: 32
    .workgroup_processor_mode: 1
  - .args:
      - .offset:         0
        .size:           48
        .value_kind:     by_value
    .group_segment_fixed_size: 0
    .kernarg_segment_align: 8
    .kernarg_segment_size: 48
    .language:       OpenCL C
    .language_version:
      - 2
      - 0
    .max_flat_workgroup_size: 256
    .name:           _ZN7rocprim17ROCPRIM_400000_NS6detail17trampoline_kernelINS0_14default_configENS1_32segmented_reduce_config_selectorIfEEZNS1_21segmented_reduce_implIS3_PKfPfPKifN6hipcub16HIPCUB_304000_NS6detail27convert_result_type_wrapperIS8_S9_N2at6native12_GLOBAL__N_19CustomSumEEEEE10hipError_tPvRmT0_T1_jT2_SQ_T4_T3_P12ihipStream_tbEUlT_E_NS1_11comp_targetILNS1_3genE9ELNS1_11target_archE1100ELNS1_3gpuE3ELNS1_3repE0EEENS1_30default_config_static_selectorELNS0_4arch9wavefront6targetE0EEEvSP_
    .private_segment_fixed_size: 0
    .sgpr_count:     0
    .sgpr_spill_count: 0
    .symbol:         _ZN7rocprim17ROCPRIM_400000_NS6detail17trampoline_kernelINS0_14default_configENS1_32segmented_reduce_config_selectorIfEEZNS1_21segmented_reduce_implIS3_PKfPfPKifN6hipcub16HIPCUB_304000_NS6detail27convert_result_type_wrapperIS8_S9_N2at6native12_GLOBAL__N_19CustomSumEEEEE10hipError_tPvRmT0_T1_jT2_SQ_T4_T3_P12ihipStream_tbEUlT_E_NS1_11comp_targetILNS1_3genE9ELNS1_11target_archE1100ELNS1_3gpuE3ELNS1_3repE0EEENS1_30default_config_static_selectorELNS0_4arch9wavefront6targetE0EEEvSP_.kd
    .uniform_work_group_size: 1
    .uses_dynamic_stack: false
    .vgpr_count:     0
    .vgpr_spill_count: 0
    .wavefront_size: 32
    .workgroup_processor_mode: 1
  - .args:
      - .offset:         0
        .size:           48
        .value_kind:     by_value
    .group_segment_fixed_size: 32
    .kernarg_segment_align: 8
    .kernarg_segment_size: 48
    .language:       OpenCL C
    .language_version:
      - 2
      - 0
    .max_flat_workgroup_size: 256
    .name:           _ZN7rocprim17ROCPRIM_400000_NS6detail17trampoline_kernelINS0_14default_configENS1_32segmented_reduce_config_selectorIfEEZNS1_21segmented_reduce_implIS3_PKfPfPKifN6hipcub16HIPCUB_304000_NS6detail27convert_result_type_wrapperIS8_S9_N2at6native12_GLOBAL__N_19CustomSumEEEEE10hipError_tPvRmT0_T1_jT2_SQ_T4_T3_P12ihipStream_tbEUlT_E_NS1_11comp_targetILNS1_3genE8ELNS1_11target_archE1030ELNS1_3gpuE2ELNS1_3repE0EEENS1_30default_config_static_selectorELNS0_4arch9wavefront6targetE0EEEvSP_
    .private_segment_fixed_size: 0
    .sgpr_count:     32
    .sgpr_spill_count: 0
    .symbol:         _ZN7rocprim17ROCPRIM_400000_NS6detail17trampoline_kernelINS0_14default_configENS1_32segmented_reduce_config_selectorIfEEZNS1_21segmented_reduce_implIS3_PKfPfPKifN6hipcub16HIPCUB_304000_NS6detail27convert_result_type_wrapperIS8_S9_N2at6native12_GLOBAL__N_19CustomSumEEEEE10hipError_tPvRmT0_T1_jT2_SQ_T4_T3_P12ihipStream_tbEUlT_E_NS1_11comp_targetILNS1_3genE8ELNS1_11target_archE1030ELNS1_3gpuE2ELNS1_3repE0EEENS1_30default_config_static_selectorELNS0_4arch9wavefront6targetE0EEEvSP_.kd
    .uniform_work_group_size: 1
    .uses_dynamic_stack: false
    .vgpr_count:     25
    .vgpr_spill_count: 0
    .wavefront_size: 32
    .workgroup_processor_mode: 1
  - .args:
      - .address_space:  global
        .offset:         0
        .size:           8
        .value_kind:     global_buffer
      - .address_space:  global
        .offset:         8
        .size:           8
        .value_kind:     global_buffer
      - .offset:         16
        .size:           8
        .value_kind:     by_value
      - .offset:         24
        .size:           1
        .value_kind:     by_value
      - .offset:         28
        .size:           4
        .value_kind:     by_value
      - .offset:         32
        .size:           4
        .value_kind:     hidden_block_count_x
      - .offset:         36
        .size:           4
        .value_kind:     hidden_block_count_y
      - .offset:         40
        .size:           4
        .value_kind:     hidden_block_count_z
      - .offset:         44
        .size:           2
        .value_kind:     hidden_group_size_x
      - .offset:         46
        .size:           2
        .value_kind:     hidden_group_size_y
      - .offset:         48
        .size:           2
        .value_kind:     hidden_group_size_z
      - .offset:         50
        .size:           2
        .value_kind:     hidden_remainder_x
      - .offset:         52
        .size:           2
        .value_kind:     hidden_remainder_y
      - .offset:         54
        .size:           2
        .value_kind:     hidden_remainder_z
      - .offset:         72
        .size:           8
        .value_kind:     hidden_global_offset_x
      - .offset:         80
        .size:           8
        .value_kind:     hidden_global_offset_y
      - .offset:         88
        .size:           8
        .value_kind:     hidden_global_offset_z
      - .offset:         96
        .size:           2
        .value_kind:     hidden_grid_dims
    .group_segment_fixed_size: 0
    .kernarg_segment_align: 8
    .kernarg_segment_size: 288
    .language:       OpenCL C
    .language_version:
      - 2
      - 0
    .max_flat_workgroup_size: 1024
    .name:           _ZN2at6native12_GLOBAL__N_119post_sum_div_kernelIfiEEvPT_PKT0_lbS3_
    .private_segment_fixed_size: 0
    .sgpr_count:     18
    .sgpr_spill_count: 0
    .symbol:         _ZN2at6native12_GLOBAL__N_119post_sum_div_kernelIfiEEvPT_PKT0_lbS3_.kd
    .uniform_work_group_size: 1
    .uses_dynamic_stack: false
    .vgpr_count:     14
    .vgpr_spill_count: 0
    .wavefront_size: 32
    .workgroup_processor_mode: 1
  - .args:
      - .offset:         0
        .size:           48
        .value_kind:     by_value
    .group_segment_fixed_size: 0
    .kernarg_segment_align: 8
    .kernarg_segment_size: 48
    .language:       OpenCL C
    .language_version:
      - 2
      - 0
    .max_flat_workgroup_size: 256
    .name:           _ZN7rocprim17ROCPRIM_400000_NS6detail17trampoline_kernelINS0_14default_configENS1_32segmented_reduce_config_selectorIfEEZNS1_21segmented_reduce_implIS3_PKfPfPKifN6hipcub16HIPCUB_304000_NS6detail27convert_result_type_wrapperIS8_S9_N2at6native12_GLOBAL__N_19CustomMinEEEEE10hipError_tPvRmT0_T1_jT2_SQ_T4_T3_P12ihipStream_tbEUlT_E_NS1_11comp_targetILNS1_3genE0ELNS1_11target_archE4294967295ELNS1_3gpuE0ELNS1_3repE0EEENS1_30default_config_static_selectorELNS0_4arch9wavefront6targetE0EEEvSP_
    .private_segment_fixed_size: 0
    .sgpr_count:     0
    .sgpr_spill_count: 0
    .symbol:         _ZN7rocprim17ROCPRIM_400000_NS6detail17trampoline_kernelINS0_14default_configENS1_32segmented_reduce_config_selectorIfEEZNS1_21segmented_reduce_implIS3_PKfPfPKifN6hipcub16HIPCUB_304000_NS6detail27convert_result_type_wrapperIS8_S9_N2at6native12_GLOBAL__N_19CustomMinEEEEE10hipError_tPvRmT0_T1_jT2_SQ_T4_T3_P12ihipStream_tbEUlT_E_NS1_11comp_targetILNS1_3genE0ELNS1_11target_archE4294967295ELNS1_3gpuE0ELNS1_3repE0EEENS1_30default_config_static_selectorELNS0_4arch9wavefront6targetE0EEEvSP_.kd
    .uniform_work_group_size: 1
    .uses_dynamic_stack: false
    .vgpr_count:     0
    .vgpr_spill_count: 0
    .wavefront_size: 32
    .workgroup_processor_mode: 1
  - .args:
      - .offset:         0
        .size:           48
        .value_kind:     by_value
    .group_segment_fixed_size: 0
    .kernarg_segment_align: 8
    .kernarg_segment_size: 48
    .language:       OpenCL C
    .language_version:
      - 2
      - 0
    .max_flat_workgroup_size: 256
    .name:           _ZN7rocprim17ROCPRIM_400000_NS6detail17trampoline_kernelINS0_14default_configENS1_32segmented_reduce_config_selectorIfEEZNS1_21segmented_reduce_implIS3_PKfPfPKifN6hipcub16HIPCUB_304000_NS6detail27convert_result_type_wrapperIS8_S9_N2at6native12_GLOBAL__N_19CustomMinEEEEE10hipError_tPvRmT0_T1_jT2_SQ_T4_T3_P12ihipStream_tbEUlT_E_NS1_11comp_targetILNS1_3genE5ELNS1_11target_archE942ELNS1_3gpuE9ELNS1_3repE0EEENS1_30default_config_static_selectorELNS0_4arch9wavefront6targetE0EEEvSP_
    .private_segment_fixed_size: 0
    .sgpr_count:     0
    .sgpr_spill_count: 0
    .symbol:         _ZN7rocprim17ROCPRIM_400000_NS6detail17trampoline_kernelINS0_14default_configENS1_32segmented_reduce_config_selectorIfEEZNS1_21segmented_reduce_implIS3_PKfPfPKifN6hipcub16HIPCUB_304000_NS6detail27convert_result_type_wrapperIS8_S9_N2at6native12_GLOBAL__N_19CustomMinEEEEE10hipError_tPvRmT0_T1_jT2_SQ_T4_T3_P12ihipStream_tbEUlT_E_NS1_11comp_targetILNS1_3genE5ELNS1_11target_archE942ELNS1_3gpuE9ELNS1_3repE0EEENS1_30default_config_static_selectorELNS0_4arch9wavefront6targetE0EEEvSP_.kd
    .uniform_work_group_size: 1
    .uses_dynamic_stack: false
    .vgpr_count:     0
    .vgpr_spill_count: 0
    .wavefront_size: 32
    .workgroup_processor_mode: 1
  - .args:
      - .offset:         0
        .size:           48
        .value_kind:     by_value
    .group_segment_fixed_size: 0
    .kernarg_segment_align: 8
    .kernarg_segment_size: 48
    .language:       OpenCL C
    .language_version:
      - 2
      - 0
    .max_flat_workgroup_size: 256
    .name:           _ZN7rocprim17ROCPRIM_400000_NS6detail17trampoline_kernelINS0_14default_configENS1_32segmented_reduce_config_selectorIfEEZNS1_21segmented_reduce_implIS3_PKfPfPKifN6hipcub16HIPCUB_304000_NS6detail27convert_result_type_wrapperIS8_S9_N2at6native12_GLOBAL__N_19CustomMinEEEEE10hipError_tPvRmT0_T1_jT2_SQ_T4_T3_P12ihipStream_tbEUlT_E_NS1_11comp_targetILNS1_3genE10ELNS1_11target_archE1201ELNS1_3gpuE5ELNS1_3repE0EEENS1_30default_config_static_selectorELNS0_4arch9wavefront6targetE0EEEvSP_
    .private_segment_fixed_size: 0
    .sgpr_count:     0
    .sgpr_spill_count: 0
    .symbol:         _ZN7rocprim17ROCPRIM_400000_NS6detail17trampoline_kernelINS0_14default_configENS1_32segmented_reduce_config_selectorIfEEZNS1_21segmented_reduce_implIS3_PKfPfPKifN6hipcub16HIPCUB_304000_NS6detail27convert_result_type_wrapperIS8_S9_N2at6native12_GLOBAL__N_19CustomMinEEEEE10hipError_tPvRmT0_T1_jT2_SQ_T4_T3_P12ihipStream_tbEUlT_E_NS1_11comp_targetILNS1_3genE10ELNS1_11target_archE1201ELNS1_3gpuE5ELNS1_3repE0EEENS1_30default_config_static_selectorELNS0_4arch9wavefront6targetE0EEEvSP_.kd
    .uniform_work_group_size: 1
    .uses_dynamic_stack: false
    .vgpr_count:     0
    .vgpr_spill_count: 0
    .wavefront_size: 32
    .workgroup_processor_mode: 1
  - .args:
      - .offset:         0
        .size:           48
        .value_kind:     by_value
    .group_segment_fixed_size: 0
    .kernarg_segment_align: 8
    .kernarg_segment_size: 48
    .language:       OpenCL C
    .language_version:
      - 2
      - 0
    .max_flat_workgroup_size: 256
    .name:           _ZN7rocprim17ROCPRIM_400000_NS6detail17trampoline_kernelINS0_14default_configENS1_32segmented_reduce_config_selectorIfEEZNS1_21segmented_reduce_implIS3_PKfPfPKifN6hipcub16HIPCUB_304000_NS6detail27convert_result_type_wrapperIS8_S9_N2at6native12_GLOBAL__N_19CustomMinEEEEE10hipError_tPvRmT0_T1_jT2_SQ_T4_T3_P12ihipStream_tbEUlT_E_NS1_11comp_targetILNS1_3genE4ELNS1_11target_archE910ELNS1_3gpuE8ELNS1_3repE0EEENS1_30default_config_static_selectorELNS0_4arch9wavefront6targetE0EEEvSP_
    .private_segment_fixed_size: 0
    .sgpr_count:     0
    .sgpr_spill_count: 0
    .symbol:         _ZN7rocprim17ROCPRIM_400000_NS6detail17trampoline_kernelINS0_14default_configENS1_32segmented_reduce_config_selectorIfEEZNS1_21segmented_reduce_implIS3_PKfPfPKifN6hipcub16HIPCUB_304000_NS6detail27convert_result_type_wrapperIS8_S9_N2at6native12_GLOBAL__N_19CustomMinEEEEE10hipError_tPvRmT0_T1_jT2_SQ_T4_T3_P12ihipStream_tbEUlT_E_NS1_11comp_targetILNS1_3genE4ELNS1_11target_archE910ELNS1_3gpuE8ELNS1_3repE0EEENS1_30default_config_static_selectorELNS0_4arch9wavefront6targetE0EEEvSP_.kd
    .uniform_work_group_size: 1
    .uses_dynamic_stack: false
    .vgpr_count:     0
    .vgpr_spill_count: 0
    .wavefront_size: 32
    .workgroup_processor_mode: 1
  - .args:
      - .offset:         0
        .size:           48
        .value_kind:     by_value
    .group_segment_fixed_size: 0
    .kernarg_segment_align: 8
    .kernarg_segment_size: 48
    .language:       OpenCL C
    .language_version:
      - 2
      - 0
    .max_flat_workgroup_size: 256
    .name:           _ZN7rocprim17ROCPRIM_400000_NS6detail17trampoline_kernelINS0_14default_configENS1_32segmented_reduce_config_selectorIfEEZNS1_21segmented_reduce_implIS3_PKfPfPKifN6hipcub16HIPCUB_304000_NS6detail27convert_result_type_wrapperIS8_S9_N2at6native12_GLOBAL__N_19CustomMinEEEEE10hipError_tPvRmT0_T1_jT2_SQ_T4_T3_P12ihipStream_tbEUlT_E_NS1_11comp_targetILNS1_3genE3ELNS1_11target_archE908ELNS1_3gpuE7ELNS1_3repE0EEENS1_30default_config_static_selectorELNS0_4arch9wavefront6targetE0EEEvSP_
    .private_segment_fixed_size: 0
    .sgpr_count:     0
    .sgpr_spill_count: 0
    .symbol:         _ZN7rocprim17ROCPRIM_400000_NS6detail17trampoline_kernelINS0_14default_configENS1_32segmented_reduce_config_selectorIfEEZNS1_21segmented_reduce_implIS3_PKfPfPKifN6hipcub16HIPCUB_304000_NS6detail27convert_result_type_wrapperIS8_S9_N2at6native12_GLOBAL__N_19CustomMinEEEEE10hipError_tPvRmT0_T1_jT2_SQ_T4_T3_P12ihipStream_tbEUlT_E_NS1_11comp_targetILNS1_3genE3ELNS1_11target_archE908ELNS1_3gpuE7ELNS1_3repE0EEENS1_30default_config_static_selectorELNS0_4arch9wavefront6targetE0EEEvSP_.kd
    .uniform_work_group_size: 1
    .uses_dynamic_stack: false
    .vgpr_count:     0
    .vgpr_spill_count: 0
    .wavefront_size: 32
    .workgroup_processor_mode: 1
  - .args:
      - .offset:         0
        .size:           48
        .value_kind:     by_value
    .group_segment_fixed_size: 0
    .kernarg_segment_align: 8
    .kernarg_segment_size: 48
    .language:       OpenCL C
    .language_version:
      - 2
      - 0
    .max_flat_workgroup_size: 256
    .name:           _ZN7rocprim17ROCPRIM_400000_NS6detail17trampoline_kernelINS0_14default_configENS1_32segmented_reduce_config_selectorIfEEZNS1_21segmented_reduce_implIS3_PKfPfPKifN6hipcub16HIPCUB_304000_NS6detail27convert_result_type_wrapperIS8_S9_N2at6native12_GLOBAL__N_19CustomMinEEEEE10hipError_tPvRmT0_T1_jT2_SQ_T4_T3_P12ihipStream_tbEUlT_E_NS1_11comp_targetILNS1_3genE2ELNS1_11target_archE906ELNS1_3gpuE6ELNS1_3repE0EEENS1_30default_config_static_selectorELNS0_4arch9wavefront6targetE0EEEvSP_
    .private_segment_fixed_size: 0
    .sgpr_count:     0
    .sgpr_spill_count: 0
    .symbol:         _ZN7rocprim17ROCPRIM_400000_NS6detail17trampoline_kernelINS0_14default_configENS1_32segmented_reduce_config_selectorIfEEZNS1_21segmented_reduce_implIS3_PKfPfPKifN6hipcub16HIPCUB_304000_NS6detail27convert_result_type_wrapperIS8_S9_N2at6native12_GLOBAL__N_19CustomMinEEEEE10hipError_tPvRmT0_T1_jT2_SQ_T4_T3_P12ihipStream_tbEUlT_E_NS1_11comp_targetILNS1_3genE2ELNS1_11target_archE906ELNS1_3gpuE6ELNS1_3repE0EEENS1_30default_config_static_selectorELNS0_4arch9wavefront6targetE0EEEvSP_.kd
    .uniform_work_group_size: 1
    .uses_dynamic_stack: false
    .vgpr_count:     0
    .vgpr_spill_count: 0
    .wavefront_size: 32
    .workgroup_processor_mode: 1
  - .args:
      - .offset:         0
        .size:           48
        .value_kind:     by_value
    .group_segment_fixed_size: 0
    .kernarg_segment_align: 8
    .kernarg_segment_size: 48
    .language:       OpenCL C
    .language_version:
      - 2
      - 0
    .max_flat_workgroup_size: 256
    .name:           _ZN7rocprim17ROCPRIM_400000_NS6detail17trampoline_kernelINS0_14default_configENS1_32segmented_reduce_config_selectorIfEEZNS1_21segmented_reduce_implIS3_PKfPfPKifN6hipcub16HIPCUB_304000_NS6detail27convert_result_type_wrapperIS8_S9_N2at6native12_GLOBAL__N_19CustomMinEEEEE10hipError_tPvRmT0_T1_jT2_SQ_T4_T3_P12ihipStream_tbEUlT_E_NS1_11comp_targetILNS1_3genE9ELNS1_11target_archE1100ELNS1_3gpuE3ELNS1_3repE0EEENS1_30default_config_static_selectorELNS0_4arch9wavefront6targetE0EEEvSP_
    .private_segment_fixed_size: 0
    .sgpr_count:     0
    .sgpr_spill_count: 0
    .symbol:         _ZN7rocprim17ROCPRIM_400000_NS6detail17trampoline_kernelINS0_14default_configENS1_32segmented_reduce_config_selectorIfEEZNS1_21segmented_reduce_implIS3_PKfPfPKifN6hipcub16HIPCUB_304000_NS6detail27convert_result_type_wrapperIS8_S9_N2at6native12_GLOBAL__N_19CustomMinEEEEE10hipError_tPvRmT0_T1_jT2_SQ_T4_T3_P12ihipStream_tbEUlT_E_NS1_11comp_targetILNS1_3genE9ELNS1_11target_archE1100ELNS1_3gpuE3ELNS1_3repE0EEENS1_30default_config_static_selectorELNS0_4arch9wavefront6targetE0EEEvSP_.kd
    .uniform_work_group_size: 1
    .uses_dynamic_stack: false
    .vgpr_count:     0
    .vgpr_spill_count: 0
    .wavefront_size: 32
    .workgroup_processor_mode: 1
  - .args:
      - .offset:         0
        .size:           48
        .value_kind:     by_value
    .group_segment_fixed_size: 32
    .kernarg_segment_align: 8
    .kernarg_segment_size: 48
    .language:       OpenCL C
    .language_version:
      - 2
      - 0
    .max_flat_workgroup_size: 256
    .name:           _ZN7rocprim17ROCPRIM_400000_NS6detail17trampoline_kernelINS0_14default_configENS1_32segmented_reduce_config_selectorIfEEZNS1_21segmented_reduce_implIS3_PKfPfPKifN6hipcub16HIPCUB_304000_NS6detail27convert_result_type_wrapperIS8_S9_N2at6native12_GLOBAL__N_19CustomMinEEEEE10hipError_tPvRmT0_T1_jT2_SQ_T4_T3_P12ihipStream_tbEUlT_E_NS1_11comp_targetILNS1_3genE8ELNS1_11target_archE1030ELNS1_3gpuE2ELNS1_3repE0EEENS1_30default_config_static_selectorELNS0_4arch9wavefront6targetE0EEEvSP_
    .private_segment_fixed_size: 0
    .sgpr_count:     19
    .sgpr_spill_count: 0
    .symbol:         _ZN7rocprim17ROCPRIM_400000_NS6detail17trampoline_kernelINS0_14default_configENS1_32segmented_reduce_config_selectorIfEEZNS1_21segmented_reduce_implIS3_PKfPfPKifN6hipcub16HIPCUB_304000_NS6detail27convert_result_type_wrapperIS8_S9_N2at6native12_GLOBAL__N_19CustomMinEEEEE10hipError_tPvRmT0_T1_jT2_SQ_T4_T3_P12ihipStream_tbEUlT_E_NS1_11comp_targetILNS1_3genE8ELNS1_11target_archE1030ELNS1_3gpuE2ELNS1_3repE0EEENS1_30default_config_static_selectorELNS0_4arch9wavefront6targetE0EEEvSP_.kd
    .uniform_work_group_size: 1
    .uses_dynamic_stack: false
    .vgpr_count:     33
    .vgpr_spill_count: 0
    .wavefront_size: 32
    .workgroup_processor_mode: 1
  - .args:
      - .offset:         0
        .size:           48
        .value_kind:     by_value
    .group_segment_fixed_size: 0
    .kernarg_segment_align: 8
    .kernarg_segment_size: 48
    .language:       OpenCL C
    .language_version:
      - 2
      - 0
    .max_flat_workgroup_size: 256
    .name:           _ZN7rocprim17ROCPRIM_400000_NS6detail17trampoline_kernelINS0_14default_configENS1_32segmented_reduce_config_selectorIfEEZNS1_21segmented_reduce_implIS3_PKfPfPKifN6hipcub16HIPCUB_304000_NS6detail27convert_result_type_wrapperIS8_S9_N2at6native12_GLOBAL__N_110CustomProdEEEEE10hipError_tPvRmT0_T1_jT2_SQ_T4_T3_P12ihipStream_tbEUlT_E_NS1_11comp_targetILNS1_3genE0ELNS1_11target_archE4294967295ELNS1_3gpuE0ELNS1_3repE0EEENS1_30default_config_static_selectorELNS0_4arch9wavefront6targetE0EEEvSP_
    .private_segment_fixed_size: 0
    .sgpr_count:     0
    .sgpr_spill_count: 0
    .symbol:         _ZN7rocprim17ROCPRIM_400000_NS6detail17trampoline_kernelINS0_14default_configENS1_32segmented_reduce_config_selectorIfEEZNS1_21segmented_reduce_implIS3_PKfPfPKifN6hipcub16HIPCUB_304000_NS6detail27convert_result_type_wrapperIS8_S9_N2at6native12_GLOBAL__N_110CustomProdEEEEE10hipError_tPvRmT0_T1_jT2_SQ_T4_T3_P12ihipStream_tbEUlT_E_NS1_11comp_targetILNS1_3genE0ELNS1_11target_archE4294967295ELNS1_3gpuE0ELNS1_3repE0EEENS1_30default_config_static_selectorELNS0_4arch9wavefront6targetE0EEEvSP_.kd
    .uniform_work_group_size: 1
    .uses_dynamic_stack: false
    .vgpr_count:     0
    .vgpr_spill_count: 0
    .wavefront_size: 32
    .workgroup_processor_mode: 1
  - .args:
      - .offset:         0
        .size:           48
        .value_kind:     by_value
    .group_segment_fixed_size: 0
    .kernarg_segment_align: 8
    .kernarg_segment_size: 48
    .language:       OpenCL C
    .language_version:
      - 2
      - 0
    .max_flat_workgroup_size: 256
    .name:           _ZN7rocprim17ROCPRIM_400000_NS6detail17trampoline_kernelINS0_14default_configENS1_32segmented_reduce_config_selectorIfEEZNS1_21segmented_reduce_implIS3_PKfPfPKifN6hipcub16HIPCUB_304000_NS6detail27convert_result_type_wrapperIS8_S9_N2at6native12_GLOBAL__N_110CustomProdEEEEE10hipError_tPvRmT0_T1_jT2_SQ_T4_T3_P12ihipStream_tbEUlT_E_NS1_11comp_targetILNS1_3genE5ELNS1_11target_archE942ELNS1_3gpuE9ELNS1_3repE0EEENS1_30default_config_static_selectorELNS0_4arch9wavefront6targetE0EEEvSP_
    .private_segment_fixed_size: 0
    .sgpr_count:     0
    .sgpr_spill_count: 0
    .symbol:         _ZN7rocprim17ROCPRIM_400000_NS6detail17trampoline_kernelINS0_14default_configENS1_32segmented_reduce_config_selectorIfEEZNS1_21segmented_reduce_implIS3_PKfPfPKifN6hipcub16HIPCUB_304000_NS6detail27convert_result_type_wrapperIS8_S9_N2at6native12_GLOBAL__N_110CustomProdEEEEE10hipError_tPvRmT0_T1_jT2_SQ_T4_T3_P12ihipStream_tbEUlT_E_NS1_11comp_targetILNS1_3genE5ELNS1_11target_archE942ELNS1_3gpuE9ELNS1_3repE0EEENS1_30default_config_static_selectorELNS0_4arch9wavefront6targetE0EEEvSP_.kd
    .uniform_work_group_size: 1
    .uses_dynamic_stack: false
    .vgpr_count:     0
    .vgpr_spill_count: 0
    .wavefront_size: 32
    .workgroup_processor_mode: 1
  - .args:
      - .offset:         0
        .size:           48
        .value_kind:     by_value
    .group_segment_fixed_size: 0
    .kernarg_segment_align: 8
    .kernarg_segment_size: 48
    .language:       OpenCL C
    .language_version:
      - 2
      - 0
    .max_flat_workgroup_size: 256
    .name:           _ZN7rocprim17ROCPRIM_400000_NS6detail17trampoline_kernelINS0_14default_configENS1_32segmented_reduce_config_selectorIfEEZNS1_21segmented_reduce_implIS3_PKfPfPKifN6hipcub16HIPCUB_304000_NS6detail27convert_result_type_wrapperIS8_S9_N2at6native12_GLOBAL__N_110CustomProdEEEEE10hipError_tPvRmT0_T1_jT2_SQ_T4_T3_P12ihipStream_tbEUlT_E_NS1_11comp_targetILNS1_3genE10ELNS1_11target_archE1201ELNS1_3gpuE5ELNS1_3repE0EEENS1_30default_config_static_selectorELNS0_4arch9wavefront6targetE0EEEvSP_
    .private_segment_fixed_size: 0
    .sgpr_count:     0
    .sgpr_spill_count: 0
    .symbol:         _ZN7rocprim17ROCPRIM_400000_NS6detail17trampoline_kernelINS0_14default_configENS1_32segmented_reduce_config_selectorIfEEZNS1_21segmented_reduce_implIS3_PKfPfPKifN6hipcub16HIPCUB_304000_NS6detail27convert_result_type_wrapperIS8_S9_N2at6native12_GLOBAL__N_110CustomProdEEEEE10hipError_tPvRmT0_T1_jT2_SQ_T4_T3_P12ihipStream_tbEUlT_E_NS1_11comp_targetILNS1_3genE10ELNS1_11target_archE1201ELNS1_3gpuE5ELNS1_3repE0EEENS1_30default_config_static_selectorELNS0_4arch9wavefront6targetE0EEEvSP_.kd
    .uniform_work_group_size: 1
    .uses_dynamic_stack: false
    .vgpr_count:     0
    .vgpr_spill_count: 0
    .wavefront_size: 32
    .workgroup_processor_mode: 1
  - .args:
      - .offset:         0
        .size:           48
        .value_kind:     by_value
    .group_segment_fixed_size: 0
    .kernarg_segment_align: 8
    .kernarg_segment_size: 48
    .language:       OpenCL C
    .language_version:
      - 2
      - 0
    .max_flat_workgroup_size: 256
    .name:           _ZN7rocprim17ROCPRIM_400000_NS6detail17trampoline_kernelINS0_14default_configENS1_32segmented_reduce_config_selectorIfEEZNS1_21segmented_reduce_implIS3_PKfPfPKifN6hipcub16HIPCUB_304000_NS6detail27convert_result_type_wrapperIS8_S9_N2at6native12_GLOBAL__N_110CustomProdEEEEE10hipError_tPvRmT0_T1_jT2_SQ_T4_T3_P12ihipStream_tbEUlT_E_NS1_11comp_targetILNS1_3genE4ELNS1_11target_archE910ELNS1_3gpuE8ELNS1_3repE0EEENS1_30default_config_static_selectorELNS0_4arch9wavefront6targetE0EEEvSP_
    .private_segment_fixed_size: 0
    .sgpr_count:     0
    .sgpr_spill_count: 0
    .symbol:         _ZN7rocprim17ROCPRIM_400000_NS6detail17trampoline_kernelINS0_14default_configENS1_32segmented_reduce_config_selectorIfEEZNS1_21segmented_reduce_implIS3_PKfPfPKifN6hipcub16HIPCUB_304000_NS6detail27convert_result_type_wrapperIS8_S9_N2at6native12_GLOBAL__N_110CustomProdEEEEE10hipError_tPvRmT0_T1_jT2_SQ_T4_T3_P12ihipStream_tbEUlT_E_NS1_11comp_targetILNS1_3genE4ELNS1_11target_archE910ELNS1_3gpuE8ELNS1_3repE0EEENS1_30default_config_static_selectorELNS0_4arch9wavefront6targetE0EEEvSP_.kd
    .uniform_work_group_size: 1
    .uses_dynamic_stack: false
    .vgpr_count:     0
    .vgpr_spill_count: 0
    .wavefront_size: 32
    .workgroup_processor_mode: 1
  - .args:
      - .offset:         0
        .size:           48
        .value_kind:     by_value
    .group_segment_fixed_size: 0
    .kernarg_segment_align: 8
    .kernarg_segment_size: 48
    .language:       OpenCL C
    .language_version:
      - 2
      - 0
    .max_flat_workgroup_size: 256
    .name:           _ZN7rocprim17ROCPRIM_400000_NS6detail17trampoline_kernelINS0_14default_configENS1_32segmented_reduce_config_selectorIfEEZNS1_21segmented_reduce_implIS3_PKfPfPKifN6hipcub16HIPCUB_304000_NS6detail27convert_result_type_wrapperIS8_S9_N2at6native12_GLOBAL__N_110CustomProdEEEEE10hipError_tPvRmT0_T1_jT2_SQ_T4_T3_P12ihipStream_tbEUlT_E_NS1_11comp_targetILNS1_3genE3ELNS1_11target_archE908ELNS1_3gpuE7ELNS1_3repE0EEENS1_30default_config_static_selectorELNS0_4arch9wavefront6targetE0EEEvSP_
    .private_segment_fixed_size: 0
    .sgpr_count:     0
    .sgpr_spill_count: 0
    .symbol:         _ZN7rocprim17ROCPRIM_400000_NS6detail17trampoline_kernelINS0_14default_configENS1_32segmented_reduce_config_selectorIfEEZNS1_21segmented_reduce_implIS3_PKfPfPKifN6hipcub16HIPCUB_304000_NS6detail27convert_result_type_wrapperIS8_S9_N2at6native12_GLOBAL__N_110CustomProdEEEEE10hipError_tPvRmT0_T1_jT2_SQ_T4_T3_P12ihipStream_tbEUlT_E_NS1_11comp_targetILNS1_3genE3ELNS1_11target_archE908ELNS1_3gpuE7ELNS1_3repE0EEENS1_30default_config_static_selectorELNS0_4arch9wavefront6targetE0EEEvSP_.kd
    .uniform_work_group_size: 1
    .uses_dynamic_stack: false
    .vgpr_count:     0
    .vgpr_spill_count: 0
    .wavefront_size: 32
    .workgroup_processor_mode: 1
  - .args:
      - .offset:         0
        .size:           48
        .value_kind:     by_value
    .group_segment_fixed_size: 0
    .kernarg_segment_align: 8
    .kernarg_segment_size: 48
    .language:       OpenCL C
    .language_version:
      - 2
      - 0
    .max_flat_workgroup_size: 256
    .name:           _ZN7rocprim17ROCPRIM_400000_NS6detail17trampoline_kernelINS0_14default_configENS1_32segmented_reduce_config_selectorIfEEZNS1_21segmented_reduce_implIS3_PKfPfPKifN6hipcub16HIPCUB_304000_NS6detail27convert_result_type_wrapperIS8_S9_N2at6native12_GLOBAL__N_110CustomProdEEEEE10hipError_tPvRmT0_T1_jT2_SQ_T4_T3_P12ihipStream_tbEUlT_E_NS1_11comp_targetILNS1_3genE2ELNS1_11target_archE906ELNS1_3gpuE6ELNS1_3repE0EEENS1_30default_config_static_selectorELNS0_4arch9wavefront6targetE0EEEvSP_
    .private_segment_fixed_size: 0
    .sgpr_count:     0
    .sgpr_spill_count: 0
    .symbol:         _ZN7rocprim17ROCPRIM_400000_NS6detail17trampoline_kernelINS0_14default_configENS1_32segmented_reduce_config_selectorIfEEZNS1_21segmented_reduce_implIS3_PKfPfPKifN6hipcub16HIPCUB_304000_NS6detail27convert_result_type_wrapperIS8_S9_N2at6native12_GLOBAL__N_110CustomProdEEEEE10hipError_tPvRmT0_T1_jT2_SQ_T4_T3_P12ihipStream_tbEUlT_E_NS1_11comp_targetILNS1_3genE2ELNS1_11target_archE906ELNS1_3gpuE6ELNS1_3repE0EEENS1_30default_config_static_selectorELNS0_4arch9wavefront6targetE0EEEvSP_.kd
    .uniform_work_group_size: 1
    .uses_dynamic_stack: false
    .vgpr_count:     0
    .vgpr_spill_count: 0
    .wavefront_size: 32
    .workgroup_processor_mode: 1
  - .args:
      - .offset:         0
        .size:           48
        .value_kind:     by_value
    .group_segment_fixed_size: 0
    .kernarg_segment_align: 8
    .kernarg_segment_size: 48
    .language:       OpenCL C
    .language_version:
      - 2
      - 0
    .max_flat_workgroup_size: 256
    .name:           _ZN7rocprim17ROCPRIM_400000_NS6detail17trampoline_kernelINS0_14default_configENS1_32segmented_reduce_config_selectorIfEEZNS1_21segmented_reduce_implIS3_PKfPfPKifN6hipcub16HIPCUB_304000_NS6detail27convert_result_type_wrapperIS8_S9_N2at6native12_GLOBAL__N_110CustomProdEEEEE10hipError_tPvRmT0_T1_jT2_SQ_T4_T3_P12ihipStream_tbEUlT_E_NS1_11comp_targetILNS1_3genE9ELNS1_11target_archE1100ELNS1_3gpuE3ELNS1_3repE0EEENS1_30default_config_static_selectorELNS0_4arch9wavefront6targetE0EEEvSP_
    .private_segment_fixed_size: 0
    .sgpr_count:     0
    .sgpr_spill_count: 0
    .symbol:         _ZN7rocprim17ROCPRIM_400000_NS6detail17trampoline_kernelINS0_14default_configENS1_32segmented_reduce_config_selectorIfEEZNS1_21segmented_reduce_implIS3_PKfPfPKifN6hipcub16HIPCUB_304000_NS6detail27convert_result_type_wrapperIS8_S9_N2at6native12_GLOBAL__N_110CustomProdEEEEE10hipError_tPvRmT0_T1_jT2_SQ_T4_T3_P12ihipStream_tbEUlT_E_NS1_11comp_targetILNS1_3genE9ELNS1_11target_archE1100ELNS1_3gpuE3ELNS1_3repE0EEENS1_30default_config_static_selectorELNS0_4arch9wavefront6targetE0EEEvSP_.kd
    .uniform_work_group_size: 1
    .uses_dynamic_stack: false
    .vgpr_count:     0
    .vgpr_spill_count: 0
    .wavefront_size: 32
    .workgroup_processor_mode: 1
  - .args:
      - .offset:         0
        .size:           48
        .value_kind:     by_value
    .group_segment_fixed_size: 32
    .kernarg_segment_align: 8
    .kernarg_segment_size: 48
    .language:       OpenCL C
    .language_version:
      - 2
      - 0
    .max_flat_workgroup_size: 256
    .name:           _ZN7rocprim17ROCPRIM_400000_NS6detail17trampoline_kernelINS0_14default_configENS1_32segmented_reduce_config_selectorIfEEZNS1_21segmented_reduce_implIS3_PKfPfPKifN6hipcub16HIPCUB_304000_NS6detail27convert_result_type_wrapperIS8_S9_N2at6native12_GLOBAL__N_110CustomProdEEEEE10hipError_tPvRmT0_T1_jT2_SQ_T4_T3_P12ihipStream_tbEUlT_E_NS1_11comp_targetILNS1_3genE8ELNS1_11target_archE1030ELNS1_3gpuE2ELNS1_3repE0EEENS1_30default_config_static_selectorELNS0_4arch9wavefront6targetE0EEEvSP_
    .private_segment_fixed_size: 0
    .sgpr_count:     32
    .sgpr_spill_count: 0
    .symbol:         _ZN7rocprim17ROCPRIM_400000_NS6detail17trampoline_kernelINS0_14default_configENS1_32segmented_reduce_config_selectorIfEEZNS1_21segmented_reduce_implIS3_PKfPfPKifN6hipcub16HIPCUB_304000_NS6detail27convert_result_type_wrapperIS8_S9_N2at6native12_GLOBAL__N_110CustomProdEEEEE10hipError_tPvRmT0_T1_jT2_SQ_T4_T3_P12ihipStream_tbEUlT_E_NS1_11comp_targetILNS1_3genE8ELNS1_11target_archE1030ELNS1_3gpuE2ELNS1_3repE0EEENS1_30default_config_static_selectorELNS0_4arch9wavefront6targetE0EEEvSP_.kd
    .uniform_work_group_size: 1
    .uses_dynamic_stack: false
    .vgpr_count:     25
    .vgpr_spill_count: 0
    .wavefront_size: 32
    .workgroup_processor_mode: 1
  - .args:
      - .offset:         0
        .size:           4
        .value_kind:     by_value
      - .address_space:  global
        .offset:         8
        .size:           8
        .value_kind:     global_buffer
      - .address_space:  global
        .offset:         16
        .size:           8
        .value_kind:     global_buffer
      - .address_space:  global
        .offset:         24
        .size:           8
        .value_kind:     global_buffer
      - .address_space:  global
        .offset:         32
        .size:           8
        .value_kind:     global_buffer
      - .offset:         40
        .size:           8
        .value_kind:     by_value
      - .offset:         48
        .size:           8
        .value_kind:     by_value
      - .offset:         56
        .size:           1
        .value_kind:     by_value
      - .offset:         58
        .size:           2
        .value_kind:     by_value
      - .offset:         64
        .size:           8
        .value_kind:     by_value
      - .offset:         72
        .size:           8
        .value_kind:     by_value
      - .offset:         80
        .size:           8
        .value_kind:     by_value
      - .offset:         88
        .size:           8
        .value_kind:     by_value
      - .offset:         96
        .size:           8
        .value_kind:     by_value
      - .offset:         104
        .size:           8
        .value_kind:     by_value
      - .offset:         112
        .size:           8
        .value_kind:     by_value
      - .offset:         120
        .size:           4
        .value_kind:     hidden_block_count_x
      - .offset:         124
        .size:           4
        .value_kind:     hidden_block_count_y
      - .offset:         128
        .size:           4
        .value_kind:     hidden_block_count_z
      - .offset:         132
        .size:           2
        .value_kind:     hidden_group_size_x
      - .offset:         134
        .size:           2
        .value_kind:     hidden_group_size_y
      - .offset:         136
        .size:           2
        .value_kind:     hidden_group_size_z
      - .offset:         138
        .size:           2
        .value_kind:     hidden_remainder_x
      - .offset:         140
        .size:           2
        .value_kind:     hidden_remainder_y
      - .offset:         142
        .size:           2
        .value_kind:     hidden_remainder_z
      - .offset:         160
        .size:           8
        .value_kind:     hidden_global_offset_x
      - .offset:         168
        .size:           8
        .value_kind:     hidden_global_offset_y
      - .offset:         176
        .size:           8
        .value_kind:     hidden_global_offset_z
      - .offset:         184
        .size:           2
        .value_kind:     hidden_grid_dims
    .group_segment_fixed_size: 0
    .kernarg_segment_align: 8
    .kernarg_segment_size: 376
    .language:       OpenCL C
    .language_version:
      - 2
      - 0
    .max_flat_workgroup_size: 1024
    .name:           _ZN2at6native12_GLOBAL__N_129segment_reduce_forward_kernelIN3c104HalfEiEEvNS0_13ReductionTypeEPT_PKS6_PKT0_SC_llbS6_lllllll
    .private_segment_fixed_size: 0
    .sgpr_count:     44
    .sgpr_spill_count: 0
    .symbol:         _ZN2at6native12_GLOBAL__N_129segment_reduce_forward_kernelIN3c104HalfEiEEvNS0_13ReductionTypeEPT_PKS6_PKT0_SC_llbS6_lllllll.kd
    .uniform_work_group_size: 1
    .uses_dynamic_stack: false
    .vgpr_count:     20
    .vgpr_spill_count: 0
    .wavefront_size: 32
    .workgroup_processor_mode: 1
  - .args:
      - .offset:         0
        .size:           48
        .value_kind:     by_value
    .group_segment_fixed_size: 0
    .kernarg_segment_align: 8
    .kernarg_segment_size: 48
    .language:       OpenCL C
    .language_version:
      - 2
      - 0
    .max_flat_workgroup_size: 256
    .name:           _ZN7rocprim17ROCPRIM_400000_NS6detail17trampoline_kernelINS0_14default_configENS1_32segmented_reduce_config_selectorIN3c104HalfEEEZNS1_21segmented_reduce_implIS3_PKS6_PS6_PKiS6_N6hipcub16HIPCUB_304000_NS6detail27convert_result_type_wrapperISA_SB_N2at6native12_GLOBAL__N_19CustomMaxEEEEE10hipError_tPvRmT0_T1_jT2_SS_T4_T3_P12ihipStream_tbEUlT_E_NS1_11comp_targetILNS1_3genE0ELNS1_11target_archE4294967295ELNS1_3gpuE0ELNS1_3repE0EEENS1_30default_config_static_selectorELNS0_4arch9wavefront6targetE0EEEvSR_
    .private_segment_fixed_size: 0
    .sgpr_count:     0
    .sgpr_spill_count: 0
    .symbol:         _ZN7rocprim17ROCPRIM_400000_NS6detail17trampoline_kernelINS0_14default_configENS1_32segmented_reduce_config_selectorIN3c104HalfEEEZNS1_21segmented_reduce_implIS3_PKS6_PS6_PKiS6_N6hipcub16HIPCUB_304000_NS6detail27convert_result_type_wrapperISA_SB_N2at6native12_GLOBAL__N_19CustomMaxEEEEE10hipError_tPvRmT0_T1_jT2_SS_T4_T3_P12ihipStream_tbEUlT_E_NS1_11comp_targetILNS1_3genE0ELNS1_11target_archE4294967295ELNS1_3gpuE0ELNS1_3repE0EEENS1_30default_config_static_selectorELNS0_4arch9wavefront6targetE0EEEvSR_.kd
    .uniform_work_group_size: 1
    .uses_dynamic_stack: false
    .vgpr_count:     0
    .vgpr_spill_count: 0
    .wavefront_size: 32
    .workgroup_processor_mode: 1
  - .args:
      - .offset:         0
        .size:           48
        .value_kind:     by_value
    .group_segment_fixed_size: 0
    .kernarg_segment_align: 8
    .kernarg_segment_size: 48
    .language:       OpenCL C
    .language_version:
      - 2
      - 0
    .max_flat_workgroup_size: 256
    .name:           _ZN7rocprim17ROCPRIM_400000_NS6detail17trampoline_kernelINS0_14default_configENS1_32segmented_reduce_config_selectorIN3c104HalfEEEZNS1_21segmented_reduce_implIS3_PKS6_PS6_PKiS6_N6hipcub16HIPCUB_304000_NS6detail27convert_result_type_wrapperISA_SB_N2at6native12_GLOBAL__N_19CustomMaxEEEEE10hipError_tPvRmT0_T1_jT2_SS_T4_T3_P12ihipStream_tbEUlT_E_NS1_11comp_targetILNS1_3genE5ELNS1_11target_archE942ELNS1_3gpuE9ELNS1_3repE0EEENS1_30default_config_static_selectorELNS0_4arch9wavefront6targetE0EEEvSR_
    .private_segment_fixed_size: 0
    .sgpr_count:     0
    .sgpr_spill_count: 0
    .symbol:         _ZN7rocprim17ROCPRIM_400000_NS6detail17trampoline_kernelINS0_14default_configENS1_32segmented_reduce_config_selectorIN3c104HalfEEEZNS1_21segmented_reduce_implIS3_PKS6_PS6_PKiS6_N6hipcub16HIPCUB_304000_NS6detail27convert_result_type_wrapperISA_SB_N2at6native12_GLOBAL__N_19CustomMaxEEEEE10hipError_tPvRmT0_T1_jT2_SS_T4_T3_P12ihipStream_tbEUlT_E_NS1_11comp_targetILNS1_3genE5ELNS1_11target_archE942ELNS1_3gpuE9ELNS1_3repE0EEENS1_30default_config_static_selectorELNS0_4arch9wavefront6targetE0EEEvSR_.kd
    .uniform_work_group_size: 1
    .uses_dynamic_stack: false
    .vgpr_count:     0
    .vgpr_spill_count: 0
    .wavefront_size: 32
    .workgroup_processor_mode: 1
  - .args:
      - .offset:         0
        .size:           48
        .value_kind:     by_value
    .group_segment_fixed_size: 0
    .kernarg_segment_align: 8
    .kernarg_segment_size: 48
    .language:       OpenCL C
    .language_version:
      - 2
      - 0
    .max_flat_workgroup_size: 256
    .name:           _ZN7rocprim17ROCPRIM_400000_NS6detail17trampoline_kernelINS0_14default_configENS1_32segmented_reduce_config_selectorIN3c104HalfEEEZNS1_21segmented_reduce_implIS3_PKS6_PS6_PKiS6_N6hipcub16HIPCUB_304000_NS6detail27convert_result_type_wrapperISA_SB_N2at6native12_GLOBAL__N_19CustomMaxEEEEE10hipError_tPvRmT0_T1_jT2_SS_T4_T3_P12ihipStream_tbEUlT_E_NS1_11comp_targetILNS1_3genE10ELNS1_11target_archE1201ELNS1_3gpuE5ELNS1_3repE0EEENS1_30default_config_static_selectorELNS0_4arch9wavefront6targetE0EEEvSR_
    .private_segment_fixed_size: 0
    .sgpr_count:     0
    .sgpr_spill_count: 0
    .symbol:         _ZN7rocprim17ROCPRIM_400000_NS6detail17trampoline_kernelINS0_14default_configENS1_32segmented_reduce_config_selectorIN3c104HalfEEEZNS1_21segmented_reduce_implIS3_PKS6_PS6_PKiS6_N6hipcub16HIPCUB_304000_NS6detail27convert_result_type_wrapperISA_SB_N2at6native12_GLOBAL__N_19CustomMaxEEEEE10hipError_tPvRmT0_T1_jT2_SS_T4_T3_P12ihipStream_tbEUlT_E_NS1_11comp_targetILNS1_3genE10ELNS1_11target_archE1201ELNS1_3gpuE5ELNS1_3repE0EEENS1_30default_config_static_selectorELNS0_4arch9wavefront6targetE0EEEvSR_.kd
    .uniform_work_group_size: 1
    .uses_dynamic_stack: false
    .vgpr_count:     0
    .vgpr_spill_count: 0
    .wavefront_size: 32
    .workgroup_processor_mode: 1
  - .args:
      - .offset:         0
        .size:           48
        .value_kind:     by_value
    .group_segment_fixed_size: 0
    .kernarg_segment_align: 8
    .kernarg_segment_size: 48
    .language:       OpenCL C
    .language_version:
      - 2
      - 0
    .max_flat_workgroup_size: 256
    .name:           _ZN7rocprim17ROCPRIM_400000_NS6detail17trampoline_kernelINS0_14default_configENS1_32segmented_reduce_config_selectorIN3c104HalfEEEZNS1_21segmented_reduce_implIS3_PKS6_PS6_PKiS6_N6hipcub16HIPCUB_304000_NS6detail27convert_result_type_wrapperISA_SB_N2at6native12_GLOBAL__N_19CustomMaxEEEEE10hipError_tPvRmT0_T1_jT2_SS_T4_T3_P12ihipStream_tbEUlT_E_NS1_11comp_targetILNS1_3genE4ELNS1_11target_archE910ELNS1_3gpuE8ELNS1_3repE0EEENS1_30default_config_static_selectorELNS0_4arch9wavefront6targetE0EEEvSR_
    .private_segment_fixed_size: 0
    .sgpr_count:     0
    .sgpr_spill_count: 0
    .symbol:         _ZN7rocprim17ROCPRIM_400000_NS6detail17trampoline_kernelINS0_14default_configENS1_32segmented_reduce_config_selectorIN3c104HalfEEEZNS1_21segmented_reduce_implIS3_PKS6_PS6_PKiS6_N6hipcub16HIPCUB_304000_NS6detail27convert_result_type_wrapperISA_SB_N2at6native12_GLOBAL__N_19CustomMaxEEEEE10hipError_tPvRmT0_T1_jT2_SS_T4_T3_P12ihipStream_tbEUlT_E_NS1_11comp_targetILNS1_3genE4ELNS1_11target_archE910ELNS1_3gpuE8ELNS1_3repE0EEENS1_30default_config_static_selectorELNS0_4arch9wavefront6targetE0EEEvSR_.kd
    .uniform_work_group_size: 1
    .uses_dynamic_stack: false
    .vgpr_count:     0
    .vgpr_spill_count: 0
    .wavefront_size: 32
    .workgroup_processor_mode: 1
  - .args:
      - .offset:         0
        .size:           48
        .value_kind:     by_value
    .group_segment_fixed_size: 0
    .kernarg_segment_align: 8
    .kernarg_segment_size: 48
    .language:       OpenCL C
    .language_version:
      - 2
      - 0
    .max_flat_workgroup_size: 256
    .name:           _ZN7rocprim17ROCPRIM_400000_NS6detail17trampoline_kernelINS0_14default_configENS1_32segmented_reduce_config_selectorIN3c104HalfEEEZNS1_21segmented_reduce_implIS3_PKS6_PS6_PKiS6_N6hipcub16HIPCUB_304000_NS6detail27convert_result_type_wrapperISA_SB_N2at6native12_GLOBAL__N_19CustomMaxEEEEE10hipError_tPvRmT0_T1_jT2_SS_T4_T3_P12ihipStream_tbEUlT_E_NS1_11comp_targetILNS1_3genE3ELNS1_11target_archE908ELNS1_3gpuE7ELNS1_3repE0EEENS1_30default_config_static_selectorELNS0_4arch9wavefront6targetE0EEEvSR_
    .private_segment_fixed_size: 0
    .sgpr_count:     0
    .sgpr_spill_count: 0
    .symbol:         _ZN7rocprim17ROCPRIM_400000_NS6detail17trampoline_kernelINS0_14default_configENS1_32segmented_reduce_config_selectorIN3c104HalfEEEZNS1_21segmented_reduce_implIS3_PKS6_PS6_PKiS6_N6hipcub16HIPCUB_304000_NS6detail27convert_result_type_wrapperISA_SB_N2at6native12_GLOBAL__N_19CustomMaxEEEEE10hipError_tPvRmT0_T1_jT2_SS_T4_T3_P12ihipStream_tbEUlT_E_NS1_11comp_targetILNS1_3genE3ELNS1_11target_archE908ELNS1_3gpuE7ELNS1_3repE0EEENS1_30default_config_static_selectorELNS0_4arch9wavefront6targetE0EEEvSR_.kd
    .uniform_work_group_size: 1
    .uses_dynamic_stack: false
    .vgpr_count:     0
    .vgpr_spill_count: 0
    .wavefront_size: 32
    .workgroup_processor_mode: 1
  - .args:
      - .offset:         0
        .size:           48
        .value_kind:     by_value
    .group_segment_fixed_size: 0
    .kernarg_segment_align: 8
    .kernarg_segment_size: 48
    .language:       OpenCL C
    .language_version:
      - 2
      - 0
    .max_flat_workgroup_size: 256
    .name:           _ZN7rocprim17ROCPRIM_400000_NS6detail17trampoline_kernelINS0_14default_configENS1_32segmented_reduce_config_selectorIN3c104HalfEEEZNS1_21segmented_reduce_implIS3_PKS6_PS6_PKiS6_N6hipcub16HIPCUB_304000_NS6detail27convert_result_type_wrapperISA_SB_N2at6native12_GLOBAL__N_19CustomMaxEEEEE10hipError_tPvRmT0_T1_jT2_SS_T4_T3_P12ihipStream_tbEUlT_E_NS1_11comp_targetILNS1_3genE2ELNS1_11target_archE906ELNS1_3gpuE6ELNS1_3repE0EEENS1_30default_config_static_selectorELNS0_4arch9wavefront6targetE0EEEvSR_
    .private_segment_fixed_size: 0
    .sgpr_count:     0
    .sgpr_spill_count: 0
    .symbol:         _ZN7rocprim17ROCPRIM_400000_NS6detail17trampoline_kernelINS0_14default_configENS1_32segmented_reduce_config_selectorIN3c104HalfEEEZNS1_21segmented_reduce_implIS3_PKS6_PS6_PKiS6_N6hipcub16HIPCUB_304000_NS6detail27convert_result_type_wrapperISA_SB_N2at6native12_GLOBAL__N_19CustomMaxEEEEE10hipError_tPvRmT0_T1_jT2_SS_T4_T3_P12ihipStream_tbEUlT_E_NS1_11comp_targetILNS1_3genE2ELNS1_11target_archE906ELNS1_3gpuE6ELNS1_3repE0EEENS1_30default_config_static_selectorELNS0_4arch9wavefront6targetE0EEEvSR_.kd
    .uniform_work_group_size: 1
    .uses_dynamic_stack: false
    .vgpr_count:     0
    .vgpr_spill_count: 0
    .wavefront_size: 32
    .workgroup_processor_mode: 1
  - .args:
      - .offset:         0
        .size:           48
        .value_kind:     by_value
    .group_segment_fixed_size: 0
    .kernarg_segment_align: 8
    .kernarg_segment_size: 48
    .language:       OpenCL C
    .language_version:
      - 2
      - 0
    .max_flat_workgroup_size: 256
    .name:           _ZN7rocprim17ROCPRIM_400000_NS6detail17trampoline_kernelINS0_14default_configENS1_32segmented_reduce_config_selectorIN3c104HalfEEEZNS1_21segmented_reduce_implIS3_PKS6_PS6_PKiS6_N6hipcub16HIPCUB_304000_NS6detail27convert_result_type_wrapperISA_SB_N2at6native12_GLOBAL__N_19CustomMaxEEEEE10hipError_tPvRmT0_T1_jT2_SS_T4_T3_P12ihipStream_tbEUlT_E_NS1_11comp_targetILNS1_3genE9ELNS1_11target_archE1100ELNS1_3gpuE3ELNS1_3repE0EEENS1_30default_config_static_selectorELNS0_4arch9wavefront6targetE0EEEvSR_
    .private_segment_fixed_size: 0
    .sgpr_count:     0
    .sgpr_spill_count: 0
    .symbol:         _ZN7rocprim17ROCPRIM_400000_NS6detail17trampoline_kernelINS0_14default_configENS1_32segmented_reduce_config_selectorIN3c104HalfEEEZNS1_21segmented_reduce_implIS3_PKS6_PS6_PKiS6_N6hipcub16HIPCUB_304000_NS6detail27convert_result_type_wrapperISA_SB_N2at6native12_GLOBAL__N_19CustomMaxEEEEE10hipError_tPvRmT0_T1_jT2_SS_T4_T3_P12ihipStream_tbEUlT_E_NS1_11comp_targetILNS1_3genE9ELNS1_11target_archE1100ELNS1_3gpuE3ELNS1_3repE0EEENS1_30default_config_static_selectorELNS0_4arch9wavefront6targetE0EEEvSR_.kd
    .uniform_work_group_size: 1
    .uses_dynamic_stack: false
    .vgpr_count:     0
    .vgpr_spill_count: 0
    .wavefront_size: 32
    .workgroup_processor_mode: 1
  - .args:
      - .offset:         0
        .size:           48
        .value_kind:     by_value
    .group_segment_fixed_size: 16
    .kernarg_segment_align: 8
    .kernarg_segment_size: 48
    .language:       OpenCL C
    .language_version:
      - 2
      - 0
    .max_flat_workgroup_size: 256
    .name:           _ZN7rocprim17ROCPRIM_400000_NS6detail17trampoline_kernelINS0_14default_configENS1_32segmented_reduce_config_selectorIN3c104HalfEEEZNS1_21segmented_reduce_implIS3_PKS6_PS6_PKiS6_N6hipcub16HIPCUB_304000_NS6detail27convert_result_type_wrapperISA_SB_N2at6native12_GLOBAL__N_19CustomMaxEEEEE10hipError_tPvRmT0_T1_jT2_SS_T4_T3_P12ihipStream_tbEUlT_E_NS1_11comp_targetILNS1_3genE8ELNS1_11target_archE1030ELNS1_3gpuE2ELNS1_3repE0EEENS1_30default_config_static_selectorELNS0_4arch9wavefront6targetE0EEEvSR_
    .private_segment_fixed_size: 0
    .sgpr_count:     25
    .sgpr_spill_count: 0
    .symbol:         _ZN7rocprim17ROCPRIM_400000_NS6detail17trampoline_kernelINS0_14default_configENS1_32segmented_reduce_config_selectorIN3c104HalfEEEZNS1_21segmented_reduce_implIS3_PKS6_PS6_PKiS6_N6hipcub16HIPCUB_304000_NS6detail27convert_result_type_wrapperISA_SB_N2at6native12_GLOBAL__N_19CustomMaxEEEEE10hipError_tPvRmT0_T1_jT2_SS_T4_T3_P12ihipStream_tbEUlT_E_NS1_11comp_targetILNS1_3genE8ELNS1_11target_archE1030ELNS1_3gpuE2ELNS1_3repE0EEENS1_30default_config_static_selectorELNS0_4arch9wavefront6targetE0EEEvSR_.kd
    .uniform_work_group_size: 1
    .uses_dynamic_stack: false
    .vgpr_count:     15
    .vgpr_spill_count: 0
    .wavefront_size: 32
    .workgroup_processor_mode: 1
  - .args:
      - .offset:         0
        .size:           48
        .value_kind:     by_value
    .group_segment_fixed_size: 0
    .kernarg_segment_align: 8
    .kernarg_segment_size: 48
    .language:       OpenCL C
    .language_version:
      - 2
      - 0
    .max_flat_workgroup_size: 256
    .name:           _ZN7rocprim17ROCPRIM_400000_NS6detail17trampoline_kernelINS0_14default_configENS1_32segmented_reduce_config_selectorIN3c104HalfEEEZNS1_21segmented_reduce_implIS3_PKS6_PS6_PKiS6_N6hipcub16HIPCUB_304000_NS6detail27convert_result_type_wrapperISA_SB_N2at6native12_GLOBAL__N_19CustomSumEEEEE10hipError_tPvRmT0_T1_jT2_SS_T4_T3_P12ihipStream_tbEUlT_E_NS1_11comp_targetILNS1_3genE0ELNS1_11target_archE4294967295ELNS1_3gpuE0ELNS1_3repE0EEENS1_30default_config_static_selectorELNS0_4arch9wavefront6targetE0EEEvSR_
    .private_segment_fixed_size: 0
    .sgpr_count:     0
    .sgpr_spill_count: 0
    .symbol:         _ZN7rocprim17ROCPRIM_400000_NS6detail17trampoline_kernelINS0_14default_configENS1_32segmented_reduce_config_selectorIN3c104HalfEEEZNS1_21segmented_reduce_implIS3_PKS6_PS6_PKiS6_N6hipcub16HIPCUB_304000_NS6detail27convert_result_type_wrapperISA_SB_N2at6native12_GLOBAL__N_19CustomSumEEEEE10hipError_tPvRmT0_T1_jT2_SS_T4_T3_P12ihipStream_tbEUlT_E_NS1_11comp_targetILNS1_3genE0ELNS1_11target_archE4294967295ELNS1_3gpuE0ELNS1_3repE0EEENS1_30default_config_static_selectorELNS0_4arch9wavefront6targetE0EEEvSR_.kd
    .uniform_work_group_size: 1
    .uses_dynamic_stack: false
    .vgpr_count:     0
    .vgpr_spill_count: 0
    .wavefront_size: 32
    .workgroup_processor_mode: 1
  - .args:
      - .offset:         0
        .size:           48
        .value_kind:     by_value
    .group_segment_fixed_size: 0
    .kernarg_segment_align: 8
    .kernarg_segment_size: 48
    .language:       OpenCL C
    .language_version:
      - 2
      - 0
    .max_flat_workgroup_size: 256
    .name:           _ZN7rocprim17ROCPRIM_400000_NS6detail17trampoline_kernelINS0_14default_configENS1_32segmented_reduce_config_selectorIN3c104HalfEEEZNS1_21segmented_reduce_implIS3_PKS6_PS6_PKiS6_N6hipcub16HIPCUB_304000_NS6detail27convert_result_type_wrapperISA_SB_N2at6native12_GLOBAL__N_19CustomSumEEEEE10hipError_tPvRmT0_T1_jT2_SS_T4_T3_P12ihipStream_tbEUlT_E_NS1_11comp_targetILNS1_3genE5ELNS1_11target_archE942ELNS1_3gpuE9ELNS1_3repE0EEENS1_30default_config_static_selectorELNS0_4arch9wavefront6targetE0EEEvSR_
    .private_segment_fixed_size: 0
    .sgpr_count:     0
    .sgpr_spill_count: 0
    .symbol:         _ZN7rocprim17ROCPRIM_400000_NS6detail17trampoline_kernelINS0_14default_configENS1_32segmented_reduce_config_selectorIN3c104HalfEEEZNS1_21segmented_reduce_implIS3_PKS6_PS6_PKiS6_N6hipcub16HIPCUB_304000_NS6detail27convert_result_type_wrapperISA_SB_N2at6native12_GLOBAL__N_19CustomSumEEEEE10hipError_tPvRmT0_T1_jT2_SS_T4_T3_P12ihipStream_tbEUlT_E_NS1_11comp_targetILNS1_3genE5ELNS1_11target_archE942ELNS1_3gpuE9ELNS1_3repE0EEENS1_30default_config_static_selectorELNS0_4arch9wavefront6targetE0EEEvSR_.kd
    .uniform_work_group_size: 1
    .uses_dynamic_stack: false
    .vgpr_count:     0
    .vgpr_spill_count: 0
    .wavefront_size: 32
    .workgroup_processor_mode: 1
  - .args:
      - .offset:         0
        .size:           48
        .value_kind:     by_value
    .group_segment_fixed_size: 0
    .kernarg_segment_align: 8
    .kernarg_segment_size: 48
    .language:       OpenCL C
    .language_version:
      - 2
      - 0
    .max_flat_workgroup_size: 256
    .name:           _ZN7rocprim17ROCPRIM_400000_NS6detail17trampoline_kernelINS0_14default_configENS1_32segmented_reduce_config_selectorIN3c104HalfEEEZNS1_21segmented_reduce_implIS3_PKS6_PS6_PKiS6_N6hipcub16HIPCUB_304000_NS6detail27convert_result_type_wrapperISA_SB_N2at6native12_GLOBAL__N_19CustomSumEEEEE10hipError_tPvRmT0_T1_jT2_SS_T4_T3_P12ihipStream_tbEUlT_E_NS1_11comp_targetILNS1_3genE10ELNS1_11target_archE1201ELNS1_3gpuE5ELNS1_3repE0EEENS1_30default_config_static_selectorELNS0_4arch9wavefront6targetE0EEEvSR_
    .private_segment_fixed_size: 0
    .sgpr_count:     0
    .sgpr_spill_count: 0
    .symbol:         _ZN7rocprim17ROCPRIM_400000_NS6detail17trampoline_kernelINS0_14default_configENS1_32segmented_reduce_config_selectorIN3c104HalfEEEZNS1_21segmented_reduce_implIS3_PKS6_PS6_PKiS6_N6hipcub16HIPCUB_304000_NS6detail27convert_result_type_wrapperISA_SB_N2at6native12_GLOBAL__N_19CustomSumEEEEE10hipError_tPvRmT0_T1_jT2_SS_T4_T3_P12ihipStream_tbEUlT_E_NS1_11comp_targetILNS1_3genE10ELNS1_11target_archE1201ELNS1_3gpuE5ELNS1_3repE0EEENS1_30default_config_static_selectorELNS0_4arch9wavefront6targetE0EEEvSR_.kd
    .uniform_work_group_size: 1
    .uses_dynamic_stack: false
    .vgpr_count:     0
    .vgpr_spill_count: 0
    .wavefront_size: 32
    .workgroup_processor_mode: 1
  - .args:
      - .offset:         0
        .size:           48
        .value_kind:     by_value
    .group_segment_fixed_size: 0
    .kernarg_segment_align: 8
    .kernarg_segment_size: 48
    .language:       OpenCL C
    .language_version:
      - 2
      - 0
    .max_flat_workgroup_size: 256
    .name:           _ZN7rocprim17ROCPRIM_400000_NS6detail17trampoline_kernelINS0_14default_configENS1_32segmented_reduce_config_selectorIN3c104HalfEEEZNS1_21segmented_reduce_implIS3_PKS6_PS6_PKiS6_N6hipcub16HIPCUB_304000_NS6detail27convert_result_type_wrapperISA_SB_N2at6native12_GLOBAL__N_19CustomSumEEEEE10hipError_tPvRmT0_T1_jT2_SS_T4_T3_P12ihipStream_tbEUlT_E_NS1_11comp_targetILNS1_3genE4ELNS1_11target_archE910ELNS1_3gpuE8ELNS1_3repE0EEENS1_30default_config_static_selectorELNS0_4arch9wavefront6targetE0EEEvSR_
    .private_segment_fixed_size: 0
    .sgpr_count:     0
    .sgpr_spill_count: 0
    .symbol:         _ZN7rocprim17ROCPRIM_400000_NS6detail17trampoline_kernelINS0_14default_configENS1_32segmented_reduce_config_selectorIN3c104HalfEEEZNS1_21segmented_reduce_implIS3_PKS6_PS6_PKiS6_N6hipcub16HIPCUB_304000_NS6detail27convert_result_type_wrapperISA_SB_N2at6native12_GLOBAL__N_19CustomSumEEEEE10hipError_tPvRmT0_T1_jT2_SS_T4_T3_P12ihipStream_tbEUlT_E_NS1_11comp_targetILNS1_3genE4ELNS1_11target_archE910ELNS1_3gpuE8ELNS1_3repE0EEENS1_30default_config_static_selectorELNS0_4arch9wavefront6targetE0EEEvSR_.kd
    .uniform_work_group_size: 1
    .uses_dynamic_stack: false
    .vgpr_count:     0
    .vgpr_spill_count: 0
    .wavefront_size: 32
    .workgroup_processor_mode: 1
  - .args:
      - .offset:         0
        .size:           48
        .value_kind:     by_value
    .group_segment_fixed_size: 0
    .kernarg_segment_align: 8
    .kernarg_segment_size: 48
    .language:       OpenCL C
    .language_version:
      - 2
      - 0
    .max_flat_workgroup_size: 256
    .name:           _ZN7rocprim17ROCPRIM_400000_NS6detail17trampoline_kernelINS0_14default_configENS1_32segmented_reduce_config_selectorIN3c104HalfEEEZNS1_21segmented_reduce_implIS3_PKS6_PS6_PKiS6_N6hipcub16HIPCUB_304000_NS6detail27convert_result_type_wrapperISA_SB_N2at6native12_GLOBAL__N_19CustomSumEEEEE10hipError_tPvRmT0_T1_jT2_SS_T4_T3_P12ihipStream_tbEUlT_E_NS1_11comp_targetILNS1_3genE3ELNS1_11target_archE908ELNS1_3gpuE7ELNS1_3repE0EEENS1_30default_config_static_selectorELNS0_4arch9wavefront6targetE0EEEvSR_
    .private_segment_fixed_size: 0
    .sgpr_count:     0
    .sgpr_spill_count: 0
    .symbol:         _ZN7rocprim17ROCPRIM_400000_NS6detail17trampoline_kernelINS0_14default_configENS1_32segmented_reduce_config_selectorIN3c104HalfEEEZNS1_21segmented_reduce_implIS3_PKS6_PS6_PKiS6_N6hipcub16HIPCUB_304000_NS6detail27convert_result_type_wrapperISA_SB_N2at6native12_GLOBAL__N_19CustomSumEEEEE10hipError_tPvRmT0_T1_jT2_SS_T4_T3_P12ihipStream_tbEUlT_E_NS1_11comp_targetILNS1_3genE3ELNS1_11target_archE908ELNS1_3gpuE7ELNS1_3repE0EEENS1_30default_config_static_selectorELNS0_4arch9wavefront6targetE0EEEvSR_.kd
    .uniform_work_group_size: 1
    .uses_dynamic_stack: false
    .vgpr_count:     0
    .vgpr_spill_count: 0
    .wavefront_size: 32
    .workgroup_processor_mode: 1
  - .args:
      - .offset:         0
        .size:           48
        .value_kind:     by_value
    .group_segment_fixed_size: 0
    .kernarg_segment_align: 8
    .kernarg_segment_size: 48
    .language:       OpenCL C
    .language_version:
      - 2
      - 0
    .max_flat_workgroup_size: 256
    .name:           _ZN7rocprim17ROCPRIM_400000_NS6detail17trampoline_kernelINS0_14default_configENS1_32segmented_reduce_config_selectorIN3c104HalfEEEZNS1_21segmented_reduce_implIS3_PKS6_PS6_PKiS6_N6hipcub16HIPCUB_304000_NS6detail27convert_result_type_wrapperISA_SB_N2at6native12_GLOBAL__N_19CustomSumEEEEE10hipError_tPvRmT0_T1_jT2_SS_T4_T3_P12ihipStream_tbEUlT_E_NS1_11comp_targetILNS1_3genE2ELNS1_11target_archE906ELNS1_3gpuE6ELNS1_3repE0EEENS1_30default_config_static_selectorELNS0_4arch9wavefront6targetE0EEEvSR_
    .private_segment_fixed_size: 0
    .sgpr_count:     0
    .sgpr_spill_count: 0
    .symbol:         _ZN7rocprim17ROCPRIM_400000_NS6detail17trampoline_kernelINS0_14default_configENS1_32segmented_reduce_config_selectorIN3c104HalfEEEZNS1_21segmented_reduce_implIS3_PKS6_PS6_PKiS6_N6hipcub16HIPCUB_304000_NS6detail27convert_result_type_wrapperISA_SB_N2at6native12_GLOBAL__N_19CustomSumEEEEE10hipError_tPvRmT0_T1_jT2_SS_T4_T3_P12ihipStream_tbEUlT_E_NS1_11comp_targetILNS1_3genE2ELNS1_11target_archE906ELNS1_3gpuE6ELNS1_3repE0EEENS1_30default_config_static_selectorELNS0_4arch9wavefront6targetE0EEEvSR_.kd
    .uniform_work_group_size: 1
    .uses_dynamic_stack: false
    .vgpr_count:     0
    .vgpr_spill_count: 0
    .wavefront_size: 32
    .workgroup_processor_mode: 1
  - .args:
      - .offset:         0
        .size:           48
        .value_kind:     by_value
    .group_segment_fixed_size: 0
    .kernarg_segment_align: 8
    .kernarg_segment_size: 48
    .language:       OpenCL C
    .language_version:
      - 2
      - 0
    .max_flat_workgroup_size: 256
    .name:           _ZN7rocprim17ROCPRIM_400000_NS6detail17trampoline_kernelINS0_14default_configENS1_32segmented_reduce_config_selectorIN3c104HalfEEEZNS1_21segmented_reduce_implIS3_PKS6_PS6_PKiS6_N6hipcub16HIPCUB_304000_NS6detail27convert_result_type_wrapperISA_SB_N2at6native12_GLOBAL__N_19CustomSumEEEEE10hipError_tPvRmT0_T1_jT2_SS_T4_T3_P12ihipStream_tbEUlT_E_NS1_11comp_targetILNS1_3genE9ELNS1_11target_archE1100ELNS1_3gpuE3ELNS1_3repE0EEENS1_30default_config_static_selectorELNS0_4arch9wavefront6targetE0EEEvSR_
    .private_segment_fixed_size: 0
    .sgpr_count:     0
    .sgpr_spill_count: 0
    .symbol:         _ZN7rocprim17ROCPRIM_400000_NS6detail17trampoline_kernelINS0_14default_configENS1_32segmented_reduce_config_selectorIN3c104HalfEEEZNS1_21segmented_reduce_implIS3_PKS6_PS6_PKiS6_N6hipcub16HIPCUB_304000_NS6detail27convert_result_type_wrapperISA_SB_N2at6native12_GLOBAL__N_19CustomSumEEEEE10hipError_tPvRmT0_T1_jT2_SS_T4_T3_P12ihipStream_tbEUlT_E_NS1_11comp_targetILNS1_3genE9ELNS1_11target_archE1100ELNS1_3gpuE3ELNS1_3repE0EEENS1_30default_config_static_selectorELNS0_4arch9wavefront6targetE0EEEvSR_.kd
    .uniform_work_group_size: 1
    .uses_dynamic_stack: false
    .vgpr_count:     0
    .vgpr_spill_count: 0
    .wavefront_size: 32
    .workgroup_processor_mode: 1
  - .args:
      - .offset:         0
        .size:           48
        .value_kind:     by_value
    .group_segment_fixed_size: 16
    .kernarg_segment_align: 8
    .kernarg_segment_size: 48
    .language:       OpenCL C
    .language_version:
      - 2
      - 0
    .max_flat_workgroup_size: 256
    .name:           _ZN7rocprim17ROCPRIM_400000_NS6detail17trampoline_kernelINS0_14default_configENS1_32segmented_reduce_config_selectorIN3c104HalfEEEZNS1_21segmented_reduce_implIS3_PKS6_PS6_PKiS6_N6hipcub16HIPCUB_304000_NS6detail27convert_result_type_wrapperISA_SB_N2at6native12_GLOBAL__N_19CustomSumEEEEE10hipError_tPvRmT0_T1_jT2_SS_T4_T3_P12ihipStream_tbEUlT_E_NS1_11comp_targetILNS1_3genE8ELNS1_11target_archE1030ELNS1_3gpuE2ELNS1_3repE0EEENS1_30default_config_static_selectorELNS0_4arch9wavefront6targetE0EEEvSR_
    .private_segment_fixed_size: 0
    .sgpr_count:     24
    .sgpr_spill_count: 0
    .symbol:         _ZN7rocprim17ROCPRIM_400000_NS6detail17trampoline_kernelINS0_14default_configENS1_32segmented_reduce_config_selectorIN3c104HalfEEEZNS1_21segmented_reduce_implIS3_PKS6_PS6_PKiS6_N6hipcub16HIPCUB_304000_NS6detail27convert_result_type_wrapperISA_SB_N2at6native12_GLOBAL__N_19CustomSumEEEEE10hipError_tPvRmT0_T1_jT2_SS_T4_T3_P12ihipStream_tbEUlT_E_NS1_11comp_targetILNS1_3genE8ELNS1_11target_archE1030ELNS1_3gpuE2ELNS1_3repE0EEENS1_30default_config_static_selectorELNS0_4arch9wavefront6targetE0EEEvSR_.kd
    .uniform_work_group_size: 1
    .uses_dynamic_stack: false
    .vgpr_count:     15
    .vgpr_spill_count: 0
    .wavefront_size: 32
    .workgroup_processor_mode: 1
  - .args:
      - .address_space:  global
        .offset:         0
        .size:           8
        .value_kind:     global_buffer
      - .address_space:  global
        .offset:         8
        .size:           8
        .value_kind:     global_buffer
      - .offset:         16
        .size:           8
        .value_kind:     by_value
      - .offset:         24
        .size:           1
        .value_kind:     by_value
      - .offset:         26
        .size:           2
        .value_kind:     by_value
      - .offset:         32
        .size:           4
        .value_kind:     hidden_block_count_x
      - .offset:         36
        .size:           4
        .value_kind:     hidden_block_count_y
      - .offset:         40
        .size:           4
        .value_kind:     hidden_block_count_z
      - .offset:         44
        .size:           2
        .value_kind:     hidden_group_size_x
      - .offset:         46
        .size:           2
        .value_kind:     hidden_group_size_y
      - .offset:         48
        .size:           2
        .value_kind:     hidden_group_size_z
      - .offset:         50
        .size:           2
        .value_kind:     hidden_remainder_x
      - .offset:         52
        .size:           2
        .value_kind:     hidden_remainder_y
      - .offset:         54
        .size:           2
        .value_kind:     hidden_remainder_z
      - .offset:         72
        .size:           8
        .value_kind:     hidden_global_offset_x
      - .offset:         80
        .size:           8
        .value_kind:     hidden_global_offset_y
      - .offset:         88
        .size:           8
        .value_kind:     hidden_global_offset_z
      - .offset:         96
        .size:           2
        .value_kind:     hidden_grid_dims
    .group_segment_fixed_size: 0
    .kernarg_segment_align: 8
    .kernarg_segment_size: 288
    .language:       OpenCL C
    .language_version:
      - 2
      - 0
    .max_flat_workgroup_size: 1024
    .name:           _ZN2at6native12_GLOBAL__N_119post_sum_div_kernelIN3c104HalfEiEEvPT_PKT0_lbS5_
    .private_segment_fixed_size: 0
    .sgpr_count:     19
    .sgpr_spill_count: 0
    .symbol:         _ZN2at6native12_GLOBAL__N_119post_sum_div_kernelIN3c104HalfEiEEvPT_PKT0_lbS5_.kd
    .uniform_work_group_size: 1
    .uses_dynamic_stack: false
    .vgpr_count:     12
    .vgpr_spill_count: 0
    .wavefront_size: 32
    .workgroup_processor_mode: 1
  - .args:
      - .offset:         0
        .size:           48
        .value_kind:     by_value
    .group_segment_fixed_size: 0
    .kernarg_segment_align: 8
    .kernarg_segment_size: 48
    .language:       OpenCL C
    .language_version:
      - 2
      - 0
    .max_flat_workgroup_size: 256
    .name:           _ZN7rocprim17ROCPRIM_400000_NS6detail17trampoline_kernelINS0_14default_configENS1_32segmented_reduce_config_selectorIN3c104HalfEEEZNS1_21segmented_reduce_implIS3_PKS6_PS6_PKiS6_N6hipcub16HIPCUB_304000_NS6detail27convert_result_type_wrapperISA_SB_N2at6native12_GLOBAL__N_19CustomMinEEEEE10hipError_tPvRmT0_T1_jT2_SS_T4_T3_P12ihipStream_tbEUlT_E_NS1_11comp_targetILNS1_3genE0ELNS1_11target_archE4294967295ELNS1_3gpuE0ELNS1_3repE0EEENS1_30default_config_static_selectorELNS0_4arch9wavefront6targetE0EEEvSR_
    .private_segment_fixed_size: 0
    .sgpr_count:     0
    .sgpr_spill_count: 0
    .symbol:         _ZN7rocprim17ROCPRIM_400000_NS6detail17trampoline_kernelINS0_14default_configENS1_32segmented_reduce_config_selectorIN3c104HalfEEEZNS1_21segmented_reduce_implIS3_PKS6_PS6_PKiS6_N6hipcub16HIPCUB_304000_NS6detail27convert_result_type_wrapperISA_SB_N2at6native12_GLOBAL__N_19CustomMinEEEEE10hipError_tPvRmT0_T1_jT2_SS_T4_T3_P12ihipStream_tbEUlT_E_NS1_11comp_targetILNS1_3genE0ELNS1_11target_archE4294967295ELNS1_3gpuE0ELNS1_3repE0EEENS1_30default_config_static_selectorELNS0_4arch9wavefront6targetE0EEEvSR_.kd
    .uniform_work_group_size: 1
    .uses_dynamic_stack: false
    .vgpr_count:     0
    .vgpr_spill_count: 0
    .wavefront_size: 32
    .workgroup_processor_mode: 1
  - .args:
      - .offset:         0
        .size:           48
        .value_kind:     by_value
    .group_segment_fixed_size: 0
    .kernarg_segment_align: 8
    .kernarg_segment_size: 48
    .language:       OpenCL C
    .language_version:
      - 2
      - 0
    .max_flat_workgroup_size: 256
    .name:           _ZN7rocprim17ROCPRIM_400000_NS6detail17trampoline_kernelINS0_14default_configENS1_32segmented_reduce_config_selectorIN3c104HalfEEEZNS1_21segmented_reduce_implIS3_PKS6_PS6_PKiS6_N6hipcub16HIPCUB_304000_NS6detail27convert_result_type_wrapperISA_SB_N2at6native12_GLOBAL__N_19CustomMinEEEEE10hipError_tPvRmT0_T1_jT2_SS_T4_T3_P12ihipStream_tbEUlT_E_NS1_11comp_targetILNS1_3genE5ELNS1_11target_archE942ELNS1_3gpuE9ELNS1_3repE0EEENS1_30default_config_static_selectorELNS0_4arch9wavefront6targetE0EEEvSR_
    .private_segment_fixed_size: 0
    .sgpr_count:     0
    .sgpr_spill_count: 0
    .symbol:         _ZN7rocprim17ROCPRIM_400000_NS6detail17trampoline_kernelINS0_14default_configENS1_32segmented_reduce_config_selectorIN3c104HalfEEEZNS1_21segmented_reduce_implIS3_PKS6_PS6_PKiS6_N6hipcub16HIPCUB_304000_NS6detail27convert_result_type_wrapperISA_SB_N2at6native12_GLOBAL__N_19CustomMinEEEEE10hipError_tPvRmT0_T1_jT2_SS_T4_T3_P12ihipStream_tbEUlT_E_NS1_11comp_targetILNS1_3genE5ELNS1_11target_archE942ELNS1_3gpuE9ELNS1_3repE0EEENS1_30default_config_static_selectorELNS0_4arch9wavefront6targetE0EEEvSR_.kd
    .uniform_work_group_size: 1
    .uses_dynamic_stack: false
    .vgpr_count:     0
    .vgpr_spill_count: 0
    .wavefront_size: 32
    .workgroup_processor_mode: 1
  - .args:
      - .offset:         0
        .size:           48
        .value_kind:     by_value
    .group_segment_fixed_size: 0
    .kernarg_segment_align: 8
    .kernarg_segment_size: 48
    .language:       OpenCL C
    .language_version:
      - 2
      - 0
    .max_flat_workgroup_size: 256
    .name:           _ZN7rocprim17ROCPRIM_400000_NS6detail17trampoline_kernelINS0_14default_configENS1_32segmented_reduce_config_selectorIN3c104HalfEEEZNS1_21segmented_reduce_implIS3_PKS6_PS6_PKiS6_N6hipcub16HIPCUB_304000_NS6detail27convert_result_type_wrapperISA_SB_N2at6native12_GLOBAL__N_19CustomMinEEEEE10hipError_tPvRmT0_T1_jT2_SS_T4_T3_P12ihipStream_tbEUlT_E_NS1_11comp_targetILNS1_3genE10ELNS1_11target_archE1201ELNS1_3gpuE5ELNS1_3repE0EEENS1_30default_config_static_selectorELNS0_4arch9wavefront6targetE0EEEvSR_
    .private_segment_fixed_size: 0
    .sgpr_count:     0
    .sgpr_spill_count: 0
    .symbol:         _ZN7rocprim17ROCPRIM_400000_NS6detail17trampoline_kernelINS0_14default_configENS1_32segmented_reduce_config_selectorIN3c104HalfEEEZNS1_21segmented_reduce_implIS3_PKS6_PS6_PKiS6_N6hipcub16HIPCUB_304000_NS6detail27convert_result_type_wrapperISA_SB_N2at6native12_GLOBAL__N_19CustomMinEEEEE10hipError_tPvRmT0_T1_jT2_SS_T4_T3_P12ihipStream_tbEUlT_E_NS1_11comp_targetILNS1_3genE10ELNS1_11target_archE1201ELNS1_3gpuE5ELNS1_3repE0EEENS1_30default_config_static_selectorELNS0_4arch9wavefront6targetE0EEEvSR_.kd
    .uniform_work_group_size: 1
    .uses_dynamic_stack: false
    .vgpr_count:     0
    .vgpr_spill_count: 0
    .wavefront_size: 32
    .workgroup_processor_mode: 1
  - .args:
      - .offset:         0
        .size:           48
        .value_kind:     by_value
    .group_segment_fixed_size: 0
    .kernarg_segment_align: 8
    .kernarg_segment_size: 48
    .language:       OpenCL C
    .language_version:
      - 2
      - 0
    .max_flat_workgroup_size: 256
    .name:           _ZN7rocprim17ROCPRIM_400000_NS6detail17trampoline_kernelINS0_14default_configENS1_32segmented_reduce_config_selectorIN3c104HalfEEEZNS1_21segmented_reduce_implIS3_PKS6_PS6_PKiS6_N6hipcub16HIPCUB_304000_NS6detail27convert_result_type_wrapperISA_SB_N2at6native12_GLOBAL__N_19CustomMinEEEEE10hipError_tPvRmT0_T1_jT2_SS_T4_T3_P12ihipStream_tbEUlT_E_NS1_11comp_targetILNS1_3genE4ELNS1_11target_archE910ELNS1_3gpuE8ELNS1_3repE0EEENS1_30default_config_static_selectorELNS0_4arch9wavefront6targetE0EEEvSR_
    .private_segment_fixed_size: 0
    .sgpr_count:     0
    .sgpr_spill_count: 0
    .symbol:         _ZN7rocprim17ROCPRIM_400000_NS6detail17trampoline_kernelINS0_14default_configENS1_32segmented_reduce_config_selectorIN3c104HalfEEEZNS1_21segmented_reduce_implIS3_PKS6_PS6_PKiS6_N6hipcub16HIPCUB_304000_NS6detail27convert_result_type_wrapperISA_SB_N2at6native12_GLOBAL__N_19CustomMinEEEEE10hipError_tPvRmT0_T1_jT2_SS_T4_T3_P12ihipStream_tbEUlT_E_NS1_11comp_targetILNS1_3genE4ELNS1_11target_archE910ELNS1_3gpuE8ELNS1_3repE0EEENS1_30default_config_static_selectorELNS0_4arch9wavefront6targetE0EEEvSR_.kd
    .uniform_work_group_size: 1
    .uses_dynamic_stack: false
    .vgpr_count:     0
    .vgpr_spill_count: 0
    .wavefront_size: 32
    .workgroup_processor_mode: 1
  - .args:
      - .offset:         0
        .size:           48
        .value_kind:     by_value
    .group_segment_fixed_size: 0
    .kernarg_segment_align: 8
    .kernarg_segment_size: 48
    .language:       OpenCL C
    .language_version:
      - 2
      - 0
    .max_flat_workgroup_size: 256
    .name:           _ZN7rocprim17ROCPRIM_400000_NS6detail17trampoline_kernelINS0_14default_configENS1_32segmented_reduce_config_selectorIN3c104HalfEEEZNS1_21segmented_reduce_implIS3_PKS6_PS6_PKiS6_N6hipcub16HIPCUB_304000_NS6detail27convert_result_type_wrapperISA_SB_N2at6native12_GLOBAL__N_19CustomMinEEEEE10hipError_tPvRmT0_T1_jT2_SS_T4_T3_P12ihipStream_tbEUlT_E_NS1_11comp_targetILNS1_3genE3ELNS1_11target_archE908ELNS1_3gpuE7ELNS1_3repE0EEENS1_30default_config_static_selectorELNS0_4arch9wavefront6targetE0EEEvSR_
    .private_segment_fixed_size: 0
    .sgpr_count:     0
    .sgpr_spill_count: 0
    .symbol:         _ZN7rocprim17ROCPRIM_400000_NS6detail17trampoline_kernelINS0_14default_configENS1_32segmented_reduce_config_selectorIN3c104HalfEEEZNS1_21segmented_reduce_implIS3_PKS6_PS6_PKiS6_N6hipcub16HIPCUB_304000_NS6detail27convert_result_type_wrapperISA_SB_N2at6native12_GLOBAL__N_19CustomMinEEEEE10hipError_tPvRmT0_T1_jT2_SS_T4_T3_P12ihipStream_tbEUlT_E_NS1_11comp_targetILNS1_3genE3ELNS1_11target_archE908ELNS1_3gpuE7ELNS1_3repE0EEENS1_30default_config_static_selectorELNS0_4arch9wavefront6targetE0EEEvSR_.kd
    .uniform_work_group_size: 1
    .uses_dynamic_stack: false
    .vgpr_count:     0
    .vgpr_spill_count: 0
    .wavefront_size: 32
    .workgroup_processor_mode: 1
  - .args:
      - .offset:         0
        .size:           48
        .value_kind:     by_value
    .group_segment_fixed_size: 0
    .kernarg_segment_align: 8
    .kernarg_segment_size: 48
    .language:       OpenCL C
    .language_version:
      - 2
      - 0
    .max_flat_workgroup_size: 256
    .name:           _ZN7rocprim17ROCPRIM_400000_NS6detail17trampoline_kernelINS0_14default_configENS1_32segmented_reduce_config_selectorIN3c104HalfEEEZNS1_21segmented_reduce_implIS3_PKS6_PS6_PKiS6_N6hipcub16HIPCUB_304000_NS6detail27convert_result_type_wrapperISA_SB_N2at6native12_GLOBAL__N_19CustomMinEEEEE10hipError_tPvRmT0_T1_jT2_SS_T4_T3_P12ihipStream_tbEUlT_E_NS1_11comp_targetILNS1_3genE2ELNS1_11target_archE906ELNS1_3gpuE6ELNS1_3repE0EEENS1_30default_config_static_selectorELNS0_4arch9wavefront6targetE0EEEvSR_
    .private_segment_fixed_size: 0
    .sgpr_count:     0
    .sgpr_spill_count: 0
    .symbol:         _ZN7rocprim17ROCPRIM_400000_NS6detail17trampoline_kernelINS0_14default_configENS1_32segmented_reduce_config_selectorIN3c104HalfEEEZNS1_21segmented_reduce_implIS3_PKS6_PS6_PKiS6_N6hipcub16HIPCUB_304000_NS6detail27convert_result_type_wrapperISA_SB_N2at6native12_GLOBAL__N_19CustomMinEEEEE10hipError_tPvRmT0_T1_jT2_SS_T4_T3_P12ihipStream_tbEUlT_E_NS1_11comp_targetILNS1_3genE2ELNS1_11target_archE906ELNS1_3gpuE6ELNS1_3repE0EEENS1_30default_config_static_selectorELNS0_4arch9wavefront6targetE0EEEvSR_.kd
    .uniform_work_group_size: 1
    .uses_dynamic_stack: false
    .vgpr_count:     0
    .vgpr_spill_count: 0
    .wavefront_size: 32
    .workgroup_processor_mode: 1
  - .args:
      - .offset:         0
        .size:           48
        .value_kind:     by_value
    .group_segment_fixed_size: 0
    .kernarg_segment_align: 8
    .kernarg_segment_size: 48
    .language:       OpenCL C
    .language_version:
      - 2
      - 0
    .max_flat_workgroup_size: 256
    .name:           _ZN7rocprim17ROCPRIM_400000_NS6detail17trampoline_kernelINS0_14default_configENS1_32segmented_reduce_config_selectorIN3c104HalfEEEZNS1_21segmented_reduce_implIS3_PKS6_PS6_PKiS6_N6hipcub16HIPCUB_304000_NS6detail27convert_result_type_wrapperISA_SB_N2at6native12_GLOBAL__N_19CustomMinEEEEE10hipError_tPvRmT0_T1_jT2_SS_T4_T3_P12ihipStream_tbEUlT_E_NS1_11comp_targetILNS1_3genE9ELNS1_11target_archE1100ELNS1_3gpuE3ELNS1_3repE0EEENS1_30default_config_static_selectorELNS0_4arch9wavefront6targetE0EEEvSR_
    .private_segment_fixed_size: 0
    .sgpr_count:     0
    .sgpr_spill_count: 0
    .symbol:         _ZN7rocprim17ROCPRIM_400000_NS6detail17trampoline_kernelINS0_14default_configENS1_32segmented_reduce_config_selectorIN3c104HalfEEEZNS1_21segmented_reduce_implIS3_PKS6_PS6_PKiS6_N6hipcub16HIPCUB_304000_NS6detail27convert_result_type_wrapperISA_SB_N2at6native12_GLOBAL__N_19CustomMinEEEEE10hipError_tPvRmT0_T1_jT2_SS_T4_T3_P12ihipStream_tbEUlT_E_NS1_11comp_targetILNS1_3genE9ELNS1_11target_archE1100ELNS1_3gpuE3ELNS1_3repE0EEENS1_30default_config_static_selectorELNS0_4arch9wavefront6targetE0EEEvSR_.kd
    .uniform_work_group_size: 1
    .uses_dynamic_stack: false
    .vgpr_count:     0
    .vgpr_spill_count: 0
    .wavefront_size: 32
    .workgroup_processor_mode: 1
  - .args:
      - .offset:         0
        .size:           48
        .value_kind:     by_value
    .group_segment_fixed_size: 16
    .kernarg_segment_align: 8
    .kernarg_segment_size: 48
    .language:       OpenCL C
    .language_version:
      - 2
      - 0
    .max_flat_workgroup_size: 256
    .name:           _ZN7rocprim17ROCPRIM_400000_NS6detail17trampoline_kernelINS0_14default_configENS1_32segmented_reduce_config_selectorIN3c104HalfEEEZNS1_21segmented_reduce_implIS3_PKS6_PS6_PKiS6_N6hipcub16HIPCUB_304000_NS6detail27convert_result_type_wrapperISA_SB_N2at6native12_GLOBAL__N_19CustomMinEEEEE10hipError_tPvRmT0_T1_jT2_SS_T4_T3_P12ihipStream_tbEUlT_E_NS1_11comp_targetILNS1_3genE8ELNS1_11target_archE1030ELNS1_3gpuE2ELNS1_3repE0EEENS1_30default_config_static_selectorELNS0_4arch9wavefront6targetE0EEEvSR_
    .private_segment_fixed_size: 0
    .sgpr_count:     25
    .sgpr_spill_count: 0
    .symbol:         _ZN7rocprim17ROCPRIM_400000_NS6detail17trampoline_kernelINS0_14default_configENS1_32segmented_reduce_config_selectorIN3c104HalfEEEZNS1_21segmented_reduce_implIS3_PKS6_PS6_PKiS6_N6hipcub16HIPCUB_304000_NS6detail27convert_result_type_wrapperISA_SB_N2at6native12_GLOBAL__N_19CustomMinEEEEE10hipError_tPvRmT0_T1_jT2_SS_T4_T3_P12ihipStream_tbEUlT_E_NS1_11comp_targetILNS1_3genE8ELNS1_11target_archE1030ELNS1_3gpuE2ELNS1_3repE0EEENS1_30default_config_static_selectorELNS0_4arch9wavefront6targetE0EEEvSR_.kd
    .uniform_work_group_size: 1
    .uses_dynamic_stack: false
    .vgpr_count:     15
    .vgpr_spill_count: 0
    .wavefront_size: 32
    .workgroup_processor_mode: 1
  - .args:
      - .offset:         0
        .size:           48
        .value_kind:     by_value
    .group_segment_fixed_size: 0
    .kernarg_segment_align: 8
    .kernarg_segment_size: 48
    .language:       OpenCL C
    .language_version:
      - 2
      - 0
    .max_flat_workgroup_size: 256
    .name:           _ZN7rocprim17ROCPRIM_400000_NS6detail17trampoline_kernelINS0_14default_configENS1_32segmented_reduce_config_selectorIN3c104HalfEEEZNS1_21segmented_reduce_implIS3_PKS6_PS6_PKiS6_N6hipcub16HIPCUB_304000_NS6detail27convert_result_type_wrapperISA_SB_N2at6native12_GLOBAL__N_110CustomProdEEEEE10hipError_tPvRmT0_T1_jT2_SS_T4_T3_P12ihipStream_tbEUlT_E_NS1_11comp_targetILNS1_3genE0ELNS1_11target_archE4294967295ELNS1_3gpuE0ELNS1_3repE0EEENS1_30default_config_static_selectorELNS0_4arch9wavefront6targetE0EEEvSR_
    .private_segment_fixed_size: 0
    .sgpr_count:     0
    .sgpr_spill_count: 0
    .symbol:         _ZN7rocprim17ROCPRIM_400000_NS6detail17trampoline_kernelINS0_14default_configENS1_32segmented_reduce_config_selectorIN3c104HalfEEEZNS1_21segmented_reduce_implIS3_PKS6_PS6_PKiS6_N6hipcub16HIPCUB_304000_NS6detail27convert_result_type_wrapperISA_SB_N2at6native12_GLOBAL__N_110CustomProdEEEEE10hipError_tPvRmT0_T1_jT2_SS_T4_T3_P12ihipStream_tbEUlT_E_NS1_11comp_targetILNS1_3genE0ELNS1_11target_archE4294967295ELNS1_3gpuE0ELNS1_3repE0EEENS1_30default_config_static_selectorELNS0_4arch9wavefront6targetE0EEEvSR_.kd
    .uniform_work_group_size: 1
    .uses_dynamic_stack: false
    .vgpr_count:     0
    .vgpr_spill_count: 0
    .wavefront_size: 32
    .workgroup_processor_mode: 1
  - .args:
      - .offset:         0
        .size:           48
        .value_kind:     by_value
    .group_segment_fixed_size: 0
    .kernarg_segment_align: 8
    .kernarg_segment_size: 48
    .language:       OpenCL C
    .language_version:
      - 2
      - 0
    .max_flat_workgroup_size: 256
    .name:           _ZN7rocprim17ROCPRIM_400000_NS6detail17trampoline_kernelINS0_14default_configENS1_32segmented_reduce_config_selectorIN3c104HalfEEEZNS1_21segmented_reduce_implIS3_PKS6_PS6_PKiS6_N6hipcub16HIPCUB_304000_NS6detail27convert_result_type_wrapperISA_SB_N2at6native12_GLOBAL__N_110CustomProdEEEEE10hipError_tPvRmT0_T1_jT2_SS_T4_T3_P12ihipStream_tbEUlT_E_NS1_11comp_targetILNS1_3genE5ELNS1_11target_archE942ELNS1_3gpuE9ELNS1_3repE0EEENS1_30default_config_static_selectorELNS0_4arch9wavefront6targetE0EEEvSR_
    .private_segment_fixed_size: 0
    .sgpr_count:     0
    .sgpr_spill_count: 0
    .symbol:         _ZN7rocprim17ROCPRIM_400000_NS6detail17trampoline_kernelINS0_14default_configENS1_32segmented_reduce_config_selectorIN3c104HalfEEEZNS1_21segmented_reduce_implIS3_PKS6_PS6_PKiS6_N6hipcub16HIPCUB_304000_NS6detail27convert_result_type_wrapperISA_SB_N2at6native12_GLOBAL__N_110CustomProdEEEEE10hipError_tPvRmT0_T1_jT2_SS_T4_T3_P12ihipStream_tbEUlT_E_NS1_11comp_targetILNS1_3genE5ELNS1_11target_archE942ELNS1_3gpuE9ELNS1_3repE0EEENS1_30default_config_static_selectorELNS0_4arch9wavefront6targetE0EEEvSR_.kd
    .uniform_work_group_size: 1
    .uses_dynamic_stack: false
    .vgpr_count:     0
    .vgpr_spill_count: 0
    .wavefront_size: 32
    .workgroup_processor_mode: 1
  - .args:
      - .offset:         0
        .size:           48
        .value_kind:     by_value
    .group_segment_fixed_size: 0
    .kernarg_segment_align: 8
    .kernarg_segment_size: 48
    .language:       OpenCL C
    .language_version:
      - 2
      - 0
    .max_flat_workgroup_size: 256
    .name:           _ZN7rocprim17ROCPRIM_400000_NS6detail17trampoline_kernelINS0_14default_configENS1_32segmented_reduce_config_selectorIN3c104HalfEEEZNS1_21segmented_reduce_implIS3_PKS6_PS6_PKiS6_N6hipcub16HIPCUB_304000_NS6detail27convert_result_type_wrapperISA_SB_N2at6native12_GLOBAL__N_110CustomProdEEEEE10hipError_tPvRmT0_T1_jT2_SS_T4_T3_P12ihipStream_tbEUlT_E_NS1_11comp_targetILNS1_3genE10ELNS1_11target_archE1201ELNS1_3gpuE5ELNS1_3repE0EEENS1_30default_config_static_selectorELNS0_4arch9wavefront6targetE0EEEvSR_
    .private_segment_fixed_size: 0
    .sgpr_count:     0
    .sgpr_spill_count: 0
    .symbol:         _ZN7rocprim17ROCPRIM_400000_NS6detail17trampoline_kernelINS0_14default_configENS1_32segmented_reduce_config_selectorIN3c104HalfEEEZNS1_21segmented_reduce_implIS3_PKS6_PS6_PKiS6_N6hipcub16HIPCUB_304000_NS6detail27convert_result_type_wrapperISA_SB_N2at6native12_GLOBAL__N_110CustomProdEEEEE10hipError_tPvRmT0_T1_jT2_SS_T4_T3_P12ihipStream_tbEUlT_E_NS1_11comp_targetILNS1_3genE10ELNS1_11target_archE1201ELNS1_3gpuE5ELNS1_3repE0EEENS1_30default_config_static_selectorELNS0_4arch9wavefront6targetE0EEEvSR_.kd
    .uniform_work_group_size: 1
    .uses_dynamic_stack: false
    .vgpr_count:     0
    .vgpr_spill_count: 0
    .wavefront_size: 32
    .workgroup_processor_mode: 1
  - .args:
      - .offset:         0
        .size:           48
        .value_kind:     by_value
    .group_segment_fixed_size: 0
    .kernarg_segment_align: 8
    .kernarg_segment_size: 48
    .language:       OpenCL C
    .language_version:
      - 2
      - 0
    .max_flat_workgroup_size: 256
    .name:           _ZN7rocprim17ROCPRIM_400000_NS6detail17trampoline_kernelINS0_14default_configENS1_32segmented_reduce_config_selectorIN3c104HalfEEEZNS1_21segmented_reduce_implIS3_PKS6_PS6_PKiS6_N6hipcub16HIPCUB_304000_NS6detail27convert_result_type_wrapperISA_SB_N2at6native12_GLOBAL__N_110CustomProdEEEEE10hipError_tPvRmT0_T1_jT2_SS_T4_T3_P12ihipStream_tbEUlT_E_NS1_11comp_targetILNS1_3genE4ELNS1_11target_archE910ELNS1_3gpuE8ELNS1_3repE0EEENS1_30default_config_static_selectorELNS0_4arch9wavefront6targetE0EEEvSR_
    .private_segment_fixed_size: 0
    .sgpr_count:     0
    .sgpr_spill_count: 0
    .symbol:         _ZN7rocprim17ROCPRIM_400000_NS6detail17trampoline_kernelINS0_14default_configENS1_32segmented_reduce_config_selectorIN3c104HalfEEEZNS1_21segmented_reduce_implIS3_PKS6_PS6_PKiS6_N6hipcub16HIPCUB_304000_NS6detail27convert_result_type_wrapperISA_SB_N2at6native12_GLOBAL__N_110CustomProdEEEEE10hipError_tPvRmT0_T1_jT2_SS_T4_T3_P12ihipStream_tbEUlT_E_NS1_11comp_targetILNS1_3genE4ELNS1_11target_archE910ELNS1_3gpuE8ELNS1_3repE0EEENS1_30default_config_static_selectorELNS0_4arch9wavefront6targetE0EEEvSR_.kd
    .uniform_work_group_size: 1
    .uses_dynamic_stack: false
    .vgpr_count:     0
    .vgpr_spill_count: 0
    .wavefront_size: 32
    .workgroup_processor_mode: 1
  - .args:
      - .offset:         0
        .size:           48
        .value_kind:     by_value
    .group_segment_fixed_size: 0
    .kernarg_segment_align: 8
    .kernarg_segment_size: 48
    .language:       OpenCL C
    .language_version:
      - 2
      - 0
    .max_flat_workgroup_size: 256
    .name:           _ZN7rocprim17ROCPRIM_400000_NS6detail17trampoline_kernelINS0_14default_configENS1_32segmented_reduce_config_selectorIN3c104HalfEEEZNS1_21segmented_reduce_implIS3_PKS6_PS6_PKiS6_N6hipcub16HIPCUB_304000_NS6detail27convert_result_type_wrapperISA_SB_N2at6native12_GLOBAL__N_110CustomProdEEEEE10hipError_tPvRmT0_T1_jT2_SS_T4_T3_P12ihipStream_tbEUlT_E_NS1_11comp_targetILNS1_3genE3ELNS1_11target_archE908ELNS1_3gpuE7ELNS1_3repE0EEENS1_30default_config_static_selectorELNS0_4arch9wavefront6targetE0EEEvSR_
    .private_segment_fixed_size: 0
    .sgpr_count:     0
    .sgpr_spill_count: 0
    .symbol:         _ZN7rocprim17ROCPRIM_400000_NS6detail17trampoline_kernelINS0_14default_configENS1_32segmented_reduce_config_selectorIN3c104HalfEEEZNS1_21segmented_reduce_implIS3_PKS6_PS6_PKiS6_N6hipcub16HIPCUB_304000_NS6detail27convert_result_type_wrapperISA_SB_N2at6native12_GLOBAL__N_110CustomProdEEEEE10hipError_tPvRmT0_T1_jT2_SS_T4_T3_P12ihipStream_tbEUlT_E_NS1_11comp_targetILNS1_3genE3ELNS1_11target_archE908ELNS1_3gpuE7ELNS1_3repE0EEENS1_30default_config_static_selectorELNS0_4arch9wavefront6targetE0EEEvSR_.kd
    .uniform_work_group_size: 1
    .uses_dynamic_stack: false
    .vgpr_count:     0
    .vgpr_spill_count: 0
    .wavefront_size: 32
    .workgroup_processor_mode: 1
  - .args:
      - .offset:         0
        .size:           48
        .value_kind:     by_value
    .group_segment_fixed_size: 0
    .kernarg_segment_align: 8
    .kernarg_segment_size: 48
    .language:       OpenCL C
    .language_version:
      - 2
      - 0
    .max_flat_workgroup_size: 256
    .name:           _ZN7rocprim17ROCPRIM_400000_NS6detail17trampoline_kernelINS0_14default_configENS1_32segmented_reduce_config_selectorIN3c104HalfEEEZNS1_21segmented_reduce_implIS3_PKS6_PS6_PKiS6_N6hipcub16HIPCUB_304000_NS6detail27convert_result_type_wrapperISA_SB_N2at6native12_GLOBAL__N_110CustomProdEEEEE10hipError_tPvRmT0_T1_jT2_SS_T4_T3_P12ihipStream_tbEUlT_E_NS1_11comp_targetILNS1_3genE2ELNS1_11target_archE906ELNS1_3gpuE6ELNS1_3repE0EEENS1_30default_config_static_selectorELNS0_4arch9wavefront6targetE0EEEvSR_
    .private_segment_fixed_size: 0
    .sgpr_count:     0
    .sgpr_spill_count: 0
    .symbol:         _ZN7rocprim17ROCPRIM_400000_NS6detail17trampoline_kernelINS0_14default_configENS1_32segmented_reduce_config_selectorIN3c104HalfEEEZNS1_21segmented_reduce_implIS3_PKS6_PS6_PKiS6_N6hipcub16HIPCUB_304000_NS6detail27convert_result_type_wrapperISA_SB_N2at6native12_GLOBAL__N_110CustomProdEEEEE10hipError_tPvRmT0_T1_jT2_SS_T4_T3_P12ihipStream_tbEUlT_E_NS1_11comp_targetILNS1_3genE2ELNS1_11target_archE906ELNS1_3gpuE6ELNS1_3repE0EEENS1_30default_config_static_selectorELNS0_4arch9wavefront6targetE0EEEvSR_.kd
    .uniform_work_group_size: 1
    .uses_dynamic_stack: false
    .vgpr_count:     0
    .vgpr_spill_count: 0
    .wavefront_size: 32
    .workgroup_processor_mode: 1
  - .args:
      - .offset:         0
        .size:           48
        .value_kind:     by_value
    .group_segment_fixed_size: 0
    .kernarg_segment_align: 8
    .kernarg_segment_size: 48
    .language:       OpenCL C
    .language_version:
      - 2
      - 0
    .max_flat_workgroup_size: 256
    .name:           _ZN7rocprim17ROCPRIM_400000_NS6detail17trampoline_kernelINS0_14default_configENS1_32segmented_reduce_config_selectorIN3c104HalfEEEZNS1_21segmented_reduce_implIS3_PKS6_PS6_PKiS6_N6hipcub16HIPCUB_304000_NS6detail27convert_result_type_wrapperISA_SB_N2at6native12_GLOBAL__N_110CustomProdEEEEE10hipError_tPvRmT0_T1_jT2_SS_T4_T3_P12ihipStream_tbEUlT_E_NS1_11comp_targetILNS1_3genE9ELNS1_11target_archE1100ELNS1_3gpuE3ELNS1_3repE0EEENS1_30default_config_static_selectorELNS0_4arch9wavefront6targetE0EEEvSR_
    .private_segment_fixed_size: 0
    .sgpr_count:     0
    .sgpr_spill_count: 0
    .symbol:         _ZN7rocprim17ROCPRIM_400000_NS6detail17trampoline_kernelINS0_14default_configENS1_32segmented_reduce_config_selectorIN3c104HalfEEEZNS1_21segmented_reduce_implIS3_PKS6_PS6_PKiS6_N6hipcub16HIPCUB_304000_NS6detail27convert_result_type_wrapperISA_SB_N2at6native12_GLOBAL__N_110CustomProdEEEEE10hipError_tPvRmT0_T1_jT2_SS_T4_T3_P12ihipStream_tbEUlT_E_NS1_11comp_targetILNS1_3genE9ELNS1_11target_archE1100ELNS1_3gpuE3ELNS1_3repE0EEENS1_30default_config_static_selectorELNS0_4arch9wavefront6targetE0EEEvSR_.kd
    .uniform_work_group_size: 1
    .uses_dynamic_stack: false
    .vgpr_count:     0
    .vgpr_spill_count: 0
    .wavefront_size: 32
    .workgroup_processor_mode: 1
  - .args:
      - .offset:         0
        .size:           48
        .value_kind:     by_value
    .group_segment_fixed_size: 16
    .kernarg_segment_align: 8
    .kernarg_segment_size: 48
    .language:       OpenCL C
    .language_version:
      - 2
      - 0
    .max_flat_workgroup_size: 256
    .name:           _ZN7rocprim17ROCPRIM_400000_NS6detail17trampoline_kernelINS0_14default_configENS1_32segmented_reduce_config_selectorIN3c104HalfEEEZNS1_21segmented_reduce_implIS3_PKS6_PS6_PKiS6_N6hipcub16HIPCUB_304000_NS6detail27convert_result_type_wrapperISA_SB_N2at6native12_GLOBAL__N_110CustomProdEEEEE10hipError_tPvRmT0_T1_jT2_SS_T4_T3_P12ihipStream_tbEUlT_E_NS1_11comp_targetILNS1_3genE8ELNS1_11target_archE1030ELNS1_3gpuE2ELNS1_3repE0EEENS1_30default_config_static_selectorELNS0_4arch9wavefront6targetE0EEEvSR_
    .private_segment_fixed_size: 0
    .sgpr_count:     24
    .sgpr_spill_count: 0
    .symbol:         _ZN7rocprim17ROCPRIM_400000_NS6detail17trampoline_kernelINS0_14default_configENS1_32segmented_reduce_config_selectorIN3c104HalfEEEZNS1_21segmented_reduce_implIS3_PKS6_PS6_PKiS6_N6hipcub16HIPCUB_304000_NS6detail27convert_result_type_wrapperISA_SB_N2at6native12_GLOBAL__N_110CustomProdEEEEE10hipError_tPvRmT0_T1_jT2_SS_T4_T3_P12ihipStream_tbEUlT_E_NS1_11comp_targetILNS1_3genE8ELNS1_11target_archE1030ELNS1_3gpuE2ELNS1_3repE0EEENS1_30default_config_static_selectorELNS0_4arch9wavefront6targetE0EEEvSR_.kd
    .uniform_work_group_size: 1
    .uses_dynamic_stack: false
    .vgpr_count:     15
    .vgpr_spill_count: 0
    .wavefront_size: 32
    .workgroup_processor_mode: 1
  - .args:
      - .offset:         0
        .size:           4
        .value_kind:     by_value
      - .address_space:  global
        .offset:         8
        .size:           8
        .value_kind:     global_buffer
      - .address_space:  global
        .offset:         16
        .size:           8
        .value_kind:     global_buffer
      - .address_space:  global
        .offset:         24
        .size:           8
        .value_kind:     global_buffer
      - .address_space:  global
        .offset:         32
        .size:           8
        .value_kind:     global_buffer
      - .offset:         40
        .size:           8
        .value_kind:     by_value
      - .offset:         48
        .size:           8
        .value_kind:     by_value
      - .offset:         56
        .size:           1
        .value_kind:     by_value
      - .offset:         58
        .size:           2
        .value_kind:     by_value
      - .offset:         64
        .size:           8
        .value_kind:     by_value
      - .offset:         72
        .size:           8
        .value_kind:     by_value
      - .offset:         80
        .size:           8
        .value_kind:     by_value
      - .offset:         88
        .size:           8
        .value_kind:     by_value
      - .offset:         96
        .size:           8
        .value_kind:     by_value
      - .offset:         104
        .size:           8
        .value_kind:     by_value
      - .offset:         112
        .size:           8
        .value_kind:     by_value
      - .offset:         120
        .size:           4
        .value_kind:     hidden_block_count_x
      - .offset:         124
        .size:           4
        .value_kind:     hidden_block_count_y
      - .offset:         128
        .size:           4
        .value_kind:     hidden_block_count_z
      - .offset:         132
        .size:           2
        .value_kind:     hidden_group_size_x
      - .offset:         134
        .size:           2
        .value_kind:     hidden_group_size_y
      - .offset:         136
        .size:           2
        .value_kind:     hidden_group_size_z
      - .offset:         138
        .size:           2
        .value_kind:     hidden_remainder_x
      - .offset:         140
        .size:           2
        .value_kind:     hidden_remainder_y
      - .offset:         142
        .size:           2
        .value_kind:     hidden_remainder_z
      - .offset:         160
        .size:           8
        .value_kind:     hidden_global_offset_x
      - .offset:         168
        .size:           8
        .value_kind:     hidden_global_offset_y
      - .offset:         176
        .size:           8
        .value_kind:     hidden_global_offset_z
      - .offset:         184
        .size:           2
        .value_kind:     hidden_grid_dims
    .group_segment_fixed_size: 0
    .kernarg_segment_align: 8
    .kernarg_segment_size: 376
    .language:       OpenCL C
    .language_version:
      - 2
      - 0
    .max_flat_workgroup_size: 1024
    .name:           _ZN2at6native12_GLOBAL__N_129segment_reduce_forward_kernelIN3c108BFloat16EiEEvNS0_13ReductionTypeEPT_PKS6_PKT0_SC_llbS6_lllllll
    .private_segment_fixed_size: 0
    .sgpr_count:     44
    .sgpr_spill_count: 0
    .symbol:         _ZN2at6native12_GLOBAL__N_129segment_reduce_forward_kernelIN3c108BFloat16EiEEvNS0_13ReductionTypeEPT_PKS6_PKT0_SC_llbS6_lllllll.kd
    .uniform_work_group_size: 1
    .uses_dynamic_stack: false
    .vgpr_count:     22
    .vgpr_spill_count: 0
    .wavefront_size: 32
    .workgroup_processor_mode: 1
  - .args:
      - .offset:         0
        .size:           48
        .value_kind:     by_value
    .group_segment_fixed_size: 0
    .kernarg_segment_align: 8
    .kernarg_segment_size: 48
    .language:       OpenCL C
    .language_version:
      - 2
      - 0
    .max_flat_workgroup_size: 256
    .name:           _ZN7rocprim17ROCPRIM_400000_NS6detail17trampoline_kernelINS0_14default_configENS1_32segmented_reduce_config_selectorIN3c108BFloat16EEEZNS1_21segmented_reduce_implIS3_PKS6_PS6_PKiS6_N6hipcub16HIPCUB_304000_NS6detail27convert_result_type_wrapperISA_SB_N2at6native12_GLOBAL__N_19CustomMaxEEEEE10hipError_tPvRmT0_T1_jT2_SS_T4_T3_P12ihipStream_tbEUlT_E_NS1_11comp_targetILNS1_3genE0ELNS1_11target_archE4294967295ELNS1_3gpuE0ELNS1_3repE0EEENS1_30default_config_static_selectorELNS0_4arch9wavefront6targetE0EEEvSR_
    .private_segment_fixed_size: 0
    .sgpr_count:     0
    .sgpr_spill_count: 0
    .symbol:         _ZN7rocprim17ROCPRIM_400000_NS6detail17trampoline_kernelINS0_14default_configENS1_32segmented_reduce_config_selectorIN3c108BFloat16EEEZNS1_21segmented_reduce_implIS3_PKS6_PS6_PKiS6_N6hipcub16HIPCUB_304000_NS6detail27convert_result_type_wrapperISA_SB_N2at6native12_GLOBAL__N_19CustomMaxEEEEE10hipError_tPvRmT0_T1_jT2_SS_T4_T3_P12ihipStream_tbEUlT_E_NS1_11comp_targetILNS1_3genE0ELNS1_11target_archE4294967295ELNS1_3gpuE0ELNS1_3repE0EEENS1_30default_config_static_selectorELNS0_4arch9wavefront6targetE0EEEvSR_.kd
    .uniform_work_group_size: 1
    .uses_dynamic_stack: false
    .vgpr_count:     0
    .vgpr_spill_count: 0
    .wavefront_size: 32
    .workgroup_processor_mode: 1
  - .args:
      - .offset:         0
        .size:           48
        .value_kind:     by_value
    .group_segment_fixed_size: 0
    .kernarg_segment_align: 8
    .kernarg_segment_size: 48
    .language:       OpenCL C
    .language_version:
      - 2
      - 0
    .max_flat_workgroup_size: 256
    .name:           _ZN7rocprim17ROCPRIM_400000_NS6detail17trampoline_kernelINS0_14default_configENS1_32segmented_reduce_config_selectorIN3c108BFloat16EEEZNS1_21segmented_reduce_implIS3_PKS6_PS6_PKiS6_N6hipcub16HIPCUB_304000_NS6detail27convert_result_type_wrapperISA_SB_N2at6native12_GLOBAL__N_19CustomMaxEEEEE10hipError_tPvRmT0_T1_jT2_SS_T4_T3_P12ihipStream_tbEUlT_E_NS1_11comp_targetILNS1_3genE5ELNS1_11target_archE942ELNS1_3gpuE9ELNS1_3repE0EEENS1_30default_config_static_selectorELNS0_4arch9wavefront6targetE0EEEvSR_
    .private_segment_fixed_size: 0
    .sgpr_count:     0
    .sgpr_spill_count: 0
    .symbol:         _ZN7rocprim17ROCPRIM_400000_NS6detail17trampoline_kernelINS0_14default_configENS1_32segmented_reduce_config_selectorIN3c108BFloat16EEEZNS1_21segmented_reduce_implIS3_PKS6_PS6_PKiS6_N6hipcub16HIPCUB_304000_NS6detail27convert_result_type_wrapperISA_SB_N2at6native12_GLOBAL__N_19CustomMaxEEEEE10hipError_tPvRmT0_T1_jT2_SS_T4_T3_P12ihipStream_tbEUlT_E_NS1_11comp_targetILNS1_3genE5ELNS1_11target_archE942ELNS1_3gpuE9ELNS1_3repE0EEENS1_30default_config_static_selectorELNS0_4arch9wavefront6targetE0EEEvSR_.kd
    .uniform_work_group_size: 1
    .uses_dynamic_stack: false
    .vgpr_count:     0
    .vgpr_spill_count: 0
    .wavefront_size: 32
    .workgroup_processor_mode: 1
  - .args:
      - .offset:         0
        .size:           48
        .value_kind:     by_value
    .group_segment_fixed_size: 0
    .kernarg_segment_align: 8
    .kernarg_segment_size: 48
    .language:       OpenCL C
    .language_version:
      - 2
      - 0
    .max_flat_workgroup_size: 256
    .name:           _ZN7rocprim17ROCPRIM_400000_NS6detail17trampoline_kernelINS0_14default_configENS1_32segmented_reduce_config_selectorIN3c108BFloat16EEEZNS1_21segmented_reduce_implIS3_PKS6_PS6_PKiS6_N6hipcub16HIPCUB_304000_NS6detail27convert_result_type_wrapperISA_SB_N2at6native12_GLOBAL__N_19CustomMaxEEEEE10hipError_tPvRmT0_T1_jT2_SS_T4_T3_P12ihipStream_tbEUlT_E_NS1_11comp_targetILNS1_3genE10ELNS1_11target_archE1201ELNS1_3gpuE5ELNS1_3repE0EEENS1_30default_config_static_selectorELNS0_4arch9wavefront6targetE0EEEvSR_
    .private_segment_fixed_size: 0
    .sgpr_count:     0
    .sgpr_spill_count: 0
    .symbol:         _ZN7rocprim17ROCPRIM_400000_NS6detail17trampoline_kernelINS0_14default_configENS1_32segmented_reduce_config_selectorIN3c108BFloat16EEEZNS1_21segmented_reduce_implIS3_PKS6_PS6_PKiS6_N6hipcub16HIPCUB_304000_NS6detail27convert_result_type_wrapperISA_SB_N2at6native12_GLOBAL__N_19CustomMaxEEEEE10hipError_tPvRmT0_T1_jT2_SS_T4_T3_P12ihipStream_tbEUlT_E_NS1_11comp_targetILNS1_3genE10ELNS1_11target_archE1201ELNS1_3gpuE5ELNS1_3repE0EEENS1_30default_config_static_selectorELNS0_4arch9wavefront6targetE0EEEvSR_.kd
    .uniform_work_group_size: 1
    .uses_dynamic_stack: false
    .vgpr_count:     0
    .vgpr_spill_count: 0
    .wavefront_size: 32
    .workgroup_processor_mode: 1
  - .args:
      - .offset:         0
        .size:           48
        .value_kind:     by_value
    .group_segment_fixed_size: 0
    .kernarg_segment_align: 8
    .kernarg_segment_size: 48
    .language:       OpenCL C
    .language_version:
      - 2
      - 0
    .max_flat_workgroup_size: 256
    .name:           _ZN7rocprim17ROCPRIM_400000_NS6detail17trampoline_kernelINS0_14default_configENS1_32segmented_reduce_config_selectorIN3c108BFloat16EEEZNS1_21segmented_reduce_implIS3_PKS6_PS6_PKiS6_N6hipcub16HIPCUB_304000_NS6detail27convert_result_type_wrapperISA_SB_N2at6native12_GLOBAL__N_19CustomMaxEEEEE10hipError_tPvRmT0_T1_jT2_SS_T4_T3_P12ihipStream_tbEUlT_E_NS1_11comp_targetILNS1_3genE4ELNS1_11target_archE910ELNS1_3gpuE8ELNS1_3repE0EEENS1_30default_config_static_selectorELNS0_4arch9wavefront6targetE0EEEvSR_
    .private_segment_fixed_size: 0
    .sgpr_count:     0
    .sgpr_spill_count: 0
    .symbol:         _ZN7rocprim17ROCPRIM_400000_NS6detail17trampoline_kernelINS0_14default_configENS1_32segmented_reduce_config_selectorIN3c108BFloat16EEEZNS1_21segmented_reduce_implIS3_PKS6_PS6_PKiS6_N6hipcub16HIPCUB_304000_NS6detail27convert_result_type_wrapperISA_SB_N2at6native12_GLOBAL__N_19CustomMaxEEEEE10hipError_tPvRmT0_T1_jT2_SS_T4_T3_P12ihipStream_tbEUlT_E_NS1_11comp_targetILNS1_3genE4ELNS1_11target_archE910ELNS1_3gpuE8ELNS1_3repE0EEENS1_30default_config_static_selectorELNS0_4arch9wavefront6targetE0EEEvSR_.kd
    .uniform_work_group_size: 1
    .uses_dynamic_stack: false
    .vgpr_count:     0
    .vgpr_spill_count: 0
    .wavefront_size: 32
    .workgroup_processor_mode: 1
  - .args:
      - .offset:         0
        .size:           48
        .value_kind:     by_value
    .group_segment_fixed_size: 0
    .kernarg_segment_align: 8
    .kernarg_segment_size: 48
    .language:       OpenCL C
    .language_version:
      - 2
      - 0
    .max_flat_workgroup_size: 256
    .name:           _ZN7rocprim17ROCPRIM_400000_NS6detail17trampoline_kernelINS0_14default_configENS1_32segmented_reduce_config_selectorIN3c108BFloat16EEEZNS1_21segmented_reduce_implIS3_PKS6_PS6_PKiS6_N6hipcub16HIPCUB_304000_NS6detail27convert_result_type_wrapperISA_SB_N2at6native12_GLOBAL__N_19CustomMaxEEEEE10hipError_tPvRmT0_T1_jT2_SS_T4_T3_P12ihipStream_tbEUlT_E_NS1_11comp_targetILNS1_3genE3ELNS1_11target_archE908ELNS1_3gpuE7ELNS1_3repE0EEENS1_30default_config_static_selectorELNS0_4arch9wavefront6targetE0EEEvSR_
    .private_segment_fixed_size: 0
    .sgpr_count:     0
    .sgpr_spill_count: 0
    .symbol:         _ZN7rocprim17ROCPRIM_400000_NS6detail17trampoline_kernelINS0_14default_configENS1_32segmented_reduce_config_selectorIN3c108BFloat16EEEZNS1_21segmented_reduce_implIS3_PKS6_PS6_PKiS6_N6hipcub16HIPCUB_304000_NS6detail27convert_result_type_wrapperISA_SB_N2at6native12_GLOBAL__N_19CustomMaxEEEEE10hipError_tPvRmT0_T1_jT2_SS_T4_T3_P12ihipStream_tbEUlT_E_NS1_11comp_targetILNS1_3genE3ELNS1_11target_archE908ELNS1_3gpuE7ELNS1_3repE0EEENS1_30default_config_static_selectorELNS0_4arch9wavefront6targetE0EEEvSR_.kd
    .uniform_work_group_size: 1
    .uses_dynamic_stack: false
    .vgpr_count:     0
    .vgpr_spill_count: 0
    .wavefront_size: 32
    .workgroup_processor_mode: 1
  - .args:
      - .offset:         0
        .size:           48
        .value_kind:     by_value
    .group_segment_fixed_size: 0
    .kernarg_segment_align: 8
    .kernarg_segment_size: 48
    .language:       OpenCL C
    .language_version:
      - 2
      - 0
    .max_flat_workgroup_size: 256
    .name:           _ZN7rocprim17ROCPRIM_400000_NS6detail17trampoline_kernelINS0_14default_configENS1_32segmented_reduce_config_selectorIN3c108BFloat16EEEZNS1_21segmented_reduce_implIS3_PKS6_PS6_PKiS6_N6hipcub16HIPCUB_304000_NS6detail27convert_result_type_wrapperISA_SB_N2at6native12_GLOBAL__N_19CustomMaxEEEEE10hipError_tPvRmT0_T1_jT2_SS_T4_T3_P12ihipStream_tbEUlT_E_NS1_11comp_targetILNS1_3genE2ELNS1_11target_archE906ELNS1_3gpuE6ELNS1_3repE0EEENS1_30default_config_static_selectorELNS0_4arch9wavefront6targetE0EEEvSR_
    .private_segment_fixed_size: 0
    .sgpr_count:     0
    .sgpr_spill_count: 0
    .symbol:         _ZN7rocprim17ROCPRIM_400000_NS6detail17trampoline_kernelINS0_14default_configENS1_32segmented_reduce_config_selectorIN3c108BFloat16EEEZNS1_21segmented_reduce_implIS3_PKS6_PS6_PKiS6_N6hipcub16HIPCUB_304000_NS6detail27convert_result_type_wrapperISA_SB_N2at6native12_GLOBAL__N_19CustomMaxEEEEE10hipError_tPvRmT0_T1_jT2_SS_T4_T3_P12ihipStream_tbEUlT_E_NS1_11comp_targetILNS1_3genE2ELNS1_11target_archE906ELNS1_3gpuE6ELNS1_3repE0EEENS1_30default_config_static_selectorELNS0_4arch9wavefront6targetE0EEEvSR_.kd
    .uniform_work_group_size: 1
    .uses_dynamic_stack: false
    .vgpr_count:     0
    .vgpr_spill_count: 0
    .wavefront_size: 32
    .workgroup_processor_mode: 1
  - .args:
      - .offset:         0
        .size:           48
        .value_kind:     by_value
    .group_segment_fixed_size: 0
    .kernarg_segment_align: 8
    .kernarg_segment_size: 48
    .language:       OpenCL C
    .language_version:
      - 2
      - 0
    .max_flat_workgroup_size: 256
    .name:           _ZN7rocprim17ROCPRIM_400000_NS6detail17trampoline_kernelINS0_14default_configENS1_32segmented_reduce_config_selectorIN3c108BFloat16EEEZNS1_21segmented_reduce_implIS3_PKS6_PS6_PKiS6_N6hipcub16HIPCUB_304000_NS6detail27convert_result_type_wrapperISA_SB_N2at6native12_GLOBAL__N_19CustomMaxEEEEE10hipError_tPvRmT0_T1_jT2_SS_T4_T3_P12ihipStream_tbEUlT_E_NS1_11comp_targetILNS1_3genE9ELNS1_11target_archE1100ELNS1_3gpuE3ELNS1_3repE0EEENS1_30default_config_static_selectorELNS0_4arch9wavefront6targetE0EEEvSR_
    .private_segment_fixed_size: 0
    .sgpr_count:     0
    .sgpr_spill_count: 0
    .symbol:         _ZN7rocprim17ROCPRIM_400000_NS6detail17trampoline_kernelINS0_14default_configENS1_32segmented_reduce_config_selectorIN3c108BFloat16EEEZNS1_21segmented_reduce_implIS3_PKS6_PS6_PKiS6_N6hipcub16HIPCUB_304000_NS6detail27convert_result_type_wrapperISA_SB_N2at6native12_GLOBAL__N_19CustomMaxEEEEE10hipError_tPvRmT0_T1_jT2_SS_T4_T3_P12ihipStream_tbEUlT_E_NS1_11comp_targetILNS1_3genE9ELNS1_11target_archE1100ELNS1_3gpuE3ELNS1_3repE0EEENS1_30default_config_static_selectorELNS0_4arch9wavefront6targetE0EEEvSR_.kd
    .uniform_work_group_size: 1
    .uses_dynamic_stack: false
    .vgpr_count:     0
    .vgpr_spill_count: 0
    .wavefront_size: 32
    .workgroup_processor_mode: 1
  - .args:
      - .offset:         0
        .size:           48
        .value_kind:     by_value
    .group_segment_fixed_size: 16
    .kernarg_segment_align: 8
    .kernarg_segment_size: 48
    .language:       OpenCL C
    .language_version:
      - 2
      - 0
    .max_flat_workgroup_size: 256
    .name:           _ZN7rocprim17ROCPRIM_400000_NS6detail17trampoline_kernelINS0_14default_configENS1_32segmented_reduce_config_selectorIN3c108BFloat16EEEZNS1_21segmented_reduce_implIS3_PKS6_PS6_PKiS6_N6hipcub16HIPCUB_304000_NS6detail27convert_result_type_wrapperISA_SB_N2at6native12_GLOBAL__N_19CustomMaxEEEEE10hipError_tPvRmT0_T1_jT2_SS_T4_T3_P12ihipStream_tbEUlT_E_NS1_11comp_targetILNS1_3genE8ELNS1_11target_archE1030ELNS1_3gpuE2ELNS1_3repE0EEENS1_30default_config_static_selectorELNS0_4arch9wavefront6targetE0EEEvSR_
    .private_segment_fixed_size: 0
    .sgpr_count:     25
    .sgpr_spill_count: 0
    .symbol:         _ZN7rocprim17ROCPRIM_400000_NS6detail17trampoline_kernelINS0_14default_configENS1_32segmented_reduce_config_selectorIN3c108BFloat16EEEZNS1_21segmented_reduce_implIS3_PKS6_PS6_PKiS6_N6hipcub16HIPCUB_304000_NS6detail27convert_result_type_wrapperISA_SB_N2at6native12_GLOBAL__N_19CustomMaxEEEEE10hipError_tPvRmT0_T1_jT2_SS_T4_T3_P12ihipStream_tbEUlT_E_NS1_11comp_targetILNS1_3genE8ELNS1_11target_archE1030ELNS1_3gpuE2ELNS1_3repE0EEENS1_30default_config_static_selectorELNS0_4arch9wavefront6targetE0EEEvSR_.kd
    .uniform_work_group_size: 1
    .uses_dynamic_stack: false
    .vgpr_count:     16
    .vgpr_spill_count: 0
    .wavefront_size: 32
    .workgroup_processor_mode: 1
  - .args:
      - .offset:         0
        .size:           48
        .value_kind:     by_value
    .group_segment_fixed_size: 0
    .kernarg_segment_align: 8
    .kernarg_segment_size: 48
    .language:       OpenCL C
    .language_version:
      - 2
      - 0
    .max_flat_workgroup_size: 256
    .name:           _ZN7rocprim17ROCPRIM_400000_NS6detail17trampoline_kernelINS0_14default_configENS1_32segmented_reduce_config_selectorIN3c108BFloat16EEEZNS1_21segmented_reduce_implIS3_PKS6_PS6_PKiS6_N6hipcub16HIPCUB_304000_NS6detail27convert_result_type_wrapperISA_SB_N2at6native12_GLOBAL__N_19CustomSumEEEEE10hipError_tPvRmT0_T1_jT2_SS_T4_T3_P12ihipStream_tbEUlT_E_NS1_11comp_targetILNS1_3genE0ELNS1_11target_archE4294967295ELNS1_3gpuE0ELNS1_3repE0EEENS1_30default_config_static_selectorELNS0_4arch9wavefront6targetE0EEEvSR_
    .private_segment_fixed_size: 0
    .sgpr_count:     0
    .sgpr_spill_count: 0
    .symbol:         _ZN7rocprim17ROCPRIM_400000_NS6detail17trampoline_kernelINS0_14default_configENS1_32segmented_reduce_config_selectorIN3c108BFloat16EEEZNS1_21segmented_reduce_implIS3_PKS6_PS6_PKiS6_N6hipcub16HIPCUB_304000_NS6detail27convert_result_type_wrapperISA_SB_N2at6native12_GLOBAL__N_19CustomSumEEEEE10hipError_tPvRmT0_T1_jT2_SS_T4_T3_P12ihipStream_tbEUlT_E_NS1_11comp_targetILNS1_3genE0ELNS1_11target_archE4294967295ELNS1_3gpuE0ELNS1_3repE0EEENS1_30default_config_static_selectorELNS0_4arch9wavefront6targetE0EEEvSR_.kd
    .uniform_work_group_size: 1
    .uses_dynamic_stack: false
    .vgpr_count:     0
    .vgpr_spill_count: 0
    .wavefront_size: 32
    .workgroup_processor_mode: 1
  - .args:
      - .offset:         0
        .size:           48
        .value_kind:     by_value
    .group_segment_fixed_size: 0
    .kernarg_segment_align: 8
    .kernarg_segment_size: 48
    .language:       OpenCL C
    .language_version:
      - 2
      - 0
    .max_flat_workgroup_size: 256
    .name:           _ZN7rocprim17ROCPRIM_400000_NS6detail17trampoline_kernelINS0_14default_configENS1_32segmented_reduce_config_selectorIN3c108BFloat16EEEZNS1_21segmented_reduce_implIS3_PKS6_PS6_PKiS6_N6hipcub16HIPCUB_304000_NS6detail27convert_result_type_wrapperISA_SB_N2at6native12_GLOBAL__N_19CustomSumEEEEE10hipError_tPvRmT0_T1_jT2_SS_T4_T3_P12ihipStream_tbEUlT_E_NS1_11comp_targetILNS1_3genE5ELNS1_11target_archE942ELNS1_3gpuE9ELNS1_3repE0EEENS1_30default_config_static_selectorELNS0_4arch9wavefront6targetE0EEEvSR_
    .private_segment_fixed_size: 0
    .sgpr_count:     0
    .sgpr_spill_count: 0
    .symbol:         _ZN7rocprim17ROCPRIM_400000_NS6detail17trampoline_kernelINS0_14default_configENS1_32segmented_reduce_config_selectorIN3c108BFloat16EEEZNS1_21segmented_reduce_implIS3_PKS6_PS6_PKiS6_N6hipcub16HIPCUB_304000_NS6detail27convert_result_type_wrapperISA_SB_N2at6native12_GLOBAL__N_19CustomSumEEEEE10hipError_tPvRmT0_T1_jT2_SS_T4_T3_P12ihipStream_tbEUlT_E_NS1_11comp_targetILNS1_3genE5ELNS1_11target_archE942ELNS1_3gpuE9ELNS1_3repE0EEENS1_30default_config_static_selectorELNS0_4arch9wavefront6targetE0EEEvSR_.kd
    .uniform_work_group_size: 1
    .uses_dynamic_stack: false
    .vgpr_count:     0
    .vgpr_spill_count: 0
    .wavefront_size: 32
    .workgroup_processor_mode: 1
  - .args:
      - .offset:         0
        .size:           48
        .value_kind:     by_value
    .group_segment_fixed_size: 0
    .kernarg_segment_align: 8
    .kernarg_segment_size: 48
    .language:       OpenCL C
    .language_version:
      - 2
      - 0
    .max_flat_workgroup_size: 256
    .name:           _ZN7rocprim17ROCPRIM_400000_NS6detail17trampoline_kernelINS0_14default_configENS1_32segmented_reduce_config_selectorIN3c108BFloat16EEEZNS1_21segmented_reduce_implIS3_PKS6_PS6_PKiS6_N6hipcub16HIPCUB_304000_NS6detail27convert_result_type_wrapperISA_SB_N2at6native12_GLOBAL__N_19CustomSumEEEEE10hipError_tPvRmT0_T1_jT2_SS_T4_T3_P12ihipStream_tbEUlT_E_NS1_11comp_targetILNS1_3genE10ELNS1_11target_archE1201ELNS1_3gpuE5ELNS1_3repE0EEENS1_30default_config_static_selectorELNS0_4arch9wavefront6targetE0EEEvSR_
    .private_segment_fixed_size: 0
    .sgpr_count:     0
    .sgpr_spill_count: 0
    .symbol:         _ZN7rocprim17ROCPRIM_400000_NS6detail17trampoline_kernelINS0_14default_configENS1_32segmented_reduce_config_selectorIN3c108BFloat16EEEZNS1_21segmented_reduce_implIS3_PKS6_PS6_PKiS6_N6hipcub16HIPCUB_304000_NS6detail27convert_result_type_wrapperISA_SB_N2at6native12_GLOBAL__N_19CustomSumEEEEE10hipError_tPvRmT0_T1_jT2_SS_T4_T3_P12ihipStream_tbEUlT_E_NS1_11comp_targetILNS1_3genE10ELNS1_11target_archE1201ELNS1_3gpuE5ELNS1_3repE0EEENS1_30default_config_static_selectorELNS0_4arch9wavefront6targetE0EEEvSR_.kd
    .uniform_work_group_size: 1
    .uses_dynamic_stack: false
    .vgpr_count:     0
    .vgpr_spill_count: 0
    .wavefront_size: 32
    .workgroup_processor_mode: 1
  - .args:
      - .offset:         0
        .size:           48
        .value_kind:     by_value
    .group_segment_fixed_size: 0
    .kernarg_segment_align: 8
    .kernarg_segment_size: 48
    .language:       OpenCL C
    .language_version:
      - 2
      - 0
    .max_flat_workgroup_size: 256
    .name:           _ZN7rocprim17ROCPRIM_400000_NS6detail17trampoline_kernelINS0_14default_configENS1_32segmented_reduce_config_selectorIN3c108BFloat16EEEZNS1_21segmented_reduce_implIS3_PKS6_PS6_PKiS6_N6hipcub16HIPCUB_304000_NS6detail27convert_result_type_wrapperISA_SB_N2at6native12_GLOBAL__N_19CustomSumEEEEE10hipError_tPvRmT0_T1_jT2_SS_T4_T3_P12ihipStream_tbEUlT_E_NS1_11comp_targetILNS1_3genE4ELNS1_11target_archE910ELNS1_3gpuE8ELNS1_3repE0EEENS1_30default_config_static_selectorELNS0_4arch9wavefront6targetE0EEEvSR_
    .private_segment_fixed_size: 0
    .sgpr_count:     0
    .sgpr_spill_count: 0
    .symbol:         _ZN7rocprim17ROCPRIM_400000_NS6detail17trampoline_kernelINS0_14default_configENS1_32segmented_reduce_config_selectorIN3c108BFloat16EEEZNS1_21segmented_reduce_implIS3_PKS6_PS6_PKiS6_N6hipcub16HIPCUB_304000_NS6detail27convert_result_type_wrapperISA_SB_N2at6native12_GLOBAL__N_19CustomSumEEEEE10hipError_tPvRmT0_T1_jT2_SS_T4_T3_P12ihipStream_tbEUlT_E_NS1_11comp_targetILNS1_3genE4ELNS1_11target_archE910ELNS1_3gpuE8ELNS1_3repE0EEENS1_30default_config_static_selectorELNS0_4arch9wavefront6targetE0EEEvSR_.kd
    .uniform_work_group_size: 1
    .uses_dynamic_stack: false
    .vgpr_count:     0
    .vgpr_spill_count: 0
    .wavefront_size: 32
    .workgroup_processor_mode: 1
  - .args:
      - .offset:         0
        .size:           48
        .value_kind:     by_value
    .group_segment_fixed_size: 0
    .kernarg_segment_align: 8
    .kernarg_segment_size: 48
    .language:       OpenCL C
    .language_version:
      - 2
      - 0
    .max_flat_workgroup_size: 256
    .name:           _ZN7rocprim17ROCPRIM_400000_NS6detail17trampoline_kernelINS0_14default_configENS1_32segmented_reduce_config_selectorIN3c108BFloat16EEEZNS1_21segmented_reduce_implIS3_PKS6_PS6_PKiS6_N6hipcub16HIPCUB_304000_NS6detail27convert_result_type_wrapperISA_SB_N2at6native12_GLOBAL__N_19CustomSumEEEEE10hipError_tPvRmT0_T1_jT2_SS_T4_T3_P12ihipStream_tbEUlT_E_NS1_11comp_targetILNS1_3genE3ELNS1_11target_archE908ELNS1_3gpuE7ELNS1_3repE0EEENS1_30default_config_static_selectorELNS0_4arch9wavefront6targetE0EEEvSR_
    .private_segment_fixed_size: 0
    .sgpr_count:     0
    .sgpr_spill_count: 0
    .symbol:         _ZN7rocprim17ROCPRIM_400000_NS6detail17trampoline_kernelINS0_14default_configENS1_32segmented_reduce_config_selectorIN3c108BFloat16EEEZNS1_21segmented_reduce_implIS3_PKS6_PS6_PKiS6_N6hipcub16HIPCUB_304000_NS6detail27convert_result_type_wrapperISA_SB_N2at6native12_GLOBAL__N_19CustomSumEEEEE10hipError_tPvRmT0_T1_jT2_SS_T4_T3_P12ihipStream_tbEUlT_E_NS1_11comp_targetILNS1_3genE3ELNS1_11target_archE908ELNS1_3gpuE7ELNS1_3repE0EEENS1_30default_config_static_selectorELNS0_4arch9wavefront6targetE0EEEvSR_.kd
    .uniform_work_group_size: 1
    .uses_dynamic_stack: false
    .vgpr_count:     0
    .vgpr_spill_count: 0
    .wavefront_size: 32
    .workgroup_processor_mode: 1
  - .args:
      - .offset:         0
        .size:           48
        .value_kind:     by_value
    .group_segment_fixed_size: 0
    .kernarg_segment_align: 8
    .kernarg_segment_size: 48
    .language:       OpenCL C
    .language_version:
      - 2
      - 0
    .max_flat_workgroup_size: 256
    .name:           _ZN7rocprim17ROCPRIM_400000_NS6detail17trampoline_kernelINS0_14default_configENS1_32segmented_reduce_config_selectorIN3c108BFloat16EEEZNS1_21segmented_reduce_implIS3_PKS6_PS6_PKiS6_N6hipcub16HIPCUB_304000_NS6detail27convert_result_type_wrapperISA_SB_N2at6native12_GLOBAL__N_19CustomSumEEEEE10hipError_tPvRmT0_T1_jT2_SS_T4_T3_P12ihipStream_tbEUlT_E_NS1_11comp_targetILNS1_3genE2ELNS1_11target_archE906ELNS1_3gpuE6ELNS1_3repE0EEENS1_30default_config_static_selectorELNS0_4arch9wavefront6targetE0EEEvSR_
    .private_segment_fixed_size: 0
    .sgpr_count:     0
    .sgpr_spill_count: 0
    .symbol:         _ZN7rocprim17ROCPRIM_400000_NS6detail17trampoline_kernelINS0_14default_configENS1_32segmented_reduce_config_selectorIN3c108BFloat16EEEZNS1_21segmented_reduce_implIS3_PKS6_PS6_PKiS6_N6hipcub16HIPCUB_304000_NS6detail27convert_result_type_wrapperISA_SB_N2at6native12_GLOBAL__N_19CustomSumEEEEE10hipError_tPvRmT0_T1_jT2_SS_T4_T3_P12ihipStream_tbEUlT_E_NS1_11comp_targetILNS1_3genE2ELNS1_11target_archE906ELNS1_3gpuE6ELNS1_3repE0EEENS1_30default_config_static_selectorELNS0_4arch9wavefront6targetE0EEEvSR_.kd
    .uniform_work_group_size: 1
    .uses_dynamic_stack: false
    .vgpr_count:     0
    .vgpr_spill_count: 0
    .wavefront_size: 32
    .workgroup_processor_mode: 1
  - .args:
      - .offset:         0
        .size:           48
        .value_kind:     by_value
    .group_segment_fixed_size: 0
    .kernarg_segment_align: 8
    .kernarg_segment_size: 48
    .language:       OpenCL C
    .language_version:
      - 2
      - 0
    .max_flat_workgroup_size: 256
    .name:           _ZN7rocprim17ROCPRIM_400000_NS6detail17trampoline_kernelINS0_14default_configENS1_32segmented_reduce_config_selectorIN3c108BFloat16EEEZNS1_21segmented_reduce_implIS3_PKS6_PS6_PKiS6_N6hipcub16HIPCUB_304000_NS6detail27convert_result_type_wrapperISA_SB_N2at6native12_GLOBAL__N_19CustomSumEEEEE10hipError_tPvRmT0_T1_jT2_SS_T4_T3_P12ihipStream_tbEUlT_E_NS1_11comp_targetILNS1_3genE9ELNS1_11target_archE1100ELNS1_3gpuE3ELNS1_3repE0EEENS1_30default_config_static_selectorELNS0_4arch9wavefront6targetE0EEEvSR_
    .private_segment_fixed_size: 0
    .sgpr_count:     0
    .sgpr_spill_count: 0
    .symbol:         _ZN7rocprim17ROCPRIM_400000_NS6detail17trampoline_kernelINS0_14default_configENS1_32segmented_reduce_config_selectorIN3c108BFloat16EEEZNS1_21segmented_reduce_implIS3_PKS6_PS6_PKiS6_N6hipcub16HIPCUB_304000_NS6detail27convert_result_type_wrapperISA_SB_N2at6native12_GLOBAL__N_19CustomSumEEEEE10hipError_tPvRmT0_T1_jT2_SS_T4_T3_P12ihipStream_tbEUlT_E_NS1_11comp_targetILNS1_3genE9ELNS1_11target_archE1100ELNS1_3gpuE3ELNS1_3repE0EEENS1_30default_config_static_selectorELNS0_4arch9wavefront6targetE0EEEvSR_.kd
    .uniform_work_group_size: 1
    .uses_dynamic_stack: false
    .vgpr_count:     0
    .vgpr_spill_count: 0
    .wavefront_size: 32
    .workgroup_processor_mode: 1
  - .args:
      - .offset:         0
        .size:           48
        .value_kind:     by_value
    .group_segment_fixed_size: 16
    .kernarg_segment_align: 8
    .kernarg_segment_size: 48
    .language:       OpenCL C
    .language_version:
      - 2
      - 0
    .max_flat_workgroup_size: 256
    .name:           _ZN7rocprim17ROCPRIM_400000_NS6detail17trampoline_kernelINS0_14default_configENS1_32segmented_reduce_config_selectorIN3c108BFloat16EEEZNS1_21segmented_reduce_implIS3_PKS6_PS6_PKiS6_N6hipcub16HIPCUB_304000_NS6detail27convert_result_type_wrapperISA_SB_N2at6native12_GLOBAL__N_19CustomSumEEEEE10hipError_tPvRmT0_T1_jT2_SS_T4_T3_P12ihipStream_tbEUlT_E_NS1_11comp_targetILNS1_3genE8ELNS1_11target_archE1030ELNS1_3gpuE2ELNS1_3repE0EEENS1_30default_config_static_selectorELNS0_4arch9wavefront6targetE0EEEvSR_
    .private_segment_fixed_size: 0
    .sgpr_count:     24
    .sgpr_spill_count: 0
    .symbol:         _ZN7rocprim17ROCPRIM_400000_NS6detail17trampoline_kernelINS0_14default_configENS1_32segmented_reduce_config_selectorIN3c108BFloat16EEEZNS1_21segmented_reduce_implIS3_PKS6_PS6_PKiS6_N6hipcub16HIPCUB_304000_NS6detail27convert_result_type_wrapperISA_SB_N2at6native12_GLOBAL__N_19CustomSumEEEEE10hipError_tPvRmT0_T1_jT2_SS_T4_T3_P12ihipStream_tbEUlT_E_NS1_11comp_targetILNS1_3genE8ELNS1_11target_archE1030ELNS1_3gpuE2ELNS1_3repE0EEENS1_30default_config_static_selectorELNS0_4arch9wavefront6targetE0EEEvSR_.kd
    .uniform_work_group_size: 1
    .uses_dynamic_stack: false
    .vgpr_count:     16
    .vgpr_spill_count: 0
    .wavefront_size: 32
    .workgroup_processor_mode: 1
  - .args:
      - .address_space:  global
        .offset:         0
        .size:           8
        .value_kind:     global_buffer
      - .address_space:  global
        .offset:         8
        .size:           8
        .value_kind:     global_buffer
      - .offset:         16
        .size:           8
        .value_kind:     by_value
      - .offset:         24
        .size:           1
        .value_kind:     by_value
      - .offset:         26
        .size:           2
        .value_kind:     by_value
      - .offset:         32
        .size:           4
        .value_kind:     hidden_block_count_x
      - .offset:         36
        .size:           4
        .value_kind:     hidden_block_count_y
      - .offset:         40
        .size:           4
        .value_kind:     hidden_block_count_z
      - .offset:         44
        .size:           2
        .value_kind:     hidden_group_size_x
      - .offset:         46
        .size:           2
        .value_kind:     hidden_group_size_y
      - .offset:         48
        .size:           2
        .value_kind:     hidden_group_size_z
      - .offset:         50
        .size:           2
        .value_kind:     hidden_remainder_x
      - .offset:         52
        .size:           2
        .value_kind:     hidden_remainder_y
      - .offset:         54
        .size:           2
        .value_kind:     hidden_remainder_z
      - .offset:         72
        .size:           8
        .value_kind:     hidden_global_offset_x
      - .offset:         80
        .size:           8
        .value_kind:     hidden_global_offset_y
      - .offset:         88
        .size:           8
        .value_kind:     hidden_global_offset_z
      - .offset:         96
        .size:           2
        .value_kind:     hidden_grid_dims
    .group_segment_fixed_size: 0
    .kernarg_segment_align: 8
    .kernarg_segment_size: 288
    .language:       OpenCL C
    .language_version:
      - 2
      - 0
    .max_flat_workgroup_size: 1024
    .name:           _ZN2at6native12_GLOBAL__N_119post_sum_div_kernelIN3c108BFloat16EiEEvPT_PKT0_lbS5_
    .private_segment_fixed_size: 0
    .sgpr_count:     19
    .sgpr_spill_count: 0
    .symbol:         _ZN2at6native12_GLOBAL__N_119post_sum_div_kernelIN3c108BFloat16EiEEvPT_PKT0_lbS5_.kd
    .uniform_work_group_size: 1
    .uses_dynamic_stack: false
    .vgpr_count:     14
    .vgpr_spill_count: 0
    .wavefront_size: 32
    .workgroup_processor_mode: 1
  - .args:
      - .offset:         0
        .size:           48
        .value_kind:     by_value
    .group_segment_fixed_size: 0
    .kernarg_segment_align: 8
    .kernarg_segment_size: 48
    .language:       OpenCL C
    .language_version:
      - 2
      - 0
    .max_flat_workgroup_size: 256
    .name:           _ZN7rocprim17ROCPRIM_400000_NS6detail17trampoline_kernelINS0_14default_configENS1_32segmented_reduce_config_selectorIN3c108BFloat16EEEZNS1_21segmented_reduce_implIS3_PKS6_PS6_PKiS6_N6hipcub16HIPCUB_304000_NS6detail27convert_result_type_wrapperISA_SB_N2at6native12_GLOBAL__N_19CustomMinEEEEE10hipError_tPvRmT0_T1_jT2_SS_T4_T3_P12ihipStream_tbEUlT_E_NS1_11comp_targetILNS1_3genE0ELNS1_11target_archE4294967295ELNS1_3gpuE0ELNS1_3repE0EEENS1_30default_config_static_selectorELNS0_4arch9wavefront6targetE0EEEvSR_
    .private_segment_fixed_size: 0
    .sgpr_count:     0
    .sgpr_spill_count: 0
    .symbol:         _ZN7rocprim17ROCPRIM_400000_NS6detail17trampoline_kernelINS0_14default_configENS1_32segmented_reduce_config_selectorIN3c108BFloat16EEEZNS1_21segmented_reduce_implIS3_PKS6_PS6_PKiS6_N6hipcub16HIPCUB_304000_NS6detail27convert_result_type_wrapperISA_SB_N2at6native12_GLOBAL__N_19CustomMinEEEEE10hipError_tPvRmT0_T1_jT2_SS_T4_T3_P12ihipStream_tbEUlT_E_NS1_11comp_targetILNS1_3genE0ELNS1_11target_archE4294967295ELNS1_3gpuE0ELNS1_3repE0EEENS1_30default_config_static_selectorELNS0_4arch9wavefront6targetE0EEEvSR_.kd
    .uniform_work_group_size: 1
    .uses_dynamic_stack: false
    .vgpr_count:     0
    .vgpr_spill_count: 0
    .wavefront_size: 32
    .workgroup_processor_mode: 1
  - .args:
      - .offset:         0
        .size:           48
        .value_kind:     by_value
    .group_segment_fixed_size: 0
    .kernarg_segment_align: 8
    .kernarg_segment_size: 48
    .language:       OpenCL C
    .language_version:
      - 2
      - 0
    .max_flat_workgroup_size: 256
    .name:           _ZN7rocprim17ROCPRIM_400000_NS6detail17trampoline_kernelINS0_14default_configENS1_32segmented_reduce_config_selectorIN3c108BFloat16EEEZNS1_21segmented_reduce_implIS3_PKS6_PS6_PKiS6_N6hipcub16HIPCUB_304000_NS6detail27convert_result_type_wrapperISA_SB_N2at6native12_GLOBAL__N_19CustomMinEEEEE10hipError_tPvRmT0_T1_jT2_SS_T4_T3_P12ihipStream_tbEUlT_E_NS1_11comp_targetILNS1_3genE5ELNS1_11target_archE942ELNS1_3gpuE9ELNS1_3repE0EEENS1_30default_config_static_selectorELNS0_4arch9wavefront6targetE0EEEvSR_
    .private_segment_fixed_size: 0
    .sgpr_count:     0
    .sgpr_spill_count: 0
    .symbol:         _ZN7rocprim17ROCPRIM_400000_NS6detail17trampoline_kernelINS0_14default_configENS1_32segmented_reduce_config_selectorIN3c108BFloat16EEEZNS1_21segmented_reduce_implIS3_PKS6_PS6_PKiS6_N6hipcub16HIPCUB_304000_NS6detail27convert_result_type_wrapperISA_SB_N2at6native12_GLOBAL__N_19CustomMinEEEEE10hipError_tPvRmT0_T1_jT2_SS_T4_T3_P12ihipStream_tbEUlT_E_NS1_11comp_targetILNS1_3genE5ELNS1_11target_archE942ELNS1_3gpuE9ELNS1_3repE0EEENS1_30default_config_static_selectorELNS0_4arch9wavefront6targetE0EEEvSR_.kd
    .uniform_work_group_size: 1
    .uses_dynamic_stack: false
    .vgpr_count:     0
    .vgpr_spill_count: 0
    .wavefront_size: 32
    .workgroup_processor_mode: 1
  - .args:
      - .offset:         0
        .size:           48
        .value_kind:     by_value
    .group_segment_fixed_size: 0
    .kernarg_segment_align: 8
    .kernarg_segment_size: 48
    .language:       OpenCL C
    .language_version:
      - 2
      - 0
    .max_flat_workgroup_size: 256
    .name:           _ZN7rocprim17ROCPRIM_400000_NS6detail17trampoline_kernelINS0_14default_configENS1_32segmented_reduce_config_selectorIN3c108BFloat16EEEZNS1_21segmented_reduce_implIS3_PKS6_PS6_PKiS6_N6hipcub16HIPCUB_304000_NS6detail27convert_result_type_wrapperISA_SB_N2at6native12_GLOBAL__N_19CustomMinEEEEE10hipError_tPvRmT0_T1_jT2_SS_T4_T3_P12ihipStream_tbEUlT_E_NS1_11comp_targetILNS1_3genE10ELNS1_11target_archE1201ELNS1_3gpuE5ELNS1_3repE0EEENS1_30default_config_static_selectorELNS0_4arch9wavefront6targetE0EEEvSR_
    .private_segment_fixed_size: 0
    .sgpr_count:     0
    .sgpr_spill_count: 0
    .symbol:         _ZN7rocprim17ROCPRIM_400000_NS6detail17trampoline_kernelINS0_14default_configENS1_32segmented_reduce_config_selectorIN3c108BFloat16EEEZNS1_21segmented_reduce_implIS3_PKS6_PS6_PKiS6_N6hipcub16HIPCUB_304000_NS6detail27convert_result_type_wrapperISA_SB_N2at6native12_GLOBAL__N_19CustomMinEEEEE10hipError_tPvRmT0_T1_jT2_SS_T4_T3_P12ihipStream_tbEUlT_E_NS1_11comp_targetILNS1_3genE10ELNS1_11target_archE1201ELNS1_3gpuE5ELNS1_3repE0EEENS1_30default_config_static_selectorELNS0_4arch9wavefront6targetE0EEEvSR_.kd
    .uniform_work_group_size: 1
    .uses_dynamic_stack: false
    .vgpr_count:     0
    .vgpr_spill_count: 0
    .wavefront_size: 32
    .workgroup_processor_mode: 1
  - .args:
      - .offset:         0
        .size:           48
        .value_kind:     by_value
    .group_segment_fixed_size: 0
    .kernarg_segment_align: 8
    .kernarg_segment_size: 48
    .language:       OpenCL C
    .language_version:
      - 2
      - 0
    .max_flat_workgroup_size: 256
    .name:           _ZN7rocprim17ROCPRIM_400000_NS6detail17trampoline_kernelINS0_14default_configENS1_32segmented_reduce_config_selectorIN3c108BFloat16EEEZNS1_21segmented_reduce_implIS3_PKS6_PS6_PKiS6_N6hipcub16HIPCUB_304000_NS6detail27convert_result_type_wrapperISA_SB_N2at6native12_GLOBAL__N_19CustomMinEEEEE10hipError_tPvRmT0_T1_jT2_SS_T4_T3_P12ihipStream_tbEUlT_E_NS1_11comp_targetILNS1_3genE4ELNS1_11target_archE910ELNS1_3gpuE8ELNS1_3repE0EEENS1_30default_config_static_selectorELNS0_4arch9wavefront6targetE0EEEvSR_
    .private_segment_fixed_size: 0
    .sgpr_count:     0
    .sgpr_spill_count: 0
    .symbol:         _ZN7rocprim17ROCPRIM_400000_NS6detail17trampoline_kernelINS0_14default_configENS1_32segmented_reduce_config_selectorIN3c108BFloat16EEEZNS1_21segmented_reduce_implIS3_PKS6_PS6_PKiS6_N6hipcub16HIPCUB_304000_NS6detail27convert_result_type_wrapperISA_SB_N2at6native12_GLOBAL__N_19CustomMinEEEEE10hipError_tPvRmT0_T1_jT2_SS_T4_T3_P12ihipStream_tbEUlT_E_NS1_11comp_targetILNS1_3genE4ELNS1_11target_archE910ELNS1_3gpuE8ELNS1_3repE0EEENS1_30default_config_static_selectorELNS0_4arch9wavefront6targetE0EEEvSR_.kd
    .uniform_work_group_size: 1
    .uses_dynamic_stack: false
    .vgpr_count:     0
    .vgpr_spill_count: 0
    .wavefront_size: 32
    .workgroup_processor_mode: 1
  - .args:
      - .offset:         0
        .size:           48
        .value_kind:     by_value
    .group_segment_fixed_size: 0
    .kernarg_segment_align: 8
    .kernarg_segment_size: 48
    .language:       OpenCL C
    .language_version:
      - 2
      - 0
    .max_flat_workgroup_size: 256
    .name:           _ZN7rocprim17ROCPRIM_400000_NS6detail17trampoline_kernelINS0_14default_configENS1_32segmented_reduce_config_selectorIN3c108BFloat16EEEZNS1_21segmented_reduce_implIS3_PKS6_PS6_PKiS6_N6hipcub16HIPCUB_304000_NS6detail27convert_result_type_wrapperISA_SB_N2at6native12_GLOBAL__N_19CustomMinEEEEE10hipError_tPvRmT0_T1_jT2_SS_T4_T3_P12ihipStream_tbEUlT_E_NS1_11comp_targetILNS1_3genE3ELNS1_11target_archE908ELNS1_3gpuE7ELNS1_3repE0EEENS1_30default_config_static_selectorELNS0_4arch9wavefront6targetE0EEEvSR_
    .private_segment_fixed_size: 0
    .sgpr_count:     0
    .sgpr_spill_count: 0
    .symbol:         _ZN7rocprim17ROCPRIM_400000_NS6detail17trampoline_kernelINS0_14default_configENS1_32segmented_reduce_config_selectorIN3c108BFloat16EEEZNS1_21segmented_reduce_implIS3_PKS6_PS6_PKiS6_N6hipcub16HIPCUB_304000_NS6detail27convert_result_type_wrapperISA_SB_N2at6native12_GLOBAL__N_19CustomMinEEEEE10hipError_tPvRmT0_T1_jT2_SS_T4_T3_P12ihipStream_tbEUlT_E_NS1_11comp_targetILNS1_3genE3ELNS1_11target_archE908ELNS1_3gpuE7ELNS1_3repE0EEENS1_30default_config_static_selectorELNS0_4arch9wavefront6targetE0EEEvSR_.kd
    .uniform_work_group_size: 1
    .uses_dynamic_stack: false
    .vgpr_count:     0
    .vgpr_spill_count: 0
    .wavefront_size: 32
    .workgroup_processor_mode: 1
  - .args:
      - .offset:         0
        .size:           48
        .value_kind:     by_value
    .group_segment_fixed_size: 0
    .kernarg_segment_align: 8
    .kernarg_segment_size: 48
    .language:       OpenCL C
    .language_version:
      - 2
      - 0
    .max_flat_workgroup_size: 256
    .name:           _ZN7rocprim17ROCPRIM_400000_NS6detail17trampoline_kernelINS0_14default_configENS1_32segmented_reduce_config_selectorIN3c108BFloat16EEEZNS1_21segmented_reduce_implIS3_PKS6_PS6_PKiS6_N6hipcub16HIPCUB_304000_NS6detail27convert_result_type_wrapperISA_SB_N2at6native12_GLOBAL__N_19CustomMinEEEEE10hipError_tPvRmT0_T1_jT2_SS_T4_T3_P12ihipStream_tbEUlT_E_NS1_11comp_targetILNS1_3genE2ELNS1_11target_archE906ELNS1_3gpuE6ELNS1_3repE0EEENS1_30default_config_static_selectorELNS0_4arch9wavefront6targetE0EEEvSR_
    .private_segment_fixed_size: 0
    .sgpr_count:     0
    .sgpr_spill_count: 0
    .symbol:         _ZN7rocprim17ROCPRIM_400000_NS6detail17trampoline_kernelINS0_14default_configENS1_32segmented_reduce_config_selectorIN3c108BFloat16EEEZNS1_21segmented_reduce_implIS3_PKS6_PS6_PKiS6_N6hipcub16HIPCUB_304000_NS6detail27convert_result_type_wrapperISA_SB_N2at6native12_GLOBAL__N_19CustomMinEEEEE10hipError_tPvRmT0_T1_jT2_SS_T4_T3_P12ihipStream_tbEUlT_E_NS1_11comp_targetILNS1_3genE2ELNS1_11target_archE906ELNS1_3gpuE6ELNS1_3repE0EEENS1_30default_config_static_selectorELNS0_4arch9wavefront6targetE0EEEvSR_.kd
    .uniform_work_group_size: 1
    .uses_dynamic_stack: false
    .vgpr_count:     0
    .vgpr_spill_count: 0
    .wavefront_size: 32
    .workgroup_processor_mode: 1
  - .args:
      - .offset:         0
        .size:           48
        .value_kind:     by_value
    .group_segment_fixed_size: 0
    .kernarg_segment_align: 8
    .kernarg_segment_size: 48
    .language:       OpenCL C
    .language_version:
      - 2
      - 0
    .max_flat_workgroup_size: 256
    .name:           _ZN7rocprim17ROCPRIM_400000_NS6detail17trampoline_kernelINS0_14default_configENS1_32segmented_reduce_config_selectorIN3c108BFloat16EEEZNS1_21segmented_reduce_implIS3_PKS6_PS6_PKiS6_N6hipcub16HIPCUB_304000_NS6detail27convert_result_type_wrapperISA_SB_N2at6native12_GLOBAL__N_19CustomMinEEEEE10hipError_tPvRmT0_T1_jT2_SS_T4_T3_P12ihipStream_tbEUlT_E_NS1_11comp_targetILNS1_3genE9ELNS1_11target_archE1100ELNS1_3gpuE3ELNS1_3repE0EEENS1_30default_config_static_selectorELNS0_4arch9wavefront6targetE0EEEvSR_
    .private_segment_fixed_size: 0
    .sgpr_count:     0
    .sgpr_spill_count: 0
    .symbol:         _ZN7rocprim17ROCPRIM_400000_NS6detail17trampoline_kernelINS0_14default_configENS1_32segmented_reduce_config_selectorIN3c108BFloat16EEEZNS1_21segmented_reduce_implIS3_PKS6_PS6_PKiS6_N6hipcub16HIPCUB_304000_NS6detail27convert_result_type_wrapperISA_SB_N2at6native12_GLOBAL__N_19CustomMinEEEEE10hipError_tPvRmT0_T1_jT2_SS_T4_T3_P12ihipStream_tbEUlT_E_NS1_11comp_targetILNS1_3genE9ELNS1_11target_archE1100ELNS1_3gpuE3ELNS1_3repE0EEENS1_30default_config_static_selectorELNS0_4arch9wavefront6targetE0EEEvSR_.kd
    .uniform_work_group_size: 1
    .uses_dynamic_stack: false
    .vgpr_count:     0
    .vgpr_spill_count: 0
    .wavefront_size: 32
    .workgroup_processor_mode: 1
  - .args:
      - .offset:         0
        .size:           48
        .value_kind:     by_value
    .group_segment_fixed_size: 16
    .kernarg_segment_align: 8
    .kernarg_segment_size: 48
    .language:       OpenCL C
    .language_version:
      - 2
      - 0
    .max_flat_workgroup_size: 256
    .name:           _ZN7rocprim17ROCPRIM_400000_NS6detail17trampoline_kernelINS0_14default_configENS1_32segmented_reduce_config_selectorIN3c108BFloat16EEEZNS1_21segmented_reduce_implIS3_PKS6_PS6_PKiS6_N6hipcub16HIPCUB_304000_NS6detail27convert_result_type_wrapperISA_SB_N2at6native12_GLOBAL__N_19CustomMinEEEEE10hipError_tPvRmT0_T1_jT2_SS_T4_T3_P12ihipStream_tbEUlT_E_NS1_11comp_targetILNS1_3genE8ELNS1_11target_archE1030ELNS1_3gpuE2ELNS1_3repE0EEENS1_30default_config_static_selectorELNS0_4arch9wavefront6targetE0EEEvSR_
    .private_segment_fixed_size: 0
    .sgpr_count:     25
    .sgpr_spill_count: 0
    .symbol:         _ZN7rocprim17ROCPRIM_400000_NS6detail17trampoline_kernelINS0_14default_configENS1_32segmented_reduce_config_selectorIN3c108BFloat16EEEZNS1_21segmented_reduce_implIS3_PKS6_PS6_PKiS6_N6hipcub16HIPCUB_304000_NS6detail27convert_result_type_wrapperISA_SB_N2at6native12_GLOBAL__N_19CustomMinEEEEE10hipError_tPvRmT0_T1_jT2_SS_T4_T3_P12ihipStream_tbEUlT_E_NS1_11comp_targetILNS1_3genE8ELNS1_11target_archE1030ELNS1_3gpuE2ELNS1_3repE0EEENS1_30default_config_static_selectorELNS0_4arch9wavefront6targetE0EEEvSR_.kd
    .uniform_work_group_size: 1
    .uses_dynamic_stack: false
    .vgpr_count:     16
    .vgpr_spill_count: 0
    .wavefront_size: 32
    .workgroup_processor_mode: 1
  - .args:
      - .offset:         0
        .size:           48
        .value_kind:     by_value
    .group_segment_fixed_size: 0
    .kernarg_segment_align: 8
    .kernarg_segment_size: 48
    .language:       OpenCL C
    .language_version:
      - 2
      - 0
    .max_flat_workgroup_size: 256
    .name:           _ZN7rocprim17ROCPRIM_400000_NS6detail17trampoline_kernelINS0_14default_configENS1_32segmented_reduce_config_selectorIN3c108BFloat16EEEZNS1_21segmented_reduce_implIS3_PKS6_PS6_PKiS6_N6hipcub16HIPCUB_304000_NS6detail27convert_result_type_wrapperISA_SB_N2at6native12_GLOBAL__N_110CustomProdEEEEE10hipError_tPvRmT0_T1_jT2_SS_T4_T3_P12ihipStream_tbEUlT_E_NS1_11comp_targetILNS1_3genE0ELNS1_11target_archE4294967295ELNS1_3gpuE0ELNS1_3repE0EEENS1_30default_config_static_selectorELNS0_4arch9wavefront6targetE0EEEvSR_
    .private_segment_fixed_size: 0
    .sgpr_count:     0
    .sgpr_spill_count: 0
    .symbol:         _ZN7rocprim17ROCPRIM_400000_NS6detail17trampoline_kernelINS0_14default_configENS1_32segmented_reduce_config_selectorIN3c108BFloat16EEEZNS1_21segmented_reduce_implIS3_PKS6_PS6_PKiS6_N6hipcub16HIPCUB_304000_NS6detail27convert_result_type_wrapperISA_SB_N2at6native12_GLOBAL__N_110CustomProdEEEEE10hipError_tPvRmT0_T1_jT2_SS_T4_T3_P12ihipStream_tbEUlT_E_NS1_11comp_targetILNS1_3genE0ELNS1_11target_archE4294967295ELNS1_3gpuE0ELNS1_3repE0EEENS1_30default_config_static_selectorELNS0_4arch9wavefront6targetE0EEEvSR_.kd
    .uniform_work_group_size: 1
    .uses_dynamic_stack: false
    .vgpr_count:     0
    .vgpr_spill_count: 0
    .wavefront_size: 32
    .workgroup_processor_mode: 1
  - .args:
      - .offset:         0
        .size:           48
        .value_kind:     by_value
    .group_segment_fixed_size: 0
    .kernarg_segment_align: 8
    .kernarg_segment_size: 48
    .language:       OpenCL C
    .language_version:
      - 2
      - 0
    .max_flat_workgroup_size: 256
    .name:           _ZN7rocprim17ROCPRIM_400000_NS6detail17trampoline_kernelINS0_14default_configENS1_32segmented_reduce_config_selectorIN3c108BFloat16EEEZNS1_21segmented_reduce_implIS3_PKS6_PS6_PKiS6_N6hipcub16HIPCUB_304000_NS6detail27convert_result_type_wrapperISA_SB_N2at6native12_GLOBAL__N_110CustomProdEEEEE10hipError_tPvRmT0_T1_jT2_SS_T4_T3_P12ihipStream_tbEUlT_E_NS1_11comp_targetILNS1_3genE5ELNS1_11target_archE942ELNS1_3gpuE9ELNS1_3repE0EEENS1_30default_config_static_selectorELNS0_4arch9wavefront6targetE0EEEvSR_
    .private_segment_fixed_size: 0
    .sgpr_count:     0
    .sgpr_spill_count: 0
    .symbol:         _ZN7rocprim17ROCPRIM_400000_NS6detail17trampoline_kernelINS0_14default_configENS1_32segmented_reduce_config_selectorIN3c108BFloat16EEEZNS1_21segmented_reduce_implIS3_PKS6_PS6_PKiS6_N6hipcub16HIPCUB_304000_NS6detail27convert_result_type_wrapperISA_SB_N2at6native12_GLOBAL__N_110CustomProdEEEEE10hipError_tPvRmT0_T1_jT2_SS_T4_T3_P12ihipStream_tbEUlT_E_NS1_11comp_targetILNS1_3genE5ELNS1_11target_archE942ELNS1_3gpuE9ELNS1_3repE0EEENS1_30default_config_static_selectorELNS0_4arch9wavefront6targetE0EEEvSR_.kd
    .uniform_work_group_size: 1
    .uses_dynamic_stack: false
    .vgpr_count:     0
    .vgpr_spill_count: 0
    .wavefront_size: 32
    .workgroup_processor_mode: 1
  - .args:
      - .offset:         0
        .size:           48
        .value_kind:     by_value
    .group_segment_fixed_size: 0
    .kernarg_segment_align: 8
    .kernarg_segment_size: 48
    .language:       OpenCL C
    .language_version:
      - 2
      - 0
    .max_flat_workgroup_size: 256
    .name:           _ZN7rocprim17ROCPRIM_400000_NS6detail17trampoline_kernelINS0_14default_configENS1_32segmented_reduce_config_selectorIN3c108BFloat16EEEZNS1_21segmented_reduce_implIS3_PKS6_PS6_PKiS6_N6hipcub16HIPCUB_304000_NS6detail27convert_result_type_wrapperISA_SB_N2at6native12_GLOBAL__N_110CustomProdEEEEE10hipError_tPvRmT0_T1_jT2_SS_T4_T3_P12ihipStream_tbEUlT_E_NS1_11comp_targetILNS1_3genE10ELNS1_11target_archE1201ELNS1_3gpuE5ELNS1_3repE0EEENS1_30default_config_static_selectorELNS0_4arch9wavefront6targetE0EEEvSR_
    .private_segment_fixed_size: 0
    .sgpr_count:     0
    .sgpr_spill_count: 0
    .symbol:         _ZN7rocprim17ROCPRIM_400000_NS6detail17trampoline_kernelINS0_14default_configENS1_32segmented_reduce_config_selectorIN3c108BFloat16EEEZNS1_21segmented_reduce_implIS3_PKS6_PS6_PKiS6_N6hipcub16HIPCUB_304000_NS6detail27convert_result_type_wrapperISA_SB_N2at6native12_GLOBAL__N_110CustomProdEEEEE10hipError_tPvRmT0_T1_jT2_SS_T4_T3_P12ihipStream_tbEUlT_E_NS1_11comp_targetILNS1_3genE10ELNS1_11target_archE1201ELNS1_3gpuE5ELNS1_3repE0EEENS1_30default_config_static_selectorELNS0_4arch9wavefront6targetE0EEEvSR_.kd
    .uniform_work_group_size: 1
    .uses_dynamic_stack: false
    .vgpr_count:     0
    .vgpr_spill_count: 0
    .wavefront_size: 32
    .workgroup_processor_mode: 1
  - .args:
      - .offset:         0
        .size:           48
        .value_kind:     by_value
    .group_segment_fixed_size: 0
    .kernarg_segment_align: 8
    .kernarg_segment_size: 48
    .language:       OpenCL C
    .language_version:
      - 2
      - 0
    .max_flat_workgroup_size: 256
    .name:           _ZN7rocprim17ROCPRIM_400000_NS6detail17trampoline_kernelINS0_14default_configENS1_32segmented_reduce_config_selectorIN3c108BFloat16EEEZNS1_21segmented_reduce_implIS3_PKS6_PS6_PKiS6_N6hipcub16HIPCUB_304000_NS6detail27convert_result_type_wrapperISA_SB_N2at6native12_GLOBAL__N_110CustomProdEEEEE10hipError_tPvRmT0_T1_jT2_SS_T4_T3_P12ihipStream_tbEUlT_E_NS1_11comp_targetILNS1_3genE4ELNS1_11target_archE910ELNS1_3gpuE8ELNS1_3repE0EEENS1_30default_config_static_selectorELNS0_4arch9wavefront6targetE0EEEvSR_
    .private_segment_fixed_size: 0
    .sgpr_count:     0
    .sgpr_spill_count: 0
    .symbol:         _ZN7rocprim17ROCPRIM_400000_NS6detail17trampoline_kernelINS0_14default_configENS1_32segmented_reduce_config_selectorIN3c108BFloat16EEEZNS1_21segmented_reduce_implIS3_PKS6_PS6_PKiS6_N6hipcub16HIPCUB_304000_NS6detail27convert_result_type_wrapperISA_SB_N2at6native12_GLOBAL__N_110CustomProdEEEEE10hipError_tPvRmT0_T1_jT2_SS_T4_T3_P12ihipStream_tbEUlT_E_NS1_11comp_targetILNS1_3genE4ELNS1_11target_archE910ELNS1_3gpuE8ELNS1_3repE0EEENS1_30default_config_static_selectorELNS0_4arch9wavefront6targetE0EEEvSR_.kd
    .uniform_work_group_size: 1
    .uses_dynamic_stack: false
    .vgpr_count:     0
    .vgpr_spill_count: 0
    .wavefront_size: 32
    .workgroup_processor_mode: 1
  - .args:
      - .offset:         0
        .size:           48
        .value_kind:     by_value
    .group_segment_fixed_size: 0
    .kernarg_segment_align: 8
    .kernarg_segment_size: 48
    .language:       OpenCL C
    .language_version:
      - 2
      - 0
    .max_flat_workgroup_size: 256
    .name:           _ZN7rocprim17ROCPRIM_400000_NS6detail17trampoline_kernelINS0_14default_configENS1_32segmented_reduce_config_selectorIN3c108BFloat16EEEZNS1_21segmented_reduce_implIS3_PKS6_PS6_PKiS6_N6hipcub16HIPCUB_304000_NS6detail27convert_result_type_wrapperISA_SB_N2at6native12_GLOBAL__N_110CustomProdEEEEE10hipError_tPvRmT0_T1_jT2_SS_T4_T3_P12ihipStream_tbEUlT_E_NS1_11comp_targetILNS1_3genE3ELNS1_11target_archE908ELNS1_3gpuE7ELNS1_3repE0EEENS1_30default_config_static_selectorELNS0_4arch9wavefront6targetE0EEEvSR_
    .private_segment_fixed_size: 0
    .sgpr_count:     0
    .sgpr_spill_count: 0
    .symbol:         _ZN7rocprim17ROCPRIM_400000_NS6detail17trampoline_kernelINS0_14default_configENS1_32segmented_reduce_config_selectorIN3c108BFloat16EEEZNS1_21segmented_reduce_implIS3_PKS6_PS6_PKiS6_N6hipcub16HIPCUB_304000_NS6detail27convert_result_type_wrapperISA_SB_N2at6native12_GLOBAL__N_110CustomProdEEEEE10hipError_tPvRmT0_T1_jT2_SS_T4_T3_P12ihipStream_tbEUlT_E_NS1_11comp_targetILNS1_3genE3ELNS1_11target_archE908ELNS1_3gpuE7ELNS1_3repE0EEENS1_30default_config_static_selectorELNS0_4arch9wavefront6targetE0EEEvSR_.kd
    .uniform_work_group_size: 1
    .uses_dynamic_stack: false
    .vgpr_count:     0
    .vgpr_spill_count: 0
    .wavefront_size: 32
    .workgroup_processor_mode: 1
  - .args:
      - .offset:         0
        .size:           48
        .value_kind:     by_value
    .group_segment_fixed_size: 0
    .kernarg_segment_align: 8
    .kernarg_segment_size: 48
    .language:       OpenCL C
    .language_version:
      - 2
      - 0
    .max_flat_workgroup_size: 256
    .name:           _ZN7rocprim17ROCPRIM_400000_NS6detail17trampoline_kernelINS0_14default_configENS1_32segmented_reduce_config_selectorIN3c108BFloat16EEEZNS1_21segmented_reduce_implIS3_PKS6_PS6_PKiS6_N6hipcub16HIPCUB_304000_NS6detail27convert_result_type_wrapperISA_SB_N2at6native12_GLOBAL__N_110CustomProdEEEEE10hipError_tPvRmT0_T1_jT2_SS_T4_T3_P12ihipStream_tbEUlT_E_NS1_11comp_targetILNS1_3genE2ELNS1_11target_archE906ELNS1_3gpuE6ELNS1_3repE0EEENS1_30default_config_static_selectorELNS0_4arch9wavefront6targetE0EEEvSR_
    .private_segment_fixed_size: 0
    .sgpr_count:     0
    .sgpr_spill_count: 0
    .symbol:         _ZN7rocprim17ROCPRIM_400000_NS6detail17trampoline_kernelINS0_14default_configENS1_32segmented_reduce_config_selectorIN3c108BFloat16EEEZNS1_21segmented_reduce_implIS3_PKS6_PS6_PKiS6_N6hipcub16HIPCUB_304000_NS6detail27convert_result_type_wrapperISA_SB_N2at6native12_GLOBAL__N_110CustomProdEEEEE10hipError_tPvRmT0_T1_jT2_SS_T4_T3_P12ihipStream_tbEUlT_E_NS1_11comp_targetILNS1_3genE2ELNS1_11target_archE906ELNS1_3gpuE6ELNS1_3repE0EEENS1_30default_config_static_selectorELNS0_4arch9wavefront6targetE0EEEvSR_.kd
    .uniform_work_group_size: 1
    .uses_dynamic_stack: false
    .vgpr_count:     0
    .vgpr_spill_count: 0
    .wavefront_size: 32
    .workgroup_processor_mode: 1
  - .args:
      - .offset:         0
        .size:           48
        .value_kind:     by_value
    .group_segment_fixed_size: 0
    .kernarg_segment_align: 8
    .kernarg_segment_size: 48
    .language:       OpenCL C
    .language_version:
      - 2
      - 0
    .max_flat_workgroup_size: 256
    .name:           _ZN7rocprim17ROCPRIM_400000_NS6detail17trampoline_kernelINS0_14default_configENS1_32segmented_reduce_config_selectorIN3c108BFloat16EEEZNS1_21segmented_reduce_implIS3_PKS6_PS6_PKiS6_N6hipcub16HIPCUB_304000_NS6detail27convert_result_type_wrapperISA_SB_N2at6native12_GLOBAL__N_110CustomProdEEEEE10hipError_tPvRmT0_T1_jT2_SS_T4_T3_P12ihipStream_tbEUlT_E_NS1_11comp_targetILNS1_3genE9ELNS1_11target_archE1100ELNS1_3gpuE3ELNS1_3repE0EEENS1_30default_config_static_selectorELNS0_4arch9wavefront6targetE0EEEvSR_
    .private_segment_fixed_size: 0
    .sgpr_count:     0
    .sgpr_spill_count: 0
    .symbol:         _ZN7rocprim17ROCPRIM_400000_NS6detail17trampoline_kernelINS0_14default_configENS1_32segmented_reduce_config_selectorIN3c108BFloat16EEEZNS1_21segmented_reduce_implIS3_PKS6_PS6_PKiS6_N6hipcub16HIPCUB_304000_NS6detail27convert_result_type_wrapperISA_SB_N2at6native12_GLOBAL__N_110CustomProdEEEEE10hipError_tPvRmT0_T1_jT2_SS_T4_T3_P12ihipStream_tbEUlT_E_NS1_11comp_targetILNS1_3genE9ELNS1_11target_archE1100ELNS1_3gpuE3ELNS1_3repE0EEENS1_30default_config_static_selectorELNS0_4arch9wavefront6targetE0EEEvSR_.kd
    .uniform_work_group_size: 1
    .uses_dynamic_stack: false
    .vgpr_count:     0
    .vgpr_spill_count: 0
    .wavefront_size: 32
    .workgroup_processor_mode: 1
  - .args:
      - .offset:         0
        .size:           48
        .value_kind:     by_value
    .group_segment_fixed_size: 16
    .kernarg_segment_align: 8
    .kernarg_segment_size: 48
    .language:       OpenCL C
    .language_version:
      - 2
      - 0
    .max_flat_workgroup_size: 256
    .name:           _ZN7rocprim17ROCPRIM_400000_NS6detail17trampoline_kernelINS0_14default_configENS1_32segmented_reduce_config_selectorIN3c108BFloat16EEEZNS1_21segmented_reduce_implIS3_PKS6_PS6_PKiS6_N6hipcub16HIPCUB_304000_NS6detail27convert_result_type_wrapperISA_SB_N2at6native12_GLOBAL__N_110CustomProdEEEEE10hipError_tPvRmT0_T1_jT2_SS_T4_T3_P12ihipStream_tbEUlT_E_NS1_11comp_targetILNS1_3genE8ELNS1_11target_archE1030ELNS1_3gpuE2ELNS1_3repE0EEENS1_30default_config_static_selectorELNS0_4arch9wavefront6targetE0EEEvSR_
    .private_segment_fixed_size: 0
    .sgpr_count:     24
    .sgpr_spill_count: 0
    .symbol:         _ZN7rocprim17ROCPRIM_400000_NS6detail17trampoline_kernelINS0_14default_configENS1_32segmented_reduce_config_selectorIN3c108BFloat16EEEZNS1_21segmented_reduce_implIS3_PKS6_PS6_PKiS6_N6hipcub16HIPCUB_304000_NS6detail27convert_result_type_wrapperISA_SB_N2at6native12_GLOBAL__N_110CustomProdEEEEE10hipError_tPvRmT0_T1_jT2_SS_T4_T3_P12ihipStream_tbEUlT_E_NS1_11comp_targetILNS1_3genE8ELNS1_11target_archE1030ELNS1_3gpuE2ELNS1_3repE0EEENS1_30default_config_static_selectorELNS0_4arch9wavefront6targetE0EEEvSR_.kd
    .uniform_work_group_size: 1
    .uses_dynamic_stack: false
    .vgpr_count:     16
    .vgpr_spill_count: 0
    .wavefront_size: 32
    .workgroup_processor_mode: 1
  - .args:
      - .offset:         0
        .size:           4
        .value_kind:     by_value
      - .address_space:  global
        .offset:         8
        .size:           8
        .value_kind:     global_buffer
      - .address_space:  global
        .offset:         16
        .size:           8
        .value_kind:     global_buffer
      - .address_space:  global
        .offset:         24
        .size:           8
        .value_kind:     global_buffer
      - .address_space:  global
        .offset:         32
        .size:           8
        .value_kind:     global_buffer
      - .offset:         40
        .size:           8
        .value_kind:     by_value
      - .offset:         48
        .size:           8
        .value_kind:     by_value
      - .offset:         56
        .size:           1
        .value_kind:     by_value
      - .offset:         64
        .size:           8
        .value_kind:     by_value
      - .offset:         72
        .size:           8
        .value_kind:     by_value
      - .offset:         80
        .size:           8
        .value_kind:     by_value
      - .offset:         88
        .size:           8
        .value_kind:     by_value
      - .offset:         96
        .size:           8
        .value_kind:     by_value
      - .offset:         104
        .size:           8
        .value_kind:     by_value
      - .offset:         112
        .size:           8
        .value_kind:     by_value
      - .offset:         120
        .size:           8
        .value_kind:     by_value
      - .offset:         128
        .size:           4
        .value_kind:     hidden_block_count_x
      - .offset:         132
        .size:           4
        .value_kind:     hidden_block_count_y
      - .offset:         136
        .size:           4
        .value_kind:     hidden_block_count_z
      - .offset:         140
        .size:           2
        .value_kind:     hidden_group_size_x
      - .offset:         142
        .size:           2
        .value_kind:     hidden_group_size_y
      - .offset:         144
        .size:           2
        .value_kind:     hidden_group_size_z
      - .offset:         146
        .size:           2
        .value_kind:     hidden_remainder_x
      - .offset:         148
        .size:           2
        .value_kind:     hidden_remainder_y
      - .offset:         150
        .size:           2
        .value_kind:     hidden_remainder_z
      - .offset:         168
        .size:           8
        .value_kind:     hidden_global_offset_x
      - .offset:         176
        .size:           8
        .value_kind:     hidden_global_offset_y
      - .offset:         184
        .size:           8
        .value_kind:     hidden_global_offset_z
      - .offset:         192
        .size:           2
        .value_kind:     hidden_grid_dims
    .group_segment_fixed_size: 0
    .kernarg_segment_align: 8
    .kernarg_segment_size: 384
    .language:       OpenCL C
    .language_version:
      - 2
      - 0
    .max_flat_workgroup_size: 1024
    .name:           _ZN2at6native12_GLOBAL__N_129segment_reduce_forward_kernelIdlEEvNS0_13ReductionTypeEPT_PKS4_PKT0_SA_llbS4_lllllll
    .private_segment_fixed_size: 0
    .sgpr_count:     46
    .sgpr_spill_count: 0
    .symbol:         _ZN2at6native12_GLOBAL__N_129segment_reduce_forward_kernelIdlEEvNS0_13ReductionTypeEPT_PKS4_PKT0_SA_llbS4_lllllll.kd
    .uniform_work_group_size: 1
    .uses_dynamic_stack: false
    .vgpr_count:     24
    .vgpr_spill_count: 0
    .wavefront_size: 32
    .workgroup_processor_mode: 1
  - .args:
      - .offset:         0
        .size:           56
        .value_kind:     by_value
    .group_segment_fixed_size: 0
    .kernarg_segment_align: 8
    .kernarg_segment_size: 56
    .language:       OpenCL C
    .language_version:
      - 2
      - 0
    .max_flat_workgroup_size: 256
    .name:           _ZN7rocprim17ROCPRIM_400000_NS6detail17trampoline_kernelINS0_14default_configENS1_32segmented_reduce_config_selectorIdEEZNS1_21segmented_reduce_implIS3_PKdPdPKldN6hipcub16HIPCUB_304000_NS6detail27convert_result_type_wrapperIS8_S9_N2at6native12_GLOBAL__N_19CustomMaxEEEEE10hipError_tPvRmT0_T1_jT2_SQ_T4_T3_P12ihipStream_tbEUlT_E_NS1_11comp_targetILNS1_3genE0ELNS1_11target_archE4294967295ELNS1_3gpuE0ELNS1_3repE0EEENS1_30default_config_static_selectorELNS0_4arch9wavefront6targetE0EEEvSP_
    .private_segment_fixed_size: 0
    .sgpr_count:     0
    .sgpr_spill_count: 0
    .symbol:         _ZN7rocprim17ROCPRIM_400000_NS6detail17trampoline_kernelINS0_14default_configENS1_32segmented_reduce_config_selectorIdEEZNS1_21segmented_reduce_implIS3_PKdPdPKldN6hipcub16HIPCUB_304000_NS6detail27convert_result_type_wrapperIS8_S9_N2at6native12_GLOBAL__N_19CustomMaxEEEEE10hipError_tPvRmT0_T1_jT2_SQ_T4_T3_P12ihipStream_tbEUlT_E_NS1_11comp_targetILNS1_3genE0ELNS1_11target_archE4294967295ELNS1_3gpuE0ELNS1_3repE0EEENS1_30default_config_static_selectorELNS0_4arch9wavefront6targetE0EEEvSP_.kd
    .uniform_work_group_size: 1
    .uses_dynamic_stack: false
    .vgpr_count:     0
    .vgpr_spill_count: 0
    .wavefront_size: 32
    .workgroup_processor_mode: 1
  - .args:
      - .offset:         0
        .size:           56
        .value_kind:     by_value
    .group_segment_fixed_size: 0
    .kernarg_segment_align: 8
    .kernarg_segment_size: 56
    .language:       OpenCL C
    .language_version:
      - 2
      - 0
    .max_flat_workgroup_size: 256
    .name:           _ZN7rocprim17ROCPRIM_400000_NS6detail17trampoline_kernelINS0_14default_configENS1_32segmented_reduce_config_selectorIdEEZNS1_21segmented_reduce_implIS3_PKdPdPKldN6hipcub16HIPCUB_304000_NS6detail27convert_result_type_wrapperIS8_S9_N2at6native12_GLOBAL__N_19CustomMaxEEEEE10hipError_tPvRmT0_T1_jT2_SQ_T4_T3_P12ihipStream_tbEUlT_E_NS1_11comp_targetILNS1_3genE5ELNS1_11target_archE942ELNS1_3gpuE9ELNS1_3repE0EEENS1_30default_config_static_selectorELNS0_4arch9wavefront6targetE0EEEvSP_
    .private_segment_fixed_size: 0
    .sgpr_count:     0
    .sgpr_spill_count: 0
    .symbol:         _ZN7rocprim17ROCPRIM_400000_NS6detail17trampoline_kernelINS0_14default_configENS1_32segmented_reduce_config_selectorIdEEZNS1_21segmented_reduce_implIS3_PKdPdPKldN6hipcub16HIPCUB_304000_NS6detail27convert_result_type_wrapperIS8_S9_N2at6native12_GLOBAL__N_19CustomMaxEEEEE10hipError_tPvRmT0_T1_jT2_SQ_T4_T3_P12ihipStream_tbEUlT_E_NS1_11comp_targetILNS1_3genE5ELNS1_11target_archE942ELNS1_3gpuE9ELNS1_3repE0EEENS1_30default_config_static_selectorELNS0_4arch9wavefront6targetE0EEEvSP_.kd
    .uniform_work_group_size: 1
    .uses_dynamic_stack: false
    .vgpr_count:     0
    .vgpr_spill_count: 0
    .wavefront_size: 32
    .workgroup_processor_mode: 1
  - .args:
      - .offset:         0
        .size:           56
        .value_kind:     by_value
    .group_segment_fixed_size: 0
    .kernarg_segment_align: 8
    .kernarg_segment_size: 56
    .language:       OpenCL C
    .language_version:
      - 2
      - 0
    .max_flat_workgroup_size: 256
    .name:           _ZN7rocprim17ROCPRIM_400000_NS6detail17trampoline_kernelINS0_14default_configENS1_32segmented_reduce_config_selectorIdEEZNS1_21segmented_reduce_implIS3_PKdPdPKldN6hipcub16HIPCUB_304000_NS6detail27convert_result_type_wrapperIS8_S9_N2at6native12_GLOBAL__N_19CustomMaxEEEEE10hipError_tPvRmT0_T1_jT2_SQ_T4_T3_P12ihipStream_tbEUlT_E_NS1_11comp_targetILNS1_3genE10ELNS1_11target_archE1201ELNS1_3gpuE5ELNS1_3repE0EEENS1_30default_config_static_selectorELNS0_4arch9wavefront6targetE0EEEvSP_
    .private_segment_fixed_size: 0
    .sgpr_count:     0
    .sgpr_spill_count: 0
    .symbol:         _ZN7rocprim17ROCPRIM_400000_NS6detail17trampoline_kernelINS0_14default_configENS1_32segmented_reduce_config_selectorIdEEZNS1_21segmented_reduce_implIS3_PKdPdPKldN6hipcub16HIPCUB_304000_NS6detail27convert_result_type_wrapperIS8_S9_N2at6native12_GLOBAL__N_19CustomMaxEEEEE10hipError_tPvRmT0_T1_jT2_SQ_T4_T3_P12ihipStream_tbEUlT_E_NS1_11comp_targetILNS1_3genE10ELNS1_11target_archE1201ELNS1_3gpuE5ELNS1_3repE0EEENS1_30default_config_static_selectorELNS0_4arch9wavefront6targetE0EEEvSP_.kd
    .uniform_work_group_size: 1
    .uses_dynamic_stack: false
    .vgpr_count:     0
    .vgpr_spill_count: 0
    .wavefront_size: 32
    .workgroup_processor_mode: 1
  - .args:
      - .offset:         0
        .size:           56
        .value_kind:     by_value
    .group_segment_fixed_size: 0
    .kernarg_segment_align: 8
    .kernarg_segment_size: 56
    .language:       OpenCL C
    .language_version:
      - 2
      - 0
    .max_flat_workgroup_size: 256
    .name:           _ZN7rocprim17ROCPRIM_400000_NS6detail17trampoline_kernelINS0_14default_configENS1_32segmented_reduce_config_selectorIdEEZNS1_21segmented_reduce_implIS3_PKdPdPKldN6hipcub16HIPCUB_304000_NS6detail27convert_result_type_wrapperIS8_S9_N2at6native12_GLOBAL__N_19CustomMaxEEEEE10hipError_tPvRmT0_T1_jT2_SQ_T4_T3_P12ihipStream_tbEUlT_E_NS1_11comp_targetILNS1_3genE4ELNS1_11target_archE910ELNS1_3gpuE8ELNS1_3repE0EEENS1_30default_config_static_selectorELNS0_4arch9wavefront6targetE0EEEvSP_
    .private_segment_fixed_size: 0
    .sgpr_count:     0
    .sgpr_spill_count: 0
    .symbol:         _ZN7rocprim17ROCPRIM_400000_NS6detail17trampoline_kernelINS0_14default_configENS1_32segmented_reduce_config_selectorIdEEZNS1_21segmented_reduce_implIS3_PKdPdPKldN6hipcub16HIPCUB_304000_NS6detail27convert_result_type_wrapperIS8_S9_N2at6native12_GLOBAL__N_19CustomMaxEEEEE10hipError_tPvRmT0_T1_jT2_SQ_T4_T3_P12ihipStream_tbEUlT_E_NS1_11comp_targetILNS1_3genE4ELNS1_11target_archE910ELNS1_3gpuE8ELNS1_3repE0EEENS1_30default_config_static_selectorELNS0_4arch9wavefront6targetE0EEEvSP_.kd
    .uniform_work_group_size: 1
    .uses_dynamic_stack: false
    .vgpr_count:     0
    .vgpr_spill_count: 0
    .wavefront_size: 32
    .workgroup_processor_mode: 1
  - .args:
      - .offset:         0
        .size:           56
        .value_kind:     by_value
    .group_segment_fixed_size: 0
    .kernarg_segment_align: 8
    .kernarg_segment_size: 56
    .language:       OpenCL C
    .language_version:
      - 2
      - 0
    .max_flat_workgroup_size: 256
    .name:           _ZN7rocprim17ROCPRIM_400000_NS6detail17trampoline_kernelINS0_14default_configENS1_32segmented_reduce_config_selectorIdEEZNS1_21segmented_reduce_implIS3_PKdPdPKldN6hipcub16HIPCUB_304000_NS6detail27convert_result_type_wrapperIS8_S9_N2at6native12_GLOBAL__N_19CustomMaxEEEEE10hipError_tPvRmT0_T1_jT2_SQ_T4_T3_P12ihipStream_tbEUlT_E_NS1_11comp_targetILNS1_3genE3ELNS1_11target_archE908ELNS1_3gpuE7ELNS1_3repE0EEENS1_30default_config_static_selectorELNS0_4arch9wavefront6targetE0EEEvSP_
    .private_segment_fixed_size: 0
    .sgpr_count:     0
    .sgpr_spill_count: 0
    .symbol:         _ZN7rocprim17ROCPRIM_400000_NS6detail17trampoline_kernelINS0_14default_configENS1_32segmented_reduce_config_selectorIdEEZNS1_21segmented_reduce_implIS3_PKdPdPKldN6hipcub16HIPCUB_304000_NS6detail27convert_result_type_wrapperIS8_S9_N2at6native12_GLOBAL__N_19CustomMaxEEEEE10hipError_tPvRmT0_T1_jT2_SQ_T4_T3_P12ihipStream_tbEUlT_E_NS1_11comp_targetILNS1_3genE3ELNS1_11target_archE908ELNS1_3gpuE7ELNS1_3repE0EEENS1_30default_config_static_selectorELNS0_4arch9wavefront6targetE0EEEvSP_.kd
    .uniform_work_group_size: 1
    .uses_dynamic_stack: false
    .vgpr_count:     0
    .vgpr_spill_count: 0
    .wavefront_size: 32
    .workgroup_processor_mode: 1
  - .args:
      - .offset:         0
        .size:           56
        .value_kind:     by_value
    .group_segment_fixed_size: 0
    .kernarg_segment_align: 8
    .kernarg_segment_size: 56
    .language:       OpenCL C
    .language_version:
      - 2
      - 0
    .max_flat_workgroup_size: 256
    .name:           _ZN7rocprim17ROCPRIM_400000_NS6detail17trampoline_kernelINS0_14default_configENS1_32segmented_reduce_config_selectorIdEEZNS1_21segmented_reduce_implIS3_PKdPdPKldN6hipcub16HIPCUB_304000_NS6detail27convert_result_type_wrapperIS8_S9_N2at6native12_GLOBAL__N_19CustomMaxEEEEE10hipError_tPvRmT0_T1_jT2_SQ_T4_T3_P12ihipStream_tbEUlT_E_NS1_11comp_targetILNS1_3genE2ELNS1_11target_archE906ELNS1_3gpuE6ELNS1_3repE0EEENS1_30default_config_static_selectorELNS0_4arch9wavefront6targetE0EEEvSP_
    .private_segment_fixed_size: 0
    .sgpr_count:     0
    .sgpr_spill_count: 0
    .symbol:         _ZN7rocprim17ROCPRIM_400000_NS6detail17trampoline_kernelINS0_14default_configENS1_32segmented_reduce_config_selectorIdEEZNS1_21segmented_reduce_implIS3_PKdPdPKldN6hipcub16HIPCUB_304000_NS6detail27convert_result_type_wrapperIS8_S9_N2at6native12_GLOBAL__N_19CustomMaxEEEEE10hipError_tPvRmT0_T1_jT2_SQ_T4_T3_P12ihipStream_tbEUlT_E_NS1_11comp_targetILNS1_3genE2ELNS1_11target_archE906ELNS1_3gpuE6ELNS1_3repE0EEENS1_30default_config_static_selectorELNS0_4arch9wavefront6targetE0EEEvSP_.kd
    .uniform_work_group_size: 1
    .uses_dynamic_stack: false
    .vgpr_count:     0
    .vgpr_spill_count: 0
    .wavefront_size: 32
    .workgroup_processor_mode: 1
  - .args:
      - .offset:         0
        .size:           56
        .value_kind:     by_value
    .group_segment_fixed_size: 0
    .kernarg_segment_align: 8
    .kernarg_segment_size: 56
    .language:       OpenCL C
    .language_version:
      - 2
      - 0
    .max_flat_workgroup_size: 256
    .name:           _ZN7rocprim17ROCPRIM_400000_NS6detail17trampoline_kernelINS0_14default_configENS1_32segmented_reduce_config_selectorIdEEZNS1_21segmented_reduce_implIS3_PKdPdPKldN6hipcub16HIPCUB_304000_NS6detail27convert_result_type_wrapperIS8_S9_N2at6native12_GLOBAL__N_19CustomMaxEEEEE10hipError_tPvRmT0_T1_jT2_SQ_T4_T3_P12ihipStream_tbEUlT_E_NS1_11comp_targetILNS1_3genE9ELNS1_11target_archE1100ELNS1_3gpuE3ELNS1_3repE0EEENS1_30default_config_static_selectorELNS0_4arch9wavefront6targetE0EEEvSP_
    .private_segment_fixed_size: 0
    .sgpr_count:     0
    .sgpr_spill_count: 0
    .symbol:         _ZN7rocprim17ROCPRIM_400000_NS6detail17trampoline_kernelINS0_14default_configENS1_32segmented_reduce_config_selectorIdEEZNS1_21segmented_reduce_implIS3_PKdPdPKldN6hipcub16HIPCUB_304000_NS6detail27convert_result_type_wrapperIS8_S9_N2at6native12_GLOBAL__N_19CustomMaxEEEEE10hipError_tPvRmT0_T1_jT2_SQ_T4_T3_P12ihipStream_tbEUlT_E_NS1_11comp_targetILNS1_3genE9ELNS1_11target_archE1100ELNS1_3gpuE3ELNS1_3repE0EEENS1_30default_config_static_selectorELNS0_4arch9wavefront6targetE0EEEvSP_.kd
    .uniform_work_group_size: 1
    .uses_dynamic_stack: false
    .vgpr_count:     0
    .vgpr_spill_count: 0
    .wavefront_size: 32
    .workgroup_processor_mode: 1
  - .args:
      - .offset:         0
        .size:           56
        .value_kind:     by_value
    .group_segment_fixed_size: 64
    .kernarg_segment_align: 8
    .kernarg_segment_size: 56
    .language:       OpenCL C
    .language_version:
      - 2
      - 0
    .max_flat_workgroup_size: 256
    .name:           _ZN7rocprim17ROCPRIM_400000_NS6detail17trampoline_kernelINS0_14default_configENS1_32segmented_reduce_config_selectorIdEEZNS1_21segmented_reduce_implIS3_PKdPdPKldN6hipcub16HIPCUB_304000_NS6detail27convert_result_type_wrapperIS8_S9_N2at6native12_GLOBAL__N_19CustomMaxEEEEE10hipError_tPvRmT0_T1_jT2_SQ_T4_T3_P12ihipStream_tbEUlT_E_NS1_11comp_targetILNS1_3genE8ELNS1_11target_archE1030ELNS1_3gpuE2ELNS1_3repE0EEENS1_30default_config_static_selectorELNS0_4arch9wavefront6targetE0EEEvSP_
    .private_segment_fixed_size: 0
    .sgpr_count:     24
    .sgpr_spill_count: 0
    .symbol:         _ZN7rocprim17ROCPRIM_400000_NS6detail17trampoline_kernelINS0_14default_configENS1_32segmented_reduce_config_selectorIdEEZNS1_21segmented_reduce_implIS3_PKdPdPKldN6hipcub16HIPCUB_304000_NS6detail27convert_result_type_wrapperIS8_S9_N2at6native12_GLOBAL__N_19CustomMaxEEEEE10hipError_tPvRmT0_T1_jT2_SQ_T4_T3_P12ihipStream_tbEUlT_E_NS1_11comp_targetILNS1_3genE8ELNS1_11target_archE1030ELNS1_3gpuE2ELNS1_3repE0EEENS1_30default_config_static_selectorELNS0_4arch9wavefront6targetE0EEEvSP_.kd
    .uniform_work_group_size: 1
    .uses_dynamic_stack: false
    .vgpr_count:     50
    .vgpr_spill_count: 0
    .wavefront_size: 32
    .workgroup_processor_mode: 1
  - .args:
      - .offset:         0
        .size:           56
        .value_kind:     by_value
    .group_segment_fixed_size: 0
    .kernarg_segment_align: 8
    .kernarg_segment_size: 56
    .language:       OpenCL C
    .language_version:
      - 2
      - 0
    .max_flat_workgroup_size: 256
    .name:           _ZN7rocprim17ROCPRIM_400000_NS6detail17trampoline_kernelINS0_14default_configENS1_32segmented_reduce_config_selectorIdEEZNS1_21segmented_reduce_implIS3_PKdPdPKldN6hipcub16HIPCUB_304000_NS6detail27convert_result_type_wrapperIS8_S9_N2at6native12_GLOBAL__N_19CustomSumEEEEE10hipError_tPvRmT0_T1_jT2_SQ_T4_T3_P12ihipStream_tbEUlT_E_NS1_11comp_targetILNS1_3genE0ELNS1_11target_archE4294967295ELNS1_3gpuE0ELNS1_3repE0EEENS1_30default_config_static_selectorELNS0_4arch9wavefront6targetE0EEEvSP_
    .private_segment_fixed_size: 0
    .sgpr_count:     0
    .sgpr_spill_count: 0
    .symbol:         _ZN7rocprim17ROCPRIM_400000_NS6detail17trampoline_kernelINS0_14default_configENS1_32segmented_reduce_config_selectorIdEEZNS1_21segmented_reduce_implIS3_PKdPdPKldN6hipcub16HIPCUB_304000_NS6detail27convert_result_type_wrapperIS8_S9_N2at6native12_GLOBAL__N_19CustomSumEEEEE10hipError_tPvRmT0_T1_jT2_SQ_T4_T3_P12ihipStream_tbEUlT_E_NS1_11comp_targetILNS1_3genE0ELNS1_11target_archE4294967295ELNS1_3gpuE0ELNS1_3repE0EEENS1_30default_config_static_selectorELNS0_4arch9wavefront6targetE0EEEvSP_.kd
    .uniform_work_group_size: 1
    .uses_dynamic_stack: false
    .vgpr_count:     0
    .vgpr_spill_count: 0
    .wavefront_size: 32
    .workgroup_processor_mode: 1
  - .args:
      - .offset:         0
        .size:           56
        .value_kind:     by_value
    .group_segment_fixed_size: 0
    .kernarg_segment_align: 8
    .kernarg_segment_size: 56
    .language:       OpenCL C
    .language_version:
      - 2
      - 0
    .max_flat_workgroup_size: 256
    .name:           _ZN7rocprim17ROCPRIM_400000_NS6detail17trampoline_kernelINS0_14default_configENS1_32segmented_reduce_config_selectorIdEEZNS1_21segmented_reduce_implIS3_PKdPdPKldN6hipcub16HIPCUB_304000_NS6detail27convert_result_type_wrapperIS8_S9_N2at6native12_GLOBAL__N_19CustomSumEEEEE10hipError_tPvRmT0_T1_jT2_SQ_T4_T3_P12ihipStream_tbEUlT_E_NS1_11comp_targetILNS1_3genE5ELNS1_11target_archE942ELNS1_3gpuE9ELNS1_3repE0EEENS1_30default_config_static_selectorELNS0_4arch9wavefront6targetE0EEEvSP_
    .private_segment_fixed_size: 0
    .sgpr_count:     0
    .sgpr_spill_count: 0
    .symbol:         _ZN7rocprim17ROCPRIM_400000_NS6detail17trampoline_kernelINS0_14default_configENS1_32segmented_reduce_config_selectorIdEEZNS1_21segmented_reduce_implIS3_PKdPdPKldN6hipcub16HIPCUB_304000_NS6detail27convert_result_type_wrapperIS8_S9_N2at6native12_GLOBAL__N_19CustomSumEEEEE10hipError_tPvRmT0_T1_jT2_SQ_T4_T3_P12ihipStream_tbEUlT_E_NS1_11comp_targetILNS1_3genE5ELNS1_11target_archE942ELNS1_3gpuE9ELNS1_3repE0EEENS1_30default_config_static_selectorELNS0_4arch9wavefront6targetE0EEEvSP_.kd
    .uniform_work_group_size: 1
    .uses_dynamic_stack: false
    .vgpr_count:     0
    .vgpr_spill_count: 0
    .wavefront_size: 32
    .workgroup_processor_mode: 1
  - .args:
      - .offset:         0
        .size:           56
        .value_kind:     by_value
    .group_segment_fixed_size: 0
    .kernarg_segment_align: 8
    .kernarg_segment_size: 56
    .language:       OpenCL C
    .language_version:
      - 2
      - 0
    .max_flat_workgroup_size: 256
    .name:           _ZN7rocprim17ROCPRIM_400000_NS6detail17trampoline_kernelINS0_14default_configENS1_32segmented_reduce_config_selectorIdEEZNS1_21segmented_reduce_implIS3_PKdPdPKldN6hipcub16HIPCUB_304000_NS6detail27convert_result_type_wrapperIS8_S9_N2at6native12_GLOBAL__N_19CustomSumEEEEE10hipError_tPvRmT0_T1_jT2_SQ_T4_T3_P12ihipStream_tbEUlT_E_NS1_11comp_targetILNS1_3genE10ELNS1_11target_archE1201ELNS1_3gpuE5ELNS1_3repE0EEENS1_30default_config_static_selectorELNS0_4arch9wavefront6targetE0EEEvSP_
    .private_segment_fixed_size: 0
    .sgpr_count:     0
    .sgpr_spill_count: 0
    .symbol:         _ZN7rocprim17ROCPRIM_400000_NS6detail17trampoline_kernelINS0_14default_configENS1_32segmented_reduce_config_selectorIdEEZNS1_21segmented_reduce_implIS3_PKdPdPKldN6hipcub16HIPCUB_304000_NS6detail27convert_result_type_wrapperIS8_S9_N2at6native12_GLOBAL__N_19CustomSumEEEEE10hipError_tPvRmT0_T1_jT2_SQ_T4_T3_P12ihipStream_tbEUlT_E_NS1_11comp_targetILNS1_3genE10ELNS1_11target_archE1201ELNS1_3gpuE5ELNS1_3repE0EEENS1_30default_config_static_selectorELNS0_4arch9wavefront6targetE0EEEvSP_.kd
    .uniform_work_group_size: 1
    .uses_dynamic_stack: false
    .vgpr_count:     0
    .vgpr_spill_count: 0
    .wavefront_size: 32
    .workgroup_processor_mode: 1
  - .args:
      - .offset:         0
        .size:           56
        .value_kind:     by_value
    .group_segment_fixed_size: 0
    .kernarg_segment_align: 8
    .kernarg_segment_size: 56
    .language:       OpenCL C
    .language_version:
      - 2
      - 0
    .max_flat_workgroup_size: 256
    .name:           _ZN7rocprim17ROCPRIM_400000_NS6detail17trampoline_kernelINS0_14default_configENS1_32segmented_reduce_config_selectorIdEEZNS1_21segmented_reduce_implIS3_PKdPdPKldN6hipcub16HIPCUB_304000_NS6detail27convert_result_type_wrapperIS8_S9_N2at6native12_GLOBAL__N_19CustomSumEEEEE10hipError_tPvRmT0_T1_jT2_SQ_T4_T3_P12ihipStream_tbEUlT_E_NS1_11comp_targetILNS1_3genE4ELNS1_11target_archE910ELNS1_3gpuE8ELNS1_3repE0EEENS1_30default_config_static_selectorELNS0_4arch9wavefront6targetE0EEEvSP_
    .private_segment_fixed_size: 0
    .sgpr_count:     0
    .sgpr_spill_count: 0
    .symbol:         _ZN7rocprim17ROCPRIM_400000_NS6detail17trampoline_kernelINS0_14default_configENS1_32segmented_reduce_config_selectorIdEEZNS1_21segmented_reduce_implIS3_PKdPdPKldN6hipcub16HIPCUB_304000_NS6detail27convert_result_type_wrapperIS8_S9_N2at6native12_GLOBAL__N_19CustomSumEEEEE10hipError_tPvRmT0_T1_jT2_SQ_T4_T3_P12ihipStream_tbEUlT_E_NS1_11comp_targetILNS1_3genE4ELNS1_11target_archE910ELNS1_3gpuE8ELNS1_3repE0EEENS1_30default_config_static_selectorELNS0_4arch9wavefront6targetE0EEEvSP_.kd
    .uniform_work_group_size: 1
    .uses_dynamic_stack: false
    .vgpr_count:     0
    .vgpr_spill_count: 0
    .wavefront_size: 32
    .workgroup_processor_mode: 1
  - .args:
      - .offset:         0
        .size:           56
        .value_kind:     by_value
    .group_segment_fixed_size: 0
    .kernarg_segment_align: 8
    .kernarg_segment_size: 56
    .language:       OpenCL C
    .language_version:
      - 2
      - 0
    .max_flat_workgroup_size: 256
    .name:           _ZN7rocprim17ROCPRIM_400000_NS6detail17trampoline_kernelINS0_14default_configENS1_32segmented_reduce_config_selectorIdEEZNS1_21segmented_reduce_implIS3_PKdPdPKldN6hipcub16HIPCUB_304000_NS6detail27convert_result_type_wrapperIS8_S9_N2at6native12_GLOBAL__N_19CustomSumEEEEE10hipError_tPvRmT0_T1_jT2_SQ_T4_T3_P12ihipStream_tbEUlT_E_NS1_11comp_targetILNS1_3genE3ELNS1_11target_archE908ELNS1_3gpuE7ELNS1_3repE0EEENS1_30default_config_static_selectorELNS0_4arch9wavefront6targetE0EEEvSP_
    .private_segment_fixed_size: 0
    .sgpr_count:     0
    .sgpr_spill_count: 0
    .symbol:         _ZN7rocprim17ROCPRIM_400000_NS6detail17trampoline_kernelINS0_14default_configENS1_32segmented_reduce_config_selectorIdEEZNS1_21segmented_reduce_implIS3_PKdPdPKldN6hipcub16HIPCUB_304000_NS6detail27convert_result_type_wrapperIS8_S9_N2at6native12_GLOBAL__N_19CustomSumEEEEE10hipError_tPvRmT0_T1_jT2_SQ_T4_T3_P12ihipStream_tbEUlT_E_NS1_11comp_targetILNS1_3genE3ELNS1_11target_archE908ELNS1_3gpuE7ELNS1_3repE0EEENS1_30default_config_static_selectorELNS0_4arch9wavefront6targetE0EEEvSP_.kd
    .uniform_work_group_size: 1
    .uses_dynamic_stack: false
    .vgpr_count:     0
    .vgpr_spill_count: 0
    .wavefront_size: 32
    .workgroup_processor_mode: 1
  - .args:
      - .offset:         0
        .size:           56
        .value_kind:     by_value
    .group_segment_fixed_size: 0
    .kernarg_segment_align: 8
    .kernarg_segment_size: 56
    .language:       OpenCL C
    .language_version:
      - 2
      - 0
    .max_flat_workgroup_size: 256
    .name:           _ZN7rocprim17ROCPRIM_400000_NS6detail17trampoline_kernelINS0_14default_configENS1_32segmented_reduce_config_selectorIdEEZNS1_21segmented_reduce_implIS3_PKdPdPKldN6hipcub16HIPCUB_304000_NS6detail27convert_result_type_wrapperIS8_S9_N2at6native12_GLOBAL__N_19CustomSumEEEEE10hipError_tPvRmT0_T1_jT2_SQ_T4_T3_P12ihipStream_tbEUlT_E_NS1_11comp_targetILNS1_3genE2ELNS1_11target_archE906ELNS1_3gpuE6ELNS1_3repE0EEENS1_30default_config_static_selectorELNS0_4arch9wavefront6targetE0EEEvSP_
    .private_segment_fixed_size: 0
    .sgpr_count:     0
    .sgpr_spill_count: 0
    .symbol:         _ZN7rocprim17ROCPRIM_400000_NS6detail17trampoline_kernelINS0_14default_configENS1_32segmented_reduce_config_selectorIdEEZNS1_21segmented_reduce_implIS3_PKdPdPKldN6hipcub16HIPCUB_304000_NS6detail27convert_result_type_wrapperIS8_S9_N2at6native12_GLOBAL__N_19CustomSumEEEEE10hipError_tPvRmT0_T1_jT2_SQ_T4_T3_P12ihipStream_tbEUlT_E_NS1_11comp_targetILNS1_3genE2ELNS1_11target_archE906ELNS1_3gpuE6ELNS1_3repE0EEENS1_30default_config_static_selectorELNS0_4arch9wavefront6targetE0EEEvSP_.kd
    .uniform_work_group_size: 1
    .uses_dynamic_stack: false
    .vgpr_count:     0
    .vgpr_spill_count: 0
    .wavefront_size: 32
    .workgroup_processor_mode: 1
  - .args:
      - .offset:         0
        .size:           56
        .value_kind:     by_value
    .group_segment_fixed_size: 0
    .kernarg_segment_align: 8
    .kernarg_segment_size: 56
    .language:       OpenCL C
    .language_version:
      - 2
      - 0
    .max_flat_workgroup_size: 256
    .name:           _ZN7rocprim17ROCPRIM_400000_NS6detail17trampoline_kernelINS0_14default_configENS1_32segmented_reduce_config_selectorIdEEZNS1_21segmented_reduce_implIS3_PKdPdPKldN6hipcub16HIPCUB_304000_NS6detail27convert_result_type_wrapperIS8_S9_N2at6native12_GLOBAL__N_19CustomSumEEEEE10hipError_tPvRmT0_T1_jT2_SQ_T4_T3_P12ihipStream_tbEUlT_E_NS1_11comp_targetILNS1_3genE9ELNS1_11target_archE1100ELNS1_3gpuE3ELNS1_3repE0EEENS1_30default_config_static_selectorELNS0_4arch9wavefront6targetE0EEEvSP_
    .private_segment_fixed_size: 0
    .sgpr_count:     0
    .sgpr_spill_count: 0
    .symbol:         _ZN7rocprim17ROCPRIM_400000_NS6detail17trampoline_kernelINS0_14default_configENS1_32segmented_reduce_config_selectorIdEEZNS1_21segmented_reduce_implIS3_PKdPdPKldN6hipcub16HIPCUB_304000_NS6detail27convert_result_type_wrapperIS8_S9_N2at6native12_GLOBAL__N_19CustomSumEEEEE10hipError_tPvRmT0_T1_jT2_SQ_T4_T3_P12ihipStream_tbEUlT_E_NS1_11comp_targetILNS1_3genE9ELNS1_11target_archE1100ELNS1_3gpuE3ELNS1_3repE0EEENS1_30default_config_static_selectorELNS0_4arch9wavefront6targetE0EEEvSP_.kd
    .uniform_work_group_size: 1
    .uses_dynamic_stack: false
    .vgpr_count:     0
    .vgpr_spill_count: 0
    .wavefront_size: 32
    .workgroup_processor_mode: 1
  - .args:
      - .offset:         0
        .size:           56
        .value_kind:     by_value
    .group_segment_fixed_size: 64
    .kernarg_segment_align: 8
    .kernarg_segment_size: 56
    .language:       OpenCL C
    .language_version:
      - 2
      - 0
    .max_flat_workgroup_size: 256
    .name:           _ZN7rocprim17ROCPRIM_400000_NS6detail17trampoline_kernelINS0_14default_configENS1_32segmented_reduce_config_selectorIdEEZNS1_21segmented_reduce_implIS3_PKdPdPKldN6hipcub16HIPCUB_304000_NS6detail27convert_result_type_wrapperIS8_S9_N2at6native12_GLOBAL__N_19CustomSumEEEEE10hipError_tPvRmT0_T1_jT2_SQ_T4_T3_P12ihipStream_tbEUlT_E_NS1_11comp_targetILNS1_3genE8ELNS1_11target_archE1030ELNS1_3gpuE2ELNS1_3repE0EEENS1_30default_config_static_selectorELNS0_4arch9wavefront6targetE0EEEvSP_
    .private_segment_fixed_size: 0
    .sgpr_count:     36
    .sgpr_spill_count: 0
    .symbol:         _ZN7rocprim17ROCPRIM_400000_NS6detail17trampoline_kernelINS0_14default_configENS1_32segmented_reduce_config_selectorIdEEZNS1_21segmented_reduce_implIS3_PKdPdPKldN6hipcub16HIPCUB_304000_NS6detail27convert_result_type_wrapperIS8_S9_N2at6native12_GLOBAL__N_19CustomSumEEEEE10hipError_tPvRmT0_T1_jT2_SQ_T4_T3_P12ihipStream_tbEUlT_E_NS1_11comp_targetILNS1_3genE8ELNS1_11target_archE1030ELNS1_3gpuE2ELNS1_3repE0EEENS1_30default_config_static_selectorELNS0_4arch9wavefront6targetE0EEEvSP_.kd
    .uniform_work_group_size: 1
    .uses_dynamic_stack: false
    .vgpr_count:     38
    .vgpr_spill_count: 0
    .wavefront_size: 32
    .workgroup_processor_mode: 1
  - .args:
      - .address_space:  global
        .offset:         0
        .size:           8
        .value_kind:     global_buffer
      - .address_space:  global
        .offset:         8
        .size:           8
        .value_kind:     global_buffer
      - .offset:         16
        .size:           8
        .value_kind:     by_value
      - .offset:         24
        .size:           1
        .value_kind:     by_value
      - .offset:         32
        .size:           8
        .value_kind:     by_value
      - .offset:         40
        .size:           4
        .value_kind:     hidden_block_count_x
      - .offset:         44
        .size:           4
        .value_kind:     hidden_block_count_y
      - .offset:         48
        .size:           4
        .value_kind:     hidden_block_count_z
      - .offset:         52
        .size:           2
        .value_kind:     hidden_group_size_x
      - .offset:         54
        .size:           2
        .value_kind:     hidden_group_size_y
      - .offset:         56
        .size:           2
        .value_kind:     hidden_group_size_z
      - .offset:         58
        .size:           2
        .value_kind:     hidden_remainder_x
      - .offset:         60
        .size:           2
        .value_kind:     hidden_remainder_y
      - .offset:         62
        .size:           2
        .value_kind:     hidden_remainder_z
      - .offset:         80
        .size:           8
        .value_kind:     hidden_global_offset_x
      - .offset:         88
        .size:           8
        .value_kind:     hidden_global_offset_y
      - .offset:         96
        .size:           8
        .value_kind:     hidden_global_offset_z
      - .offset:         104
        .size:           2
        .value_kind:     hidden_grid_dims
    .group_segment_fixed_size: 0
    .kernarg_segment_align: 8
    .kernarg_segment_size: 296
    .language:       OpenCL C
    .language_version:
      - 2
      - 0
    .max_flat_workgroup_size: 1024
    .name:           _ZN2at6native12_GLOBAL__N_119post_sum_div_kernelIdlEEvPT_PKT0_lbS3_
    .private_segment_fixed_size: 0
    .sgpr_count:     20
    .sgpr_spill_count: 0
    .symbol:         _ZN2at6native12_GLOBAL__N_119post_sum_div_kernelIdlEEvPT_PKT0_lbS3_.kd
    .uniform_work_group_size: 1
    .uses_dynamic_stack: false
    .vgpr_count:     18
    .vgpr_spill_count: 0
    .wavefront_size: 32
    .workgroup_processor_mode: 1
  - .args:
      - .offset:         0
        .size:           56
        .value_kind:     by_value
    .group_segment_fixed_size: 0
    .kernarg_segment_align: 8
    .kernarg_segment_size: 56
    .language:       OpenCL C
    .language_version:
      - 2
      - 0
    .max_flat_workgroup_size: 256
    .name:           _ZN7rocprim17ROCPRIM_400000_NS6detail17trampoline_kernelINS0_14default_configENS1_32segmented_reduce_config_selectorIdEEZNS1_21segmented_reduce_implIS3_PKdPdPKldN6hipcub16HIPCUB_304000_NS6detail27convert_result_type_wrapperIS8_S9_N2at6native12_GLOBAL__N_19CustomMinEEEEE10hipError_tPvRmT0_T1_jT2_SQ_T4_T3_P12ihipStream_tbEUlT_E_NS1_11comp_targetILNS1_3genE0ELNS1_11target_archE4294967295ELNS1_3gpuE0ELNS1_3repE0EEENS1_30default_config_static_selectorELNS0_4arch9wavefront6targetE0EEEvSP_
    .private_segment_fixed_size: 0
    .sgpr_count:     0
    .sgpr_spill_count: 0
    .symbol:         _ZN7rocprim17ROCPRIM_400000_NS6detail17trampoline_kernelINS0_14default_configENS1_32segmented_reduce_config_selectorIdEEZNS1_21segmented_reduce_implIS3_PKdPdPKldN6hipcub16HIPCUB_304000_NS6detail27convert_result_type_wrapperIS8_S9_N2at6native12_GLOBAL__N_19CustomMinEEEEE10hipError_tPvRmT0_T1_jT2_SQ_T4_T3_P12ihipStream_tbEUlT_E_NS1_11comp_targetILNS1_3genE0ELNS1_11target_archE4294967295ELNS1_3gpuE0ELNS1_3repE0EEENS1_30default_config_static_selectorELNS0_4arch9wavefront6targetE0EEEvSP_.kd
    .uniform_work_group_size: 1
    .uses_dynamic_stack: false
    .vgpr_count:     0
    .vgpr_spill_count: 0
    .wavefront_size: 32
    .workgroup_processor_mode: 1
  - .args:
      - .offset:         0
        .size:           56
        .value_kind:     by_value
    .group_segment_fixed_size: 0
    .kernarg_segment_align: 8
    .kernarg_segment_size: 56
    .language:       OpenCL C
    .language_version:
      - 2
      - 0
    .max_flat_workgroup_size: 256
    .name:           _ZN7rocprim17ROCPRIM_400000_NS6detail17trampoline_kernelINS0_14default_configENS1_32segmented_reduce_config_selectorIdEEZNS1_21segmented_reduce_implIS3_PKdPdPKldN6hipcub16HIPCUB_304000_NS6detail27convert_result_type_wrapperIS8_S9_N2at6native12_GLOBAL__N_19CustomMinEEEEE10hipError_tPvRmT0_T1_jT2_SQ_T4_T3_P12ihipStream_tbEUlT_E_NS1_11comp_targetILNS1_3genE5ELNS1_11target_archE942ELNS1_3gpuE9ELNS1_3repE0EEENS1_30default_config_static_selectorELNS0_4arch9wavefront6targetE0EEEvSP_
    .private_segment_fixed_size: 0
    .sgpr_count:     0
    .sgpr_spill_count: 0
    .symbol:         _ZN7rocprim17ROCPRIM_400000_NS6detail17trampoline_kernelINS0_14default_configENS1_32segmented_reduce_config_selectorIdEEZNS1_21segmented_reduce_implIS3_PKdPdPKldN6hipcub16HIPCUB_304000_NS6detail27convert_result_type_wrapperIS8_S9_N2at6native12_GLOBAL__N_19CustomMinEEEEE10hipError_tPvRmT0_T1_jT2_SQ_T4_T3_P12ihipStream_tbEUlT_E_NS1_11comp_targetILNS1_3genE5ELNS1_11target_archE942ELNS1_3gpuE9ELNS1_3repE0EEENS1_30default_config_static_selectorELNS0_4arch9wavefront6targetE0EEEvSP_.kd
    .uniform_work_group_size: 1
    .uses_dynamic_stack: false
    .vgpr_count:     0
    .vgpr_spill_count: 0
    .wavefront_size: 32
    .workgroup_processor_mode: 1
  - .args:
      - .offset:         0
        .size:           56
        .value_kind:     by_value
    .group_segment_fixed_size: 0
    .kernarg_segment_align: 8
    .kernarg_segment_size: 56
    .language:       OpenCL C
    .language_version:
      - 2
      - 0
    .max_flat_workgroup_size: 256
    .name:           _ZN7rocprim17ROCPRIM_400000_NS6detail17trampoline_kernelINS0_14default_configENS1_32segmented_reduce_config_selectorIdEEZNS1_21segmented_reduce_implIS3_PKdPdPKldN6hipcub16HIPCUB_304000_NS6detail27convert_result_type_wrapperIS8_S9_N2at6native12_GLOBAL__N_19CustomMinEEEEE10hipError_tPvRmT0_T1_jT2_SQ_T4_T3_P12ihipStream_tbEUlT_E_NS1_11comp_targetILNS1_3genE10ELNS1_11target_archE1201ELNS1_3gpuE5ELNS1_3repE0EEENS1_30default_config_static_selectorELNS0_4arch9wavefront6targetE0EEEvSP_
    .private_segment_fixed_size: 0
    .sgpr_count:     0
    .sgpr_spill_count: 0
    .symbol:         _ZN7rocprim17ROCPRIM_400000_NS6detail17trampoline_kernelINS0_14default_configENS1_32segmented_reduce_config_selectorIdEEZNS1_21segmented_reduce_implIS3_PKdPdPKldN6hipcub16HIPCUB_304000_NS6detail27convert_result_type_wrapperIS8_S9_N2at6native12_GLOBAL__N_19CustomMinEEEEE10hipError_tPvRmT0_T1_jT2_SQ_T4_T3_P12ihipStream_tbEUlT_E_NS1_11comp_targetILNS1_3genE10ELNS1_11target_archE1201ELNS1_3gpuE5ELNS1_3repE0EEENS1_30default_config_static_selectorELNS0_4arch9wavefront6targetE0EEEvSP_.kd
    .uniform_work_group_size: 1
    .uses_dynamic_stack: false
    .vgpr_count:     0
    .vgpr_spill_count: 0
    .wavefront_size: 32
    .workgroup_processor_mode: 1
  - .args:
      - .offset:         0
        .size:           56
        .value_kind:     by_value
    .group_segment_fixed_size: 0
    .kernarg_segment_align: 8
    .kernarg_segment_size: 56
    .language:       OpenCL C
    .language_version:
      - 2
      - 0
    .max_flat_workgroup_size: 256
    .name:           _ZN7rocprim17ROCPRIM_400000_NS6detail17trampoline_kernelINS0_14default_configENS1_32segmented_reduce_config_selectorIdEEZNS1_21segmented_reduce_implIS3_PKdPdPKldN6hipcub16HIPCUB_304000_NS6detail27convert_result_type_wrapperIS8_S9_N2at6native12_GLOBAL__N_19CustomMinEEEEE10hipError_tPvRmT0_T1_jT2_SQ_T4_T3_P12ihipStream_tbEUlT_E_NS1_11comp_targetILNS1_3genE4ELNS1_11target_archE910ELNS1_3gpuE8ELNS1_3repE0EEENS1_30default_config_static_selectorELNS0_4arch9wavefront6targetE0EEEvSP_
    .private_segment_fixed_size: 0
    .sgpr_count:     0
    .sgpr_spill_count: 0
    .symbol:         _ZN7rocprim17ROCPRIM_400000_NS6detail17trampoline_kernelINS0_14default_configENS1_32segmented_reduce_config_selectorIdEEZNS1_21segmented_reduce_implIS3_PKdPdPKldN6hipcub16HIPCUB_304000_NS6detail27convert_result_type_wrapperIS8_S9_N2at6native12_GLOBAL__N_19CustomMinEEEEE10hipError_tPvRmT0_T1_jT2_SQ_T4_T3_P12ihipStream_tbEUlT_E_NS1_11comp_targetILNS1_3genE4ELNS1_11target_archE910ELNS1_3gpuE8ELNS1_3repE0EEENS1_30default_config_static_selectorELNS0_4arch9wavefront6targetE0EEEvSP_.kd
    .uniform_work_group_size: 1
    .uses_dynamic_stack: false
    .vgpr_count:     0
    .vgpr_spill_count: 0
    .wavefront_size: 32
    .workgroup_processor_mode: 1
  - .args:
      - .offset:         0
        .size:           56
        .value_kind:     by_value
    .group_segment_fixed_size: 0
    .kernarg_segment_align: 8
    .kernarg_segment_size: 56
    .language:       OpenCL C
    .language_version:
      - 2
      - 0
    .max_flat_workgroup_size: 256
    .name:           _ZN7rocprim17ROCPRIM_400000_NS6detail17trampoline_kernelINS0_14default_configENS1_32segmented_reduce_config_selectorIdEEZNS1_21segmented_reduce_implIS3_PKdPdPKldN6hipcub16HIPCUB_304000_NS6detail27convert_result_type_wrapperIS8_S9_N2at6native12_GLOBAL__N_19CustomMinEEEEE10hipError_tPvRmT0_T1_jT2_SQ_T4_T3_P12ihipStream_tbEUlT_E_NS1_11comp_targetILNS1_3genE3ELNS1_11target_archE908ELNS1_3gpuE7ELNS1_3repE0EEENS1_30default_config_static_selectorELNS0_4arch9wavefront6targetE0EEEvSP_
    .private_segment_fixed_size: 0
    .sgpr_count:     0
    .sgpr_spill_count: 0
    .symbol:         _ZN7rocprim17ROCPRIM_400000_NS6detail17trampoline_kernelINS0_14default_configENS1_32segmented_reduce_config_selectorIdEEZNS1_21segmented_reduce_implIS3_PKdPdPKldN6hipcub16HIPCUB_304000_NS6detail27convert_result_type_wrapperIS8_S9_N2at6native12_GLOBAL__N_19CustomMinEEEEE10hipError_tPvRmT0_T1_jT2_SQ_T4_T3_P12ihipStream_tbEUlT_E_NS1_11comp_targetILNS1_3genE3ELNS1_11target_archE908ELNS1_3gpuE7ELNS1_3repE0EEENS1_30default_config_static_selectorELNS0_4arch9wavefront6targetE0EEEvSP_.kd
    .uniform_work_group_size: 1
    .uses_dynamic_stack: false
    .vgpr_count:     0
    .vgpr_spill_count: 0
    .wavefront_size: 32
    .workgroup_processor_mode: 1
  - .args:
      - .offset:         0
        .size:           56
        .value_kind:     by_value
    .group_segment_fixed_size: 0
    .kernarg_segment_align: 8
    .kernarg_segment_size: 56
    .language:       OpenCL C
    .language_version:
      - 2
      - 0
    .max_flat_workgroup_size: 256
    .name:           _ZN7rocprim17ROCPRIM_400000_NS6detail17trampoline_kernelINS0_14default_configENS1_32segmented_reduce_config_selectorIdEEZNS1_21segmented_reduce_implIS3_PKdPdPKldN6hipcub16HIPCUB_304000_NS6detail27convert_result_type_wrapperIS8_S9_N2at6native12_GLOBAL__N_19CustomMinEEEEE10hipError_tPvRmT0_T1_jT2_SQ_T4_T3_P12ihipStream_tbEUlT_E_NS1_11comp_targetILNS1_3genE2ELNS1_11target_archE906ELNS1_3gpuE6ELNS1_3repE0EEENS1_30default_config_static_selectorELNS0_4arch9wavefront6targetE0EEEvSP_
    .private_segment_fixed_size: 0
    .sgpr_count:     0
    .sgpr_spill_count: 0
    .symbol:         _ZN7rocprim17ROCPRIM_400000_NS6detail17trampoline_kernelINS0_14default_configENS1_32segmented_reduce_config_selectorIdEEZNS1_21segmented_reduce_implIS3_PKdPdPKldN6hipcub16HIPCUB_304000_NS6detail27convert_result_type_wrapperIS8_S9_N2at6native12_GLOBAL__N_19CustomMinEEEEE10hipError_tPvRmT0_T1_jT2_SQ_T4_T3_P12ihipStream_tbEUlT_E_NS1_11comp_targetILNS1_3genE2ELNS1_11target_archE906ELNS1_3gpuE6ELNS1_3repE0EEENS1_30default_config_static_selectorELNS0_4arch9wavefront6targetE0EEEvSP_.kd
    .uniform_work_group_size: 1
    .uses_dynamic_stack: false
    .vgpr_count:     0
    .vgpr_spill_count: 0
    .wavefront_size: 32
    .workgroup_processor_mode: 1
  - .args:
      - .offset:         0
        .size:           56
        .value_kind:     by_value
    .group_segment_fixed_size: 0
    .kernarg_segment_align: 8
    .kernarg_segment_size: 56
    .language:       OpenCL C
    .language_version:
      - 2
      - 0
    .max_flat_workgroup_size: 256
    .name:           _ZN7rocprim17ROCPRIM_400000_NS6detail17trampoline_kernelINS0_14default_configENS1_32segmented_reduce_config_selectorIdEEZNS1_21segmented_reduce_implIS3_PKdPdPKldN6hipcub16HIPCUB_304000_NS6detail27convert_result_type_wrapperIS8_S9_N2at6native12_GLOBAL__N_19CustomMinEEEEE10hipError_tPvRmT0_T1_jT2_SQ_T4_T3_P12ihipStream_tbEUlT_E_NS1_11comp_targetILNS1_3genE9ELNS1_11target_archE1100ELNS1_3gpuE3ELNS1_3repE0EEENS1_30default_config_static_selectorELNS0_4arch9wavefront6targetE0EEEvSP_
    .private_segment_fixed_size: 0
    .sgpr_count:     0
    .sgpr_spill_count: 0
    .symbol:         _ZN7rocprim17ROCPRIM_400000_NS6detail17trampoline_kernelINS0_14default_configENS1_32segmented_reduce_config_selectorIdEEZNS1_21segmented_reduce_implIS3_PKdPdPKldN6hipcub16HIPCUB_304000_NS6detail27convert_result_type_wrapperIS8_S9_N2at6native12_GLOBAL__N_19CustomMinEEEEE10hipError_tPvRmT0_T1_jT2_SQ_T4_T3_P12ihipStream_tbEUlT_E_NS1_11comp_targetILNS1_3genE9ELNS1_11target_archE1100ELNS1_3gpuE3ELNS1_3repE0EEENS1_30default_config_static_selectorELNS0_4arch9wavefront6targetE0EEEvSP_.kd
    .uniform_work_group_size: 1
    .uses_dynamic_stack: false
    .vgpr_count:     0
    .vgpr_spill_count: 0
    .wavefront_size: 32
    .workgroup_processor_mode: 1
  - .args:
      - .offset:         0
        .size:           56
        .value_kind:     by_value
    .group_segment_fixed_size: 64
    .kernarg_segment_align: 8
    .kernarg_segment_size: 56
    .language:       OpenCL C
    .language_version:
      - 2
      - 0
    .max_flat_workgroup_size: 256
    .name:           _ZN7rocprim17ROCPRIM_400000_NS6detail17trampoline_kernelINS0_14default_configENS1_32segmented_reduce_config_selectorIdEEZNS1_21segmented_reduce_implIS3_PKdPdPKldN6hipcub16HIPCUB_304000_NS6detail27convert_result_type_wrapperIS8_S9_N2at6native12_GLOBAL__N_19CustomMinEEEEE10hipError_tPvRmT0_T1_jT2_SQ_T4_T3_P12ihipStream_tbEUlT_E_NS1_11comp_targetILNS1_3genE8ELNS1_11target_archE1030ELNS1_3gpuE2ELNS1_3repE0EEENS1_30default_config_static_selectorELNS0_4arch9wavefront6targetE0EEEvSP_
    .private_segment_fixed_size: 0
    .sgpr_count:     24
    .sgpr_spill_count: 0
    .symbol:         _ZN7rocprim17ROCPRIM_400000_NS6detail17trampoline_kernelINS0_14default_configENS1_32segmented_reduce_config_selectorIdEEZNS1_21segmented_reduce_implIS3_PKdPdPKldN6hipcub16HIPCUB_304000_NS6detail27convert_result_type_wrapperIS8_S9_N2at6native12_GLOBAL__N_19CustomMinEEEEE10hipError_tPvRmT0_T1_jT2_SQ_T4_T3_P12ihipStream_tbEUlT_E_NS1_11comp_targetILNS1_3genE8ELNS1_11target_archE1030ELNS1_3gpuE2ELNS1_3repE0EEENS1_30default_config_static_selectorELNS0_4arch9wavefront6targetE0EEEvSP_.kd
    .uniform_work_group_size: 1
    .uses_dynamic_stack: false
    .vgpr_count:     50
    .vgpr_spill_count: 0
    .wavefront_size: 32
    .workgroup_processor_mode: 1
  - .args:
      - .offset:         0
        .size:           56
        .value_kind:     by_value
    .group_segment_fixed_size: 0
    .kernarg_segment_align: 8
    .kernarg_segment_size: 56
    .language:       OpenCL C
    .language_version:
      - 2
      - 0
    .max_flat_workgroup_size: 256
    .name:           _ZN7rocprim17ROCPRIM_400000_NS6detail17trampoline_kernelINS0_14default_configENS1_32segmented_reduce_config_selectorIdEEZNS1_21segmented_reduce_implIS3_PKdPdPKldN6hipcub16HIPCUB_304000_NS6detail27convert_result_type_wrapperIS8_S9_N2at6native12_GLOBAL__N_110CustomProdEEEEE10hipError_tPvRmT0_T1_jT2_SQ_T4_T3_P12ihipStream_tbEUlT_E_NS1_11comp_targetILNS1_3genE0ELNS1_11target_archE4294967295ELNS1_3gpuE0ELNS1_3repE0EEENS1_30default_config_static_selectorELNS0_4arch9wavefront6targetE0EEEvSP_
    .private_segment_fixed_size: 0
    .sgpr_count:     0
    .sgpr_spill_count: 0
    .symbol:         _ZN7rocprim17ROCPRIM_400000_NS6detail17trampoline_kernelINS0_14default_configENS1_32segmented_reduce_config_selectorIdEEZNS1_21segmented_reduce_implIS3_PKdPdPKldN6hipcub16HIPCUB_304000_NS6detail27convert_result_type_wrapperIS8_S9_N2at6native12_GLOBAL__N_110CustomProdEEEEE10hipError_tPvRmT0_T1_jT2_SQ_T4_T3_P12ihipStream_tbEUlT_E_NS1_11comp_targetILNS1_3genE0ELNS1_11target_archE4294967295ELNS1_3gpuE0ELNS1_3repE0EEENS1_30default_config_static_selectorELNS0_4arch9wavefront6targetE0EEEvSP_.kd
    .uniform_work_group_size: 1
    .uses_dynamic_stack: false
    .vgpr_count:     0
    .vgpr_spill_count: 0
    .wavefront_size: 32
    .workgroup_processor_mode: 1
  - .args:
      - .offset:         0
        .size:           56
        .value_kind:     by_value
    .group_segment_fixed_size: 0
    .kernarg_segment_align: 8
    .kernarg_segment_size: 56
    .language:       OpenCL C
    .language_version:
      - 2
      - 0
    .max_flat_workgroup_size: 256
    .name:           _ZN7rocprim17ROCPRIM_400000_NS6detail17trampoline_kernelINS0_14default_configENS1_32segmented_reduce_config_selectorIdEEZNS1_21segmented_reduce_implIS3_PKdPdPKldN6hipcub16HIPCUB_304000_NS6detail27convert_result_type_wrapperIS8_S9_N2at6native12_GLOBAL__N_110CustomProdEEEEE10hipError_tPvRmT0_T1_jT2_SQ_T4_T3_P12ihipStream_tbEUlT_E_NS1_11comp_targetILNS1_3genE5ELNS1_11target_archE942ELNS1_3gpuE9ELNS1_3repE0EEENS1_30default_config_static_selectorELNS0_4arch9wavefront6targetE0EEEvSP_
    .private_segment_fixed_size: 0
    .sgpr_count:     0
    .sgpr_spill_count: 0
    .symbol:         _ZN7rocprim17ROCPRIM_400000_NS6detail17trampoline_kernelINS0_14default_configENS1_32segmented_reduce_config_selectorIdEEZNS1_21segmented_reduce_implIS3_PKdPdPKldN6hipcub16HIPCUB_304000_NS6detail27convert_result_type_wrapperIS8_S9_N2at6native12_GLOBAL__N_110CustomProdEEEEE10hipError_tPvRmT0_T1_jT2_SQ_T4_T3_P12ihipStream_tbEUlT_E_NS1_11comp_targetILNS1_3genE5ELNS1_11target_archE942ELNS1_3gpuE9ELNS1_3repE0EEENS1_30default_config_static_selectorELNS0_4arch9wavefront6targetE0EEEvSP_.kd
    .uniform_work_group_size: 1
    .uses_dynamic_stack: false
    .vgpr_count:     0
    .vgpr_spill_count: 0
    .wavefront_size: 32
    .workgroup_processor_mode: 1
  - .args:
      - .offset:         0
        .size:           56
        .value_kind:     by_value
    .group_segment_fixed_size: 0
    .kernarg_segment_align: 8
    .kernarg_segment_size: 56
    .language:       OpenCL C
    .language_version:
      - 2
      - 0
    .max_flat_workgroup_size: 256
    .name:           _ZN7rocprim17ROCPRIM_400000_NS6detail17trampoline_kernelINS0_14default_configENS1_32segmented_reduce_config_selectorIdEEZNS1_21segmented_reduce_implIS3_PKdPdPKldN6hipcub16HIPCUB_304000_NS6detail27convert_result_type_wrapperIS8_S9_N2at6native12_GLOBAL__N_110CustomProdEEEEE10hipError_tPvRmT0_T1_jT2_SQ_T4_T3_P12ihipStream_tbEUlT_E_NS1_11comp_targetILNS1_3genE10ELNS1_11target_archE1201ELNS1_3gpuE5ELNS1_3repE0EEENS1_30default_config_static_selectorELNS0_4arch9wavefront6targetE0EEEvSP_
    .private_segment_fixed_size: 0
    .sgpr_count:     0
    .sgpr_spill_count: 0
    .symbol:         _ZN7rocprim17ROCPRIM_400000_NS6detail17trampoline_kernelINS0_14default_configENS1_32segmented_reduce_config_selectorIdEEZNS1_21segmented_reduce_implIS3_PKdPdPKldN6hipcub16HIPCUB_304000_NS6detail27convert_result_type_wrapperIS8_S9_N2at6native12_GLOBAL__N_110CustomProdEEEEE10hipError_tPvRmT0_T1_jT2_SQ_T4_T3_P12ihipStream_tbEUlT_E_NS1_11comp_targetILNS1_3genE10ELNS1_11target_archE1201ELNS1_3gpuE5ELNS1_3repE0EEENS1_30default_config_static_selectorELNS0_4arch9wavefront6targetE0EEEvSP_.kd
    .uniform_work_group_size: 1
    .uses_dynamic_stack: false
    .vgpr_count:     0
    .vgpr_spill_count: 0
    .wavefront_size: 32
    .workgroup_processor_mode: 1
  - .args:
      - .offset:         0
        .size:           56
        .value_kind:     by_value
    .group_segment_fixed_size: 0
    .kernarg_segment_align: 8
    .kernarg_segment_size: 56
    .language:       OpenCL C
    .language_version:
      - 2
      - 0
    .max_flat_workgroup_size: 256
    .name:           _ZN7rocprim17ROCPRIM_400000_NS6detail17trampoline_kernelINS0_14default_configENS1_32segmented_reduce_config_selectorIdEEZNS1_21segmented_reduce_implIS3_PKdPdPKldN6hipcub16HIPCUB_304000_NS6detail27convert_result_type_wrapperIS8_S9_N2at6native12_GLOBAL__N_110CustomProdEEEEE10hipError_tPvRmT0_T1_jT2_SQ_T4_T3_P12ihipStream_tbEUlT_E_NS1_11comp_targetILNS1_3genE4ELNS1_11target_archE910ELNS1_3gpuE8ELNS1_3repE0EEENS1_30default_config_static_selectorELNS0_4arch9wavefront6targetE0EEEvSP_
    .private_segment_fixed_size: 0
    .sgpr_count:     0
    .sgpr_spill_count: 0
    .symbol:         _ZN7rocprim17ROCPRIM_400000_NS6detail17trampoline_kernelINS0_14default_configENS1_32segmented_reduce_config_selectorIdEEZNS1_21segmented_reduce_implIS3_PKdPdPKldN6hipcub16HIPCUB_304000_NS6detail27convert_result_type_wrapperIS8_S9_N2at6native12_GLOBAL__N_110CustomProdEEEEE10hipError_tPvRmT0_T1_jT2_SQ_T4_T3_P12ihipStream_tbEUlT_E_NS1_11comp_targetILNS1_3genE4ELNS1_11target_archE910ELNS1_3gpuE8ELNS1_3repE0EEENS1_30default_config_static_selectorELNS0_4arch9wavefront6targetE0EEEvSP_.kd
    .uniform_work_group_size: 1
    .uses_dynamic_stack: false
    .vgpr_count:     0
    .vgpr_spill_count: 0
    .wavefront_size: 32
    .workgroup_processor_mode: 1
  - .args:
      - .offset:         0
        .size:           56
        .value_kind:     by_value
    .group_segment_fixed_size: 0
    .kernarg_segment_align: 8
    .kernarg_segment_size: 56
    .language:       OpenCL C
    .language_version:
      - 2
      - 0
    .max_flat_workgroup_size: 256
    .name:           _ZN7rocprim17ROCPRIM_400000_NS6detail17trampoline_kernelINS0_14default_configENS1_32segmented_reduce_config_selectorIdEEZNS1_21segmented_reduce_implIS3_PKdPdPKldN6hipcub16HIPCUB_304000_NS6detail27convert_result_type_wrapperIS8_S9_N2at6native12_GLOBAL__N_110CustomProdEEEEE10hipError_tPvRmT0_T1_jT2_SQ_T4_T3_P12ihipStream_tbEUlT_E_NS1_11comp_targetILNS1_3genE3ELNS1_11target_archE908ELNS1_3gpuE7ELNS1_3repE0EEENS1_30default_config_static_selectorELNS0_4arch9wavefront6targetE0EEEvSP_
    .private_segment_fixed_size: 0
    .sgpr_count:     0
    .sgpr_spill_count: 0
    .symbol:         _ZN7rocprim17ROCPRIM_400000_NS6detail17trampoline_kernelINS0_14default_configENS1_32segmented_reduce_config_selectorIdEEZNS1_21segmented_reduce_implIS3_PKdPdPKldN6hipcub16HIPCUB_304000_NS6detail27convert_result_type_wrapperIS8_S9_N2at6native12_GLOBAL__N_110CustomProdEEEEE10hipError_tPvRmT0_T1_jT2_SQ_T4_T3_P12ihipStream_tbEUlT_E_NS1_11comp_targetILNS1_3genE3ELNS1_11target_archE908ELNS1_3gpuE7ELNS1_3repE0EEENS1_30default_config_static_selectorELNS0_4arch9wavefront6targetE0EEEvSP_.kd
    .uniform_work_group_size: 1
    .uses_dynamic_stack: false
    .vgpr_count:     0
    .vgpr_spill_count: 0
    .wavefront_size: 32
    .workgroup_processor_mode: 1
  - .args:
      - .offset:         0
        .size:           56
        .value_kind:     by_value
    .group_segment_fixed_size: 0
    .kernarg_segment_align: 8
    .kernarg_segment_size: 56
    .language:       OpenCL C
    .language_version:
      - 2
      - 0
    .max_flat_workgroup_size: 256
    .name:           _ZN7rocprim17ROCPRIM_400000_NS6detail17trampoline_kernelINS0_14default_configENS1_32segmented_reduce_config_selectorIdEEZNS1_21segmented_reduce_implIS3_PKdPdPKldN6hipcub16HIPCUB_304000_NS6detail27convert_result_type_wrapperIS8_S9_N2at6native12_GLOBAL__N_110CustomProdEEEEE10hipError_tPvRmT0_T1_jT2_SQ_T4_T3_P12ihipStream_tbEUlT_E_NS1_11comp_targetILNS1_3genE2ELNS1_11target_archE906ELNS1_3gpuE6ELNS1_3repE0EEENS1_30default_config_static_selectorELNS0_4arch9wavefront6targetE0EEEvSP_
    .private_segment_fixed_size: 0
    .sgpr_count:     0
    .sgpr_spill_count: 0
    .symbol:         _ZN7rocprim17ROCPRIM_400000_NS6detail17trampoline_kernelINS0_14default_configENS1_32segmented_reduce_config_selectorIdEEZNS1_21segmented_reduce_implIS3_PKdPdPKldN6hipcub16HIPCUB_304000_NS6detail27convert_result_type_wrapperIS8_S9_N2at6native12_GLOBAL__N_110CustomProdEEEEE10hipError_tPvRmT0_T1_jT2_SQ_T4_T3_P12ihipStream_tbEUlT_E_NS1_11comp_targetILNS1_3genE2ELNS1_11target_archE906ELNS1_3gpuE6ELNS1_3repE0EEENS1_30default_config_static_selectorELNS0_4arch9wavefront6targetE0EEEvSP_.kd
    .uniform_work_group_size: 1
    .uses_dynamic_stack: false
    .vgpr_count:     0
    .vgpr_spill_count: 0
    .wavefront_size: 32
    .workgroup_processor_mode: 1
  - .args:
      - .offset:         0
        .size:           56
        .value_kind:     by_value
    .group_segment_fixed_size: 0
    .kernarg_segment_align: 8
    .kernarg_segment_size: 56
    .language:       OpenCL C
    .language_version:
      - 2
      - 0
    .max_flat_workgroup_size: 256
    .name:           _ZN7rocprim17ROCPRIM_400000_NS6detail17trampoline_kernelINS0_14default_configENS1_32segmented_reduce_config_selectorIdEEZNS1_21segmented_reduce_implIS3_PKdPdPKldN6hipcub16HIPCUB_304000_NS6detail27convert_result_type_wrapperIS8_S9_N2at6native12_GLOBAL__N_110CustomProdEEEEE10hipError_tPvRmT0_T1_jT2_SQ_T4_T3_P12ihipStream_tbEUlT_E_NS1_11comp_targetILNS1_3genE9ELNS1_11target_archE1100ELNS1_3gpuE3ELNS1_3repE0EEENS1_30default_config_static_selectorELNS0_4arch9wavefront6targetE0EEEvSP_
    .private_segment_fixed_size: 0
    .sgpr_count:     0
    .sgpr_spill_count: 0
    .symbol:         _ZN7rocprim17ROCPRIM_400000_NS6detail17trampoline_kernelINS0_14default_configENS1_32segmented_reduce_config_selectorIdEEZNS1_21segmented_reduce_implIS3_PKdPdPKldN6hipcub16HIPCUB_304000_NS6detail27convert_result_type_wrapperIS8_S9_N2at6native12_GLOBAL__N_110CustomProdEEEEE10hipError_tPvRmT0_T1_jT2_SQ_T4_T3_P12ihipStream_tbEUlT_E_NS1_11comp_targetILNS1_3genE9ELNS1_11target_archE1100ELNS1_3gpuE3ELNS1_3repE0EEENS1_30default_config_static_selectorELNS0_4arch9wavefront6targetE0EEEvSP_.kd
    .uniform_work_group_size: 1
    .uses_dynamic_stack: false
    .vgpr_count:     0
    .vgpr_spill_count: 0
    .wavefront_size: 32
    .workgroup_processor_mode: 1
  - .args:
      - .offset:         0
        .size:           56
        .value_kind:     by_value
    .group_segment_fixed_size: 64
    .kernarg_segment_align: 8
    .kernarg_segment_size: 56
    .language:       OpenCL C
    .language_version:
      - 2
      - 0
    .max_flat_workgroup_size: 256
    .name:           _ZN7rocprim17ROCPRIM_400000_NS6detail17trampoline_kernelINS0_14default_configENS1_32segmented_reduce_config_selectorIdEEZNS1_21segmented_reduce_implIS3_PKdPdPKldN6hipcub16HIPCUB_304000_NS6detail27convert_result_type_wrapperIS8_S9_N2at6native12_GLOBAL__N_110CustomProdEEEEE10hipError_tPvRmT0_T1_jT2_SQ_T4_T3_P12ihipStream_tbEUlT_E_NS1_11comp_targetILNS1_3genE8ELNS1_11target_archE1030ELNS1_3gpuE2ELNS1_3repE0EEENS1_30default_config_static_selectorELNS0_4arch9wavefront6targetE0EEEvSP_
    .private_segment_fixed_size: 0
    .sgpr_count:     36
    .sgpr_spill_count: 0
    .symbol:         _ZN7rocprim17ROCPRIM_400000_NS6detail17trampoline_kernelINS0_14default_configENS1_32segmented_reduce_config_selectorIdEEZNS1_21segmented_reduce_implIS3_PKdPdPKldN6hipcub16HIPCUB_304000_NS6detail27convert_result_type_wrapperIS8_S9_N2at6native12_GLOBAL__N_110CustomProdEEEEE10hipError_tPvRmT0_T1_jT2_SQ_T4_T3_P12ihipStream_tbEUlT_E_NS1_11comp_targetILNS1_3genE8ELNS1_11target_archE1030ELNS1_3gpuE2ELNS1_3repE0EEENS1_30default_config_static_selectorELNS0_4arch9wavefront6targetE0EEEvSP_.kd
    .uniform_work_group_size: 1
    .uses_dynamic_stack: false
    .vgpr_count:     38
    .vgpr_spill_count: 0
    .wavefront_size: 32
    .workgroup_processor_mode: 1
  - .args:
      - .offset:         0
        .size:           4
        .value_kind:     by_value
      - .address_space:  global
        .offset:         8
        .size:           8
        .value_kind:     global_buffer
      - .address_space:  global
        .offset:         16
        .size:           8
        .value_kind:     global_buffer
      - .address_space:  global
        .offset:         24
        .size:           8
        .value_kind:     global_buffer
      - .address_space:  global
        .offset:         32
        .size:           8
        .value_kind:     global_buffer
      - .offset:         40
        .size:           8
        .value_kind:     by_value
      - .offset:         48
        .size:           8
        .value_kind:     by_value
      - .offset:         56
        .size:           1
        .value_kind:     by_value
      - .offset:         60
        .size:           4
        .value_kind:     by_value
      - .offset:         64
        .size:           8
        .value_kind:     by_value
      - .offset:         72
        .size:           8
        .value_kind:     by_value
      - .offset:         80
        .size:           8
        .value_kind:     by_value
      - .offset:         88
        .size:           8
        .value_kind:     by_value
      - .offset:         96
        .size:           8
        .value_kind:     by_value
      - .offset:         104
        .size:           8
        .value_kind:     by_value
      - .offset:         112
        .size:           8
        .value_kind:     by_value
      - .offset:         120
        .size:           4
        .value_kind:     hidden_block_count_x
      - .offset:         124
        .size:           4
        .value_kind:     hidden_block_count_y
      - .offset:         128
        .size:           4
        .value_kind:     hidden_block_count_z
      - .offset:         132
        .size:           2
        .value_kind:     hidden_group_size_x
      - .offset:         134
        .size:           2
        .value_kind:     hidden_group_size_y
      - .offset:         136
        .size:           2
        .value_kind:     hidden_group_size_z
      - .offset:         138
        .size:           2
        .value_kind:     hidden_remainder_x
      - .offset:         140
        .size:           2
        .value_kind:     hidden_remainder_y
      - .offset:         142
        .size:           2
        .value_kind:     hidden_remainder_z
      - .offset:         160
        .size:           8
        .value_kind:     hidden_global_offset_x
      - .offset:         168
        .size:           8
        .value_kind:     hidden_global_offset_y
      - .offset:         176
        .size:           8
        .value_kind:     hidden_global_offset_z
      - .offset:         184
        .size:           2
        .value_kind:     hidden_grid_dims
    .group_segment_fixed_size: 0
    .kernarg_segment_align: 8
    .kernarg_segment_size: 376
    .language:       OpenCL C
    .language_version:
      - 2
      - 0
    .max_flat_workgroup_size: 1024
    .name:           _ZN2at6native12_GLOBAL__N_129segment_reduce_forward_kernelIflEEvNS0_13ReductionTypeEPT_PKS4_PKT0_SA_llbS4_lllllll
    .private_segment_fixed_size: 0
    .sgpr_count:     44
    .sgpr_spill_count: 0
    .symbol:         _ZN2at6native12_GLOBAL__N_129segment_reduce_forward_kernelIflEEvNS0_13ReductionTypeEPT_PKS4_PKT0_SA_llbS4_lllllll.kd
    .uniform_work_group_size: 1
    .uses_dynamic_stack: false
    .vgpr_count:     22
    .vgpr_spill_count: 0
    .wavefront_size: 32
    .workgroup_processor_mode: 1
  - .args:
      - .offset:         0
        .size:           48
        .value_kind:     by_value
    .group_segment_fixed_size: 0
    .kernarg_segment_align: 8
    .kernarg_segment_size: 48
    .language:       OpenCL C
    .language_version:
      - 2
      - 0
    .max_flat_workgroup_size: 256
    .name:           _ZN7rocprim17ROCPRIM_400000_NS6detail17trampoline_kernelINS0_14default_configENS1_32segmented_reduce_config_selectorIfEEZNS1_21segmented_reduce_implIS3_PKfPfPKlfN6hipcub16HIPCUB_304000_NS6detail27convert_result_type_wrapperIS8_S9_N2at6native12_GLOBAL__N_19CustomMaxEEEEE10hipError_tPvRmT0_T1_jT2_SQ_T4_T3_P12ihipStream_tbEUlT_E_NS1_11comp_targetILNS1_3genE0ELNS1_11target_archE4294967295ELNS1_3gpuE0ELNS1_3repE0EEENS1_30default_config_static_selectorELNS0_4arch9wavefront6targetE0EEEvSP_
    .private_segment_fixed_size: 0
    .sgpr_count:     0
    .sgpr_spill_count: 0
    .symbol:         _ZN7rocprim17ROCPRIM_400000_NS6detail17trampoline_kernelINS0_14default_configENS1_32segmented_reduce_config_selectorIfEEZNS1_21segmented_reduce_implIS3_PKfPfPKlfN6hipcub16HIPCUB_304000_NS6detail27convert_result_type_wrapperIS8_S9_N2at6native12_GLOBAL__N_19CustomMaxEEEEE10hipError_tPvRmT0_T1_jT2_SQ_T4_T3_P12ihipStream_tbEUlT_E_NS1_11comp_targetILNS1_3genE0ELNS1_11target_archE4294967295ELNS1_3gpuE0ELNS1_3repE0EEENS1_30default_config_static_selectorELNS0_4arch9wavefront6targetE0EEEvSP_.kd
    .uniform_work_group_size: 1
    .uses_dynamic_stack: false
    .vgpr_count:     0
    .vgpr_spill_count: 0
    .wavefront_size: 32
    .workgroup_processor_mode: 1
  - .args:
      - .offset:         0
        .size:           48
        .value_kind:     by_value
    .group_segment_fixed_size: 0
    .kernarg_segment_align: 8
    .kernarg_segment_size: 48
    .language:       OpenCL C
    .language_version:
      - 2
      - 0
    .max_flat_workgroup_size: 256
    .name:           _ZN7rocprim17ROCPRIM_400000_NS6detail17trampoline_kernelINS0_14default_configENS1_32segmented_reduce_config_selectorIfEEZNS1_21segmented_reduce_implIS3_PKfPfPKlfN6hipcub16HIPCUB_304000_NS6detail27convert_result_type_wrapperIS8_S9_N2at6native12_GLOBAL__N_19CustomMaxEEEEE10hipError_tPvRmT0_T1_jT2_SQ_T4_T3_P12ihipStream_tbEUlT_E_NS1_11comp_targetILNS1_3genE5ELNS1_11target_archE942ELNS1_3gpuE9ELNS1_3repE0EEENS1_30default_config_static_selectorELNS0_4arch9wavefront6targetE0EEEvSP_
    .private_segment_fixed_size: 0
    .sgpr_count:     0
    .sgpr_spill_count: 0
    .symbol:         _ZN7rocprim17ROCPRIM_400000_NS6detail17trampoline_kernelINS0_14default_configENS1_32segmented_reduce_config_selectorIfEEZNS1_21segmented_reduce_implIS3_PKfPfPKlfN6hipcub16HIPCUB_304000_NS6detail27convert_result_type_wrapperIS8_S9_N2at6native12_GLOBAL__N_19CustomMaxEEEEE10hipError_tPvRmT0_T1_jT2_SQ_T4_T3_P12ihipStream_tbEUlT_E_NS1_11comp_targetILNS1_3genE5ELNS1_11target_archE942ELNS1_3gpuE9ELNS1_3repE0EEENS1_30default_config_static_selectorELNS0_4arch9wavefront6targetE0EEEvSP_.kd
    .uniform_work_group_size: 1
    .uses_dynamic_stack: false
    .vgpr_count:     0
    .vgpr_spill_count: 0
    .wavefront_size: 32
    .workgroup_processor_mode: 1
  - .args:
      - .offset:         0
        .size:           48
        .value_kind:     by_value
    .group_segment_fixed_size: 0
    .kernarg_segment_align: 8
    .kernarg_segment_size: 48
    .language:       OpenCL C
    .language_version:
      - 2
      - 0
    .max_flat_workgroup_size: 256
    .name:           _ZN7rocprim17ROCPRIM_400000_NS6detail17trampoline_kernelINS0_14default_configENS1_32segmented_reduce_config_selectorIfEEZNS1_21segmented_reduce_implIS3_PKfPfPKlfN6hipcub16HIPCUB_304000_NS6detail27convert_result_type_wrapperIS8_S9_N2at6native12_GLOBAL__N_19CustomMaxEEEEE10hipError_tPvRmT0_T1_jT2_SQ_T4_T3_P12ihipStream_tbEUlT_E_NS1_11comp_targetILNS1_3genE10ELNS1_11target_archE1201ELNS1_3gpuE5ELNS1_3repE0EEENS1_30default_config_static_selectorELNS0_4arch9wavefront6targetE0EEEvSP_
    .private_segment_fixed_size: 0
    .sgpr_count:     0
    .sgpr_spill_count: 0
    .symbol:         _ZN7rocprim17ROCPRIM_400000_NS6detail17trampoline_kernelINS0_14default_configENS1_32segmented_reduce_config_selectorIfEEZNS1_21segmented_reduce_implIS3_PKfPfPKlfN6hipcub16HIPCUB_304000_NS6detail27convert_result_type_wrapperIS8_S9_N2at6native12_GLOBAL__N_19CustomMaxEEEEE10hipError_tPvRmT0_T1_jT2_SQ_T4_T3_P12ihipStream_tbEUlT_E_NS1_11comp_targetILNS1_3genE10ELNS1_11target_archE1201ELNS1_3gpuE5ELNS1_3repE0EEENS1_30default_config_static_selectorELNS0_4arch9wavefront6targetE0EEEvSP_.kd
    .uniform_work_group_size: 1
    .uses_dynamic_stack: false
    .vgpr_count:     0
    .vgpr_spill_count: 0
    .wavefront_size: 32
    .workgroup_processor_mode: 1
  - .args:
      - .offset:         0
        .size:           48
        .value_kind:     by_value
    .group_segment_fixed_size: 0
    .kernarg_segment_align: 8
    .kernarg_segment_size: 48
    .language:       OpenCL C
    .language_version:
      - 2
      - 0
    .max_flat_workgroup_size: 256
    .name:           _ZN7rocprim17ROCPRIM_400000_NS6detail17trampoline_kernelINS0_14default_configENS1_32segmented_reduce_config_selectorIfEEZNS1_21segmented_reduce_implIS3_PKfPfPKlfN6hipcub16HIPCUB_304000_NS6detail27convert_result_type_wrapperIS8_S9_N2at6native12_GLOBAL__N_19CustomMaxEEEEE10hipError_tPvRmT0_T1_jT2_SQ_T4_T3_P12ihipStream_tbEUlT_E_NS1_11comp_targetILNS1_3genE4ELNS1_11target_archE910ELNS1_3gpuE8ELNS1_3repE0EEENS1_30default_config_static_selectorELNS0_4arch9wavefront6targetE0EEEvSP_
    .private_segment_fixed_size: 0
    .sgpr_count:     0
    .sgpr_spill_count: 0
    .symbol:         _ZN7rocprim17ROCPRIM_400000_NS6detail17trampoline_kernelINS0_14default_configENS1_32segmented_reduce_config_selectorIfEEZNS1_21segmented_reduce_implIS3_PKfPfPKlfN6hipcub16HIPCUB_304000_NS6detail27convert_result_type_wrapperIS8_S9_N2at6native12_GLOBAL__N_19CustomMaxEEEEE10hipError_tPvRmT0_T1_jT2_SQ_T4_T3_P12ihipStream_tbEUlT_E_NS1_11comp_targetILNS1_3genE4ELNS1_11target_archE910ELNS1_3gpuE8ELNS1_3repE0EEENS1_30default_config_static_selectorELNS0_4arch9wavefront6targetE0EEEvSP_.kd
    .uniform_work_group_size: 1
    .uses_dynamic_stack: false
    .vgpr_count:     0
    .vgpr_spill_count: 0
    .wavefront_size: 32
    .workgroup_processor_mode: 1
  - .args:
      - .offset:         0
        .size:           48
        .value_kind:     by_value
    .group_segment_fixed_size: 0
    .kernarg_segment_align: 8
    .kernarg_segment_size: 48
    .language:       OpenCL C
    .language_version:
      - 2
      - 0
    .max_flat_workgroup_size: 256
    .name:           _ZN7rocprim17ROCPRIM_400000_NS6detail17trampoline_kernelINS0_14default_configENS1_32segmented_reduce_config_selectorIfEEZNS1_21segmented_reduce_implIS3_PKfPfPKlfN6hipcub16HIPCUB_304000_NS6detail27convert_result_type_wrapperIS8_S9_N2at6native12_GLOBAL__N_19CustomMaxEEEEE10hipError_tPvRmT0_T1_jT2_SQ_T4_T3_P12ihipStream_tbEUlT_E_NS1_11comp_targetILNS1_3genE3ELNS1_11target_archE908ELNS1_3gpuE7ELNS1_3repE0EEENS1_30default_config_static_selectorELNS0_4arch9wavefront6targetE0EEEvSP_
    .private_segment_fixed_size: 0
    .sgpr_count:     0
    .sgpr_spill_count: 0
    .symbol:         _ZN7rocprim17ROCPRIM_400000_NS6detail17trampoline_kernelINS0_14default_configENS1_32segmented_reduce_config_selectorIfEEZNS1_21segmented_reduce_implIS3_PKfPfPKlfN6hipcub16HIPCUB_304000_NS6detail27convert_result_type_wrapperIS8_S9_N2at6native12_GLOBAL__N_19CustomMaxEEEEE10hipError_tPvRmT0_T1_jT2_SQ_T4_T3_P12ihipStream_tbEUlT_E_NS1_11comp_targetILNS1_3genE3ELNS1_11target_archE908ELNS1_3gpuE7ELNS1_3repE0EEENS1_30default_config_static_selectorELNS0_4arch9wavefront6targetE0EEEvSP_.kd
    .uniform_work_group_size: 1
    .uses_dynamic_stack: false
    .vgpr_count:     0
    .vgpr_spill_count: 0
    .wavefront_size: 32
    .workgroup_processor_mode: 1
  - .args:
      - .offset:         0
        .size:           48
        .value_kind:     by_value
    .group_segment_fixed_size: 0
    .kernarg_segment_align: 8
    .kernarg_segment_size: 48
    .language:       OpenCL C
    .language_version:
      - 2
      - 0
    .max_flat_workgroup_size: 256
    .name:           _ZN7rocprim17ROCPRIM_400000_NS6detail17trampoline_kernelINS0_14default_configENS1_32segmented_reduce_config_selectorIfEEZNS1_21segmented_reduce_implIS3_PKfPfPKlfN6hipcub16HIPCUB_304000_NS6detail27convert_result_type_wrapperIS8_S9_N2at6native12_GLOBAL__N_19CustomMaxEEEEE10hipError_tPvRmT0_T1_jT2_SQ_T4_T3_P12ihipStream_tbEUlT_E_NS1_11comp_targetILNS1_3genE2ELNS1_11target_archE906ELNS1_3gpuE6ELNS1_3repE0EEENS1_30default_config_static_selectorELNS0_4arch9wavefront6targetE0EEEvSP_
    .private_segment_fixed_size: 0
    .sgpr_count:     0
    .sgpr_spill_count: 0
    .symbol:         _ZN7rocprim17ROCPRIM_400000_NS6detail17trampoline_kernelINS0_14default_configENS1_32segmented_reduce_config_selectorIfEEZNS1_21segmented_reduce_implIS3_PKfPfPKlfN6hipcub16HIPCUB_304000_NS6detail27convert_result_type_wrapperIS8_S9_N2at6native12_GLOBAL__N_19CustomMaxEEEEE10hipError_tPvRmT0_T1_jT2_SQ_T4_T3_P12ihipStream_tbEUlT_E_NS1_11comp_targetILNS1_3genE2ELNS1_11target_archE906ELNS1_3gpuE6ELNS1_3repE0EEENS1_30default_config_static_selectorELNS0_4arch9wavefront6targetE0EEEvSP_.kd
    .uniform_work_group_size: 1
    .uses_dynamic_stack: false
    .vgpr_count:     0
    .vgpr_spill_count: 0
    .wavefront_size: 32
    .workgroup_processor_mode: 1
  - .args:
      - .offset:         0
        .size:           48
        .value_kind:     by_value
    .group_segment_fixed_size: 0
    .kernarg_segment_align: 8
    .kernarg_segment_size: 48
    .language:       OpenCL C
    .language_version:
      - 2
      - 0
    .max_flat_workgroup_size: 256
    .name:           _ZN7rocprim17ROCPRIM_400000_NS6detail17trampoline_kernelINS0_14default_configENS1_32segmented_reduce_config_selectorIfEEZNS1_21segmented_reduce_implIS3_PKfPfPKlfN6hipcub16HIPCUB_304000_NS6detail27convert_result_type_wrapperIS8_S9_N2at6native12_GLOBAL__N_19CustomMaxEEEEE10hipError_tPvRmT0_T1_jT2_SQ_T4_T3_P12ihipStream_tbEUlT_E_NS1_11comp_targetILNS1_3genE9ELNS1_11target_archE1100ELNS1_3gpuE3ELNS1_3repE0EEENS1_30default_config_static_selectorELNS0_4arch9wavefront6targetE0EEEvSP_
    .private_segment_fixed_size: 0
    .sgpr_count:     0
    .sgpr_spill_count: 0
    .symbol:         _ZN7rocprim17ROCPRIM_400000_NS6detail17trampoline_kernelINS0_14default_configENS1_32segmented_reduce_config_selectorIfEEZNS1_21segmented_reduce_implIS3_PKfPfPKlfN6hipcub16HIPCUB_304000_NS6detail27convert_result_type_wrapperIS8_S9_N2at6native12_GLOBAL__N_19CustomMaxEEEEE10hipError_tPvRmT0_T1_jT2_SQ_T4_T3_P12ihipStream_tbEUlT_E_NS1_11comp_targetILNS1_3genE9ELNS1_11target_archE1100ELNS1_3gpuE3ELNS1_3repE0EEENS1_30default_config_static_selectorELNS0_4arch9wavefront6targetE0EEEvSP_.kd
    .uniform_work_group_size: 1
    .uses_dynamic_stack: false
    .vgpr_count:     0
    .vgpr_spill_count: 0
    .wavefront_size: 32
    .workgroup_processor_mode: 1
  - .args:
      - .offset:         0
        .size:           48
        .value_kind:     by_value
    .group_segment_fixed_size: 32
    .kernarg_segment_align: 8
    .kernarg_segment_size: 48
    .language:       OpenCL C
    .language_version:
      - 2
      - 0
    .max_flat_workgroup_size: 256
    .name:           _ZN7rocprim17ROCPRIM_400000_NS6detail17trampoline_kernelINS0_14default_configENS1_32segmented_reduce_config_selectorIfEEZNS1_21segmented_reduce_implIS3_PKfPfPKlfN6hipcub16HIPCUB_304000_NS6detail27convert_result_type_wrapperIS8_S9_N2at6native12_GLOBAL__N_19CustomMaxEEEEE10hipError_tPvRmT0_T1_jT2_SQ_T4_T3_P12ihipStream_tbEUlT_E_NS1_11comp_targetILNS1_3genE8ELNS1_11target_archE1030ELNS1_3gpuE2ELNS1_3repE0EEENS1_30default_config_static_selectorELNS0_4arch9wavefront6targetE0EEEvSP_
    .private_segment_fixed_size: 0
    .sgpr_count:     23
    .sgpr_spill_count: 0
    .symbol:         _ZN7rocprim17ROCPRIM_400000_NS6detail17trampoline_kernelINS0_14default_configENS1_32segmented_reduce_config_selectorIfEEZNS1_21segmented_reduce_implIS3_PKfPfPKlfN6hipcub16HIPCUB_304000_NS6detail27convert_result_type_wrapperIS8_S9_N2at6native12_GLOBAL__N_19CustomMaxEEEEE10hipError_tPvRmT0_T1_jT2_SQ_T4_T3_P12ihipStream_tbEUlT_E_NS1_11comp_targetILNS1_3genE8ELNS1_11target_archE1030ELNS1_3gpuE2ELNS1_3repE0EEENS1_30default_config_static_selectorELNS0_4arch9wavefront6targetE0EEEvSP_.kd
    .uniform_work_group_size: 1
    .uses_dynamic_stack: false
    .vgpr_count:     33
    .vgpr_spill_count: 0
    .wavefront_size: 32
    .workgroup_processor_mode: 1
  - .args:
      - .offset:         0
        .size:           48
        .value_kind:     by_value
    .group_segment_fixed_size: 0
    .kernarg_segment_align: 8
    .kernarg_segment_size: 48
    .language:       OpenCL C
    .language_version:
      - 2
      - 0
    .max_flat_workgroup_size: 256
    .name:           _ZN7rocprim17ROCPRIM_400000_NS6detail17trampoline_kernelINS0_14default_configENS1_32segmented_reduce_config_selectorIfEEZNS1_21segmented_reduce_implIS3_PKfPfPKlfN6hipcub16HIPCUB_304000_NS6detail27convert_result_type_wrapperIS8_S9_N2at6native12_GLOBAL__N_19CustomSumEEEEE10hipError_tPvRmT0_T1_jT2_SQ_T4_T3_P12ihipStream_tbEUlT_E_NS1_11comp_targetILNS1_3genE0ELNS1_11target_archE4294967295ELNS1_3gpuE0ELNS1_3repE0EEENS1_30default_config_static_selectorELNS0_4arch9wavefront6targetE0EEEvSP_
    .private_segment_fixed_size: 0
    .sgpr_count:     0
    .sgpr_spill_count: 0
    .symbol:         _ZN7rocprim17ROCPRIM_400000_NS6detail17trampoline_kernelINS0_14default_configENS1_32segmented_reduce_config_selectorIfEEZNS1_21segmented_reduce_implIS3_PKfPfPKlfN6hipcub16HIPCUB_304000_NS6detail27convert_result_type_wrapperIS8_S9_N2at6native12_GLOBAL__N_19CustomSumEEEEE10hipError_tPvRmT0_T1_jT2_SQ_T4_T3_P12ihipStream_tbEUlT_E_NS1_11comp_targetILNS1_3genE0ELNS1_11target_archE4294967295ELNS1_3gpuE0ELNS1_3repE0EEENS1_30default_config_static_selectorELNS0_4arch9wavefront6targetE0EEEvSP_.kd
    .uniform_work_group_size: 1
    .uses_dynamic_stack: false
    .vgpr_count:     0
    .vgpr_spill_count: 0
    .wavefront_size: 32
    .workgroup_processor_mode: 1
  - .args:
      - .offset:         0
        .size:           48
        .value_kind:     by_value
    .group_segment_fixed_size: 0
    .kernarg_segment_align: 8
    .kernarg_segment_size: 48
    .language:       OpenCL C
    .language_version:
      - 2
      - 0
    .max_flat_workgroup_size: 256
    .name:           _ZN7rocprim17ROCPRIM_400000_NS6detail17trampoline_kernelINS0_14default_configENS1_32segmented_reduce_config_selectorIfEEZNS1_21segmented_reduce_implIS3_PKfPfPKlfN6hipcub16HIPCUB_304000_NS6detail27convert_result_type_wrapperIS8_S9_N2at6native12_GLOBAL__N_19CustomSumEEEEE10hipError_tPvRmT0_T1_jT2_SQ_T4_T3_P12ihipStream_tbEUlT_E_NS1_11comp_targetILNS1_3genE5ELNS1_11target_archE942ELNS1_3gpuE9ELNS1_3repE0EEENS1_30default_config_static_selectorELNS0_4arch9wavefront6targetE0EEEvSP_
    .private_segment_fixed_size: 0
    .sgpr_count:     0
    .sgpr_spill_count: 0
    .symbol:         _ZN7rocprim17ROCPRIM_400000_NS6detail17trampoline_kernelINS0_14default_configENS1_32segmented_reduce_config_selectorIfEEZNS1_21segmented_reduce_implIS3_PKfPfPKlfN6hipcub16HIPCUB_304000_NS6detail27convert_result_type_wrapperIS8_S9_N2at6native12_GLOBAL__N_19CustomSumEEEEE10hipError_tPvRmT0_T1_jT2_SQ_T4_T3_P12ihipStream_tbEUlT_E_NS1_11comp_targetILNS1_3genE5ELNS1_11target_archE942ELNS1_3gpuE9ELNS1_3repE0EEENS1_30default_config_static_selectorELNS0_4arch9wavefront6targetE0EEEvSP_.kd
    .uniform_work_group_size: 1
    .uses_dynamic_stack: false
    .vgpr_count:     0
    .vgpr_spill_count: 0
    .wavefront_size: 32
    .workgroup_processor_mode: 1
  - .args:
      - .offset:         0
        .size:           48
        .value_kind:     by_value
    .group_segment_fixed_size: 0
    .kernarg_segment_align: 8
    .kernarg_segment_size: 48
    .language:       OpenCL C
    .language_version:
      - 2
      - 0
    .max_flat_workgroup_size: 256
    .name:           _ZN7rocprim17ROCPRIM_400000_NS6detail17trampoline_kernelINS0_14default_configENS1_32segmented_reduce_config_selectorIfEEZNS1_21segmented_reduce_implIS3_PKfPfPKlfN6hipcub16HIPCUB_304000_NS6detail27convert_result_type_wrapperIS8_S9_N2at6native12_GLOBAL__N_19CustomSumEEEEE10hipError_tPvRmT0_T1_jT2_SQ_T4_T3_P12ihipStream_tbEUlT_E_NS1_11comp_targetILNS1_3genE10ELNS1_11target_archE1201ELNS1_3gpuE5ELNS1_3repE0EEENS1_30default_config_static_selectorELNS0_4arch9wavefront6targetE0EEEvSP_
    .private_segment_fixed_size: 0
    .sgpr_count:     0
    .sgpr_spill_count: 0
    .symbol:         _ZN7rocprim17ROCPRIM_400000_NS6detail17trampoline_kernelINS0_14default_configENS1_32segmented_reduce_config_selectorIfEEZNS1_21segmented_reduce_implIS3_PKfPfPKlfN6hipcub16HIPCUB_304000_NS6detail27convert_result_type_wrapperIS8_S9_N2at6native12_GLOBAL__N_19CustomSumEEEEE10hipError_tPvRmT0_T1_jT2_SQ_T4_T3_P12ihipStream_tbEUlT_E_NS1_11comp_targetILNS1_3genE10ELNS1_11target_archE1201ELNS1_3gpuE5ELNS1_3repE0EEENS1_30default_config_static_selectorELNS0_4arch9wavefront6targetE0EEEvSP_.kd
    .uniform_work_group_size: 1
    .uses_dynamic_stack: false
    .vgpr_count:     0
    .vgpr_spill_count: 0
    .wavefront_size: 32
    .workgroup_processor_mode: 1
  - .args:
      - .offset:         0
        .size:           48
        .value_kind:     by_value
    .group_segment_fixed_size: 0
    .kernarg_segment_align: 8
    .kernarg_segment_size: 48
    .language:       OpenCL C
    .language_version:
      - 2
      - 0
    .max_flat_workgroup_size: 256
    .name:           _ZN7rocprim17ROCPRIM_400000_NS6detail17trampoline_kernelINS0_14default_configENS1_32segmented_reduce_config_selectorIfEEZNS1_21segmented_reduce_implIS3_PKfPfPKlfN6hipcub16HIPCUB_304000_NS6detail27convert_result_type_wrapperIS8_S9_N2at6native12_GLOBAL__N_19CustomSumEEEEE10hipError_tPvRmT0_T1_jT2_SQ_T4_T3_P12ihipStream_tbEUlT_E_NS1_11comp_targetILNS1_3genE4ELNS1_11target_archE910ELNS1_3gpuE8ELNS1_3repE0EEENS1_30default_config_static_selectorELNS0_4arch9wavefront6targetE0EEEvSP_
    .private_segment_fixed_size: 0
    .sgpr_count:     0
    .sgpr_spill_count: 0
    .symbol:         _ZN7rocprim17ROCPRIM_400000_NS6detail17trampoline_kernelINS0_14default_configENS1_32segmented_reduce_config_selectorIfEEZNS1_21segmented_reduce_implIS3_PKfPfPKlfN6hipcub16HIPCUB_304000_NS6detail27convert_result_type_wrapperIS8_S9_N2at6native12_GLOBAL__N_19CustomSumEEEEE10hipError_tPvRmT0_T1_jT2_SQ_T4_T3_P12ihipStream_tbEUlT_E_NS1_11comp_targetILNS1_3genE4ELNS1_11target_archE910ELNS1_3gpuE8ELNS1_3repE0EEENS1_30default_config_static_selectorELNS0_4arch9wavefront6targetE0EEEvSP_.kd
    .uniform_work_group_size: 1
    .uses_dynamic_stack: false
    .vgpr_count:     0
    .vgpr_spill_count: 0
    .wavefront_size: 32
    .workgroup_processor_mode: 1
  - .args:
      - .offset:         0
        .size:           48
        .value_kind:     by_value
    .group_segment_fixed_size: 0
    .kernarg_segment_align: 8
    .kernarg_segment_size: 48
    .language:       OpenCL C
    .language_version:
      - 2
      - 0
    .max_flat_workgroup_size: 256
    .name:           _ZN7rocprim17ROCPRIM_400000_NS6detail17trampoline_kernelINS0_14default_configENS1_32segmented_reduce_config_selectorIfEEZNS1_21segmented_reduce_implIS3_PKfPfPKlfN6hipcub16HIPCUB_304000_NS6detail27convert_result_type_wrapperIS8_S9_N2at6native12_GLOBAL__N_19CustomSumEEEEE10hipError_tPvRmT0_T1_jT2_SQ_T4_T3_P12ihipStream_tbEUlT_E_NS1_11comp_targetILNS1_3genE3ELNS1_11target_archE908ELNS1_3gpuE7ELNS1_3repE0EEENS1_30default_config_static_selectorELNS0_4arch9wavefront6targetE0EEEvSP_
    .private_segment_fixed_size: 0
    .sgpr_count:     0
    .sgpr_spill_count: 0
    .symbol:         _ZN7rocprim17ROCPRIM_400000_NS6detail17trampoline_kernelINS0_14default_configENS1_32segmented_reduce_config_selectorIfEEZNS1_21segmented_reduce_implIS3_PKfPfPKlfN6hipcub16HIPCUB_304000_NS6detail27convert_result_type_wrapperIS8_S9_N2at6native12_GLOBAL__N_19CustomSumEEEEE10hipError_tPvRmT0_T1_jT2_SQ_T4_T3_P12ihipStream_tbEUlT_E_NS1_11comp_targetILNS1_3genE3ELNS1_11target_archE908ELNS1_3gpuE7ELNS1_3repE0EEENS1_30default_config_static_selectorELNS0_4arch9wavefront6targetE0EEEvSP_.kd
    .uniform_work_group_size: 1
    .uses_dynamic_stack: false
    .vgpr_count:     0
    .vgpr_spill_count: 0
    .wavefront_size: 32
    .workgroup_processor_mode: 1
  - .args:
      - .offset:         0
        .size:           48
        .value_kind:     by_value
    .group_segment_fixed_size: 0
    .kernarg_segment_align: 8
    .kernarg_segment_size: 48
    .language:       OpenCL C
    .language_version:
      - 2
      - 0
    .max_flat_workgroup_size: 256
    .name:           _ZN7rocprim17ROCPRIM_400000_NS6detail17trampoline_kernelINS0_14default_configENS1_32segmented_reduce_config_selectorIfEEZNS1_21segmented_reduce_implIS3_PKfPfPKlfN6hipcub16HIPCUB_304000_NS6detail27convert_result_type_wrapperIS8_S9_N2at6native12_GLOBAL__N_19CustomSumEEEEE10hipError_tPvRmT0_T1_jT2_SQ_T4_T3_P12ihipStream_tbEUlT_E_NS1_11comp_targetILNS1_3genE2ELNS1_11target_archE906ELNS1_3gpuE6ELNS1_3repE0EEENS1_30default_config_static_selectorELNS0_4arch9wavefront6targetE0EEEvSP_
    .private_segment_fixed_size: 0
    .sgpr_count:     0
    .sgpr_spill_count: 0
    .symbol:         _ZN7rocprim17ROCPRIM_400000_NS6detail17trampoline_kernelINS0_14default_configENS1_32segmented_reduce_config_selectorIfEEZNS1_21segmented_reduce_implIS3_PKfPfPKlfN6hipcub16HIPCUB_304000_NS6detail27convert_result_type_wrapperIS8_S9_N2at6native12_GLOBAL__N_19CustomSumEEEEE10hipError_tPvRmT0_T1_jT2_SQ_T4_T3_P12ihipStream_tbEUlT_E_NS1_11comp_targetILNS1_3genE2ELNS1_11target_archE906ELNS1_3gpuE6ELNS1_3repE0EEENS1_30default_config_static_selectorELNS0_4arch9wavefront6targetE0EEEvSP_.kd
    .uniform_work_group_size: 1
    .uses_dynamic_stack: false
    .vgpr_count:     0
    .vgpr_spill_count: 0
    .wavefront_size: 32
    .workgroup_processor_mode: 1
  - .args:
      - .offset:         0
        .size:           48
        .value_kind:     by_value
    .group_segment_fixed_size: 0
    .kernarg_segment_align: 8
    .kernarg_segment_size: 48
    .language:       OpenCL C
    .language_version:
      - 2
      - 0
    .max_flat_workgroup_size: 256
    .name:           _ZN7rocprim17ROCPRIM_400000_NS6detail17trampoline_kernelINS0_14default_configENS1_32segmented_reduce_config_selectorIfEEZNS1_21segmented_reduce_implIS3_PKfPfPKlfN6hipcub16HIPCUB_304000_NS6detail27convert_result_type_wrapperIS8_S9_N2at6native12_GLOBAL__N_19CustomSumEEEEE10hipError_tPvRmT0_T1_jT2_SQ_T4_T3_P12ihipStream_tbEUlT_E_NS1_11comp_targetILNS1_3genE9ELNS1_11target_archE1100ELNS1_3gpuE3ELNS1_3repE0EEENS1_30default_config_static_selectorELNS0_4arch9wavefront6targetE0EEEvSP_
    .private_segment_fixed_size: 0
    .sgpr_count:     0
    .sgpr_spill_count: 0
    .symbol:         _ZN7rocprim17ROCPRIM_400000_NS6detail17trampoline_kernelINS0_14default_configENS1_32segmented_reduce_config_selectorIfEEZNS1_21segmented_reduce_implIS3_PKfPfPKlfN6hipcub16HIPCUB_304000_NS6detail27convert_result_type_wrapperIS8_S9_N2at6native12_GLOBAL__N_19CustomSumEEEEE10hipError_tPvRmT0_T1_jT2_SQ_T4_T3_P12ihipStream_tbEUlT_E_NS1_11comp_targetILNS1_3genE9ELNS1_11target_archE1100ELNS1_3gpuE3ELNS1_3repE0EEENS1_30default_config_static_selectorELNS0_4arch9wavefront6targetE0EEEvSP_.kd
    .uniform_work_group_size: 1
    .uses_dynamic_stack: false
    .vgpr_count:     0
    .vgpr_spill_count: 0
    .wavefront_size: 32
    .workgroup_processor_mode: 1
  - .args:
      - .offset:         0
        .size:           48
        .value_kind:     by_value
    .group_segment_fixed_size: 32
    .kernarg_segment_align: 8
    .kernarg_segment_size: 48
    .language:       OpenCL C
    .language_version:
      - 2
      - 0
    .max_flat_workgroup_size: 256
    .name:           _ZN7rocprim17ROCPRIM_400000_NS6detail17trampoline_kernelINS0_14default_configENS1_32segmented_reduce_config_selectorIfEEZNS1_21segmented_reduce_implIS3_PKfPfPKlfN6hipcub16HIPCUB_304000_NS6detail27convert_result_type_wrapperIS8_S9_N2at6native12_GLOBAL__N_19CustomSumEEEEE10hipError_tPvRmT0_T1_jT2_SQ_T4_T3_P12ihipStream_tbEUlT_E_NS1_11comp_targetILNS1_3genE8ELNS1_11target_archE1030ELNS1_3gpuE2ELNS1_3repE0EEENS1_30default_config_static_selectorELNS0_4arch9wavefront6targetE0EEEvSP_
    .private_segment_fixed_size: 0
    .sgpr_count:     34
    .sgpr_spill_count: 0
    .symbol:         _ZN7rocprim17ROCPRIM_400000_NS6detail17trampoline_kernelINS0_14default_configENS1_32segmented_reduce_config_selectorIfEEZNS1_21segmented_reduce_implIS3_PKfPfPKlfN6hipcub16HIPCUB_304000_NS6detail27convert_result_type_wrapperIS8_S9_N2at6native12_GLOBAL__N_19CustomSumEEEEE10hipError_tPvRmT0_T1_jT2_SQ_T4_T3_P12ihipStream_tbEUlT_E_NS1_11comp_targetILNS1_3genE8ELNS1_11target_archE1030ELNS1_3gpuE2ELNS1_3repE0EEENS1_30default_config_static_selectorELNS0_4arch9wavefront6targetE0EEEvSP_.kd
    .uniform_work_group_size: 1
    .uses_dynamic_stack: false
    .vgpr_count:     23
    .vgpr_spill_count: 0
    .wavefront_size: 32
    .workgroup_processor_mode: 1
  - .args:
      - .address_space:  global
        .offset:         0
        .size:           8
        .value_kind:     global_buffer
      - .address_space:  global
        .offset:         8
        .size:           8
        .value_kind:     global_buffer
      - .offset:         16
        .size:           8
        .value_kind:     by_value
      - .offset:         24
        .size:           1
        .value_kind:     by_value
      - .offset:         28
        .size:           4
        .value_kind:     by_value
      - .offset:         32
        .size:           4
        .value_kind:     hidden_block_count_x
      - .offset:         36
        .size:           4
        .value_kind:     hidden_block_count_y
      - .offset:         40
        .size:           4
        .value_kind:     hidden_block_count_z
      - .offset:         44
        .size:           2
        .value_kind:     hidden_group_size_x
      - .offset:         46
        .size:           2
        .value_kind:     hidden_group_size_y
      - .offset:         48
        .size:           2
        .value_kind:     hidden_group_size_z
      - .offset:         50
        .size:           2
        .value_kind:     hidden_remainder_x
      - .offset:         52
        .size:           2
        .value_kind:     hidden_remainder_y
      - .offset:         54
        .size:           2
        .value_kind:     hidden_remainder_z
      - .offset:         72
        .size:           8
        .value_kind:     hidden_global_offset_x
      - .offset:         80
        .size:           8
        .value_kind:     hidden_global_offset_y
      - .offset:         88
        .size:           8
        .value_kind:     hidden_global_offset_z
      - .offset:         96
        .size:           2
        .value_kind:     hidden_grid_dims
    .group_segment_fixed_size: 0
    .kernarg_segment_align: 8
    .kernarg_segment_size: 288
    .language:       OpenCL C
    .language_version:
      - 2
      - 0
    .max_flat_workgroup_size: 1024
    .name:           _ZN2at6native12_GLOBAL__N_119post_sum_div_kernelIflEEvPT_PKT0_lbS3_
    .private_segment_fixed_size: 0
    .sgpr_count:     18
    .sgpr_spill_count: 0
    .symbol:         _ZN2at6native12_GLOBAL__N_119post_sum_div_kernelIflEEvPT_PKT0_lbS3_.kd
    .uniform_work_group_size: 1
    .uses_dynamic_stack: false
    .vgpr_count:     14
    .vgpr_spill_count: 0
    .wavefront_size: 32
    .workgroup_processor_mode: 1
  - .args:
      - .offset:         0
        .size:           48
        .value_kind:     by_value
    .group_segment_fixed_size: 0
    .kernarg_segment_align: 8
    .kernarg_segment_size: 48
    .language:       OpenCL C
    .language_version:
      - 2
      - 0
    .max_flat_workgroup_size: 256
    .name:           _ZN7rocprim17ROCPRIM_400000_NS6detail17trampoline_kernelINS0_14default_configENS1_32segmented_reduce_config_selectorIfEEZNS1_21segmented_reduce_implIS3_PKfPfPKlfN6hipcub16HIPCUB_304000_NS6detail27convert_result_type_wrapperIS8_S9_N2at6native12_GLOBAL__N_19CustomMinEEEEE10hipError_tPvRmT0_T1_jT2_SQ_T4_T3_P12ihipStream_tbEUlT_E_NS1_11comp_targetILNS1_3genE0ELNS1_11target_archE4294967295ELNS1_3gpuE0ELNS1_3repE0EEENS1_30default_config_static_selectorELNS0_4arch9wavefront6targetE0EEEvSP_
    .private_segment_fixed_size: 0
    .sgpr_count:     0
    .sgpr_spill_count: 0
    .symbol:         _ZN7rocprim17ROCPRIM_400000_NS6detail17trampoline_kernelINS0_14default_configENS1_32segmented_reduce_config_selectorIfEEZNS1_21segmented_reduce_implIS3_PKfPfPKlfN6hipcub16HIPCUB_304000_NS6detail27convert_result_type_wrapperIS8_S9_N2at6native12_GLOBAL__N_19CustomMinEEEEE10hipError_tPvRmT0_T1_jT2_SQ_T4_T3_P12ihipStream_tbEUlT_E_NS1_11comp_targetILNS1_3genE0ELNS1_11target_archE4294967295ELNS1_3gpuE0ELNS1_3repE0EEENS1_30default_config_static_selectorELNS0_4arch9wavefront6targetE0EEEvSP_.kd
    .uniform_work_group_size: 1
    .uses_dynamic_stack: false
    .vgpr_count:     0
    .vgpr_spill_count: 0
    .wavefront_size: 32
    .workgroup_processor_mode: 1
  - .args:
      - .offset:         0
        .size:           48
        .value_kind:     by_value
    .group_segment_fixed_size: 0
    .kernarg_segment_align: 8
    .kernarg_segment_size: 48
    .language:       OpenCL C
    .language_version:
      - 2
      - 0
    .max_flat_workgroup_size: 256
    .name:           _ZN7rocprim17ROCPRIM_400000_NS6detail17trampoline_kernelINS0_14default_configENS1_32segmented_reduce_config_selectorIfEEZNS1_21segmented_reduce_implIS3_PKfPfPKlfN6hipcub16HIPCUB_304000_NS6detail27convert_result_type_wrapperIS8_S9_N2at6native12_GLOBAL__N_19CustomMinEEEEE10hipError_tPvRmT0_T1_jT2_SQ_T4_T3_P12ihipStream_tbEUlT_E_NS1_11comp_targetILNS1_3genE5ELNS1_11target_archE942ELNS1_3gpuE9ELNS1_3repE0EEENS1_30default_config_static_selectorELNS0_4arch9wavefront6targetE0EEEvSP_
    .private_segment_fixed_size: 0
    .sgpr_count:     0
    .sgpr_spill_count: 0
    .symbol:         _ZN7rocprim17ROCPRIM_400000_NS6detail17trampoline_kernelINS0_14default_configENS1_32segmented_reduce_config_selectorIfEEZNS1_21segmented_reduce_implIS3_PKfPfPKlfN6hipcub16HIPCUB_304000_NS6detail27convert_result_type_wrapperIS8_S9_N2at6native12_GLOBAL__N_19CustomMinEEEEE10hipError_tPvRmT0_T1_jT2_SQ_T4_T3_P12ihipStream_tbEUlT_E_NS1_11comp_targetILNS1_3genE5ELNS1_11target_archE942ELNS1_3gpuE9ELNS1_3repE0EEENS1_30default_config_static_selectorELNS0_4arch9wavefront6targetE0EEEvSP_.kd
    .uniform_work_group_size: 1
    .uses_dynamic_stack: false
    .vgpr_count:     0
    .vgpr_spill_count: 0
    .wavefront_size: 32
    .workgroup_processor_mode: 1
  - .args:
      - .offset:         0
        .size:           48
        .value_kind:     by_value
    .group_segment_fixed_size: 0
    .kernarg_segment_align: 8
    .kernarg_segment_size: 48
    .language:       OpenCL C
    .language_version:
      - 2
      - 0
    .max_flat_workgroup_size: 256
    .name:           _ZN7rocprim17ROCPRIM_400000_NS6detail17trampoline_kernelINS0_14default_configENS1_32segmented_reduce_config_selectorIfEEZNS1_21segmented_reduce_implIS3_PKfPfPKlfN6hipcub16HIPCUB_304000_NS6detail27convert_result_type_wrapperIS8_S9_N2at6native12_GLOBAL__N_19CustomMinEEEEE10hipError_tPvRmT0_T1_jT2_SQ_T4_T3_P12ihipStream_tbEUlT_E_NS1_11comp_targetILNS1_3genE10ELNS1_11target_archE1201ELNS1_3gpuE5ELNS1_3repE0EEENS1_30default_config_static_selectorELNS0_4arch9wavefront6targetE0EEEvSP_
    .private_segment_fixed_size: 0
    .sgpr_count:     0
    .sgpr_spill_count: 0
    .symbol:         _ZN7rocprim17ROCPRIM_400000_NS6detail17trampoline_kernelINS0_14default_configENS1_32segmented_reduce_config_selectorIfEEZNS1_21segmented_reduce_implIS3_PKfPfPKlfN6hipcub16HIPCUB_304000_NS6detail27convert_result_type_wrapperIS8_S9_N2at6native12_GLOBAL__N_19CustomMinEEEEE10hipError_tPvRmT0_T1_jT2_SQ_T4_T3_P12ihipStream_tbEUlT_E_NS1_11comp_targetILNS1_3genE10ELNS1_11target_archE1201ELNS1_3gpuE5ELNS1_3repE0EEENS1_30default_config_static_selectorELNS0_4arch9wavefront6targetE0EEEvSP_.kd
    .uniform_work_group_size: 1
    .uses_dynamic_stack: false
    .vgpr_count:     0
    .vgpr_spill_count: 0
    .wavefront_size: 32
    .workgroup_processor_mode: 1
  - .args:
      - .offset:         0
        .size:           48
        .value_kind:     by_value
    .group_segment_fixed_size: 0
    .kernarg_segment_align: 8
    .kernarg_segment_size: 48
    .language:       OpenCL C
    .language_version:
      - 2
      - 0
    .max_flat_workgroup_size: 256
    .name:           _ZN7rocprim17ROCPRIM_400000_NS6detail17trampoline_kernelINS0_14default_configENS1_32segmented_reduce_config_selectorIfEEZNS1_21segmented_reduce_implIS3_PKfPfPKlfN6hipcub16HIPCUB_304000_NS6detail27convert_result_type_wrapperIS8_S9_N2at6native12_GLOBAL__N_19CustomMinEEEEE10hipError_tPvRmT0_T1_jT2_SQ_T4_T3_P12ihipStream_tbEUlT_E_NS1_11comp_targetILNS1_3genE4ELNS1_11target_archE910ELNS1_3gpuE8ELNS1_3repE0EEENS1_30default_config_static_selectorELNS0_4arch9wavefront6targetE0EEEvSP_
    .private_segment_fixed_size: 0
    .sgpr_count:     0
    .sgpr_spill_count: 0
    .symbol:         _ZN7rocprim17ROCPRIM_400000_NS6detail17trampoline_kernelINS0_14default_configENS1_32segmented_reduce_config_selectorIfEEZNS1_21segmented_reduce_implIS3_PKfPfPKlfN6hipcub16HIPCUB_304000_NS6detail27convert_result_type_wrapperIS8_S9_N2at6native12_GLOBAL__N_19CustomMinEEEEE10hipError_tPvRmT0_T1_jT2_SQ_T4_T3_P12ihipStream_tbEUlT_E_NS1_11comp_targetILNS1_3genE4ELNS1_11target_archE910ELNS1_3gpuE8ELNS1_3repE0EEENS1_30default_config_static_selectorELNS0_4arch9wavefront6targetE0EEEvSP_.kd
    .uniform_work_group_size: 1
    .uses_dynamic_stack: false
    .vgpr_count:     0
    .vgpr_spill_count: 0
    .wavefront_size: 32
    .workgroup_processor_mode: 1
  - .args:
      - .offset:         0
        .size:           48
        .value_kind:     by_value
    .group_segment_fixed_size: 0
    .kernarg_segment_align: 8
    .kernarg_segment_size: 48
    .language:       OpenCL C
    .language_version:
      - 2
      - 0
    .max_flat_workgroup_size: 256
    .name:           _ZN7rocprim17ROCPRIM_400000_NS6detail17trampoline_kernelINS0_14default_configENS1_32segmented_reduce_config_selectorIfEEZNS1_21segmented_reduce_implIS3_PKfPfPKlfN6hipcub16HIPCUB_304000_NS6detail27convert_result_type_wrapperIS8_S9_N2at6native12_GLOBAL__N_19CustomMinEEEEE10hipError_tPvRmT0_T1_jT2_SQ_T4_T3_P12ihipStream_tbEUlT_E_NS1_11comp_targetILNS1_3genE3ELNS1_11target_archE908ELNS1_3gpuE7ELNS1_3repE0EEENS1_30default_config_static_selectorELNS0_4arch9wavefront6targetE0EEEvSP_
    .private_segment_fixed_size: 0
    .sgpr_count:     0
    .sgpr_spill_count: 0
    .symbol:         _ZN7rocprim17ROCPRIM_400000_NS6detail17trampoline_kernelINS0_14default_configENS1_32segmented_reduce_config_selectorIfEEZNS1_21segmented_reduce_implIS3_PKfPfPKlfN6hipcub16HIPCUB_304000_NS6detail27convert_result_type_wrapperIS8_S9_N2at6native12_GLOBAL__N_19CustomMinEEEEE10hipError_tPvRmT0_T1_jT2_SQ_T4_T3_P12ihipStream_tbEUlT_E_NS1_11comp_targetILNS1_3genE3ELNS1_11target_archE908ELNS1_3gpuE7ELNS1_3repE0EEENS1_30default_config_static_selectorELNS0_4arch9wavefront6targetE0EEEvSP_.kd
    .uniform_work_group_size: 1
    .uses_dynamic_stack: false
    .vgpr_count:     0
    .vgpr_spill_count: 0
    .wavefront_size: 32
    .workgroup_processor_mode: 1
  - .args:
      - .offset:         0
        .size:           48
        .value_kind:     by_value
    .group_segment_fixed_size: 0
    .kernarg_segment_align: 8
    .kernarg_segment_size: 48
    .language:       OpenCL C
    .language_version:
      - 2
      - 0
    .max_flat_workgroup_size: 256
    .name:           _ZN7rocprim17ROCPRIM_400000_NS6detail17trampoline_kernelINS0_14default_configENS1_32segmented_reduce_config_selectorIfEEZNS1_21segmented_reduce_implIS3_PKfPfPKlfN6hipcub16HIPCUB_304000_NS6detail27convert_result_type_wrapperIS8_S9_N2at6native12_GLOBAL__N_19CustomMinEEEEE10hipError_tPvRmT0_T1_jT2_SQ_T4_T3_P12ihipStream_tbEUlT_E_NS1_11comp_targetILNS1_3genE2ELNS1_11target_archE906ELNS1_3gpuE6ELNS1_3repE0EEENS1_30default_config_static_selectorELNS0_4arch9wavefront6targetE0EEEvSP_
    .private_segment_fixed_size: 0
    .sgpr_count:     0
    .sgpr_spill_count: 0
    .symbol:         _ZN7rocprim17ROCPRIM_400000_NS6detail17trampoline_kernelINS0_14default_configENS1_32segmented_reduce_config_selectorIfEEZNS1_21segmented_reduce_implIS3_PKfPfPKlfN6hipcub16HIPCUB_304000_NS6detail27convert_result_type_wrapperIS8_S9_N2at6native12_GLOBAL__N_19CustomMinEEEEE10hipError_tPvRmT0_T1_jT2_SQ_T4_T3_P12ihipStream_tbEUlT_E_NS1_11comp_targetILNS1_3genE2ELNS1_11target_archE906ELNS1_3gpuE6ELNS1_3repE0EEENS1_30default_config_static_selectorELNS0_4arch9wavefront6targetE0EEEvSP_.kd
    .uniform_work_group_size: 1
    .uses_dynamic_stack: false
    .vgpr_count:     0
    .vgpr_spill_count: 0
    .wavefront_size: 32
    .workgroup_processor_mode: 1
  - .args:
      - .offset:         0
        .size:           48
        .value_kind:     by_value
    .group_segment_fixed_size: 0
    .kernarg_segment_align: 8
    .kernarg_segment_size: 48
    .language:       OpenCL C
    .language_version:
      - 2
      - 0
    .max_flat_workgroup_size: 256
    .name:           _ZN7rocprim17ROCPRIM_400000_NS6detail17trampoline_kernelINS0_14default_configENS1_32segmented_reduce_config_selectorIfEEZNS1_21segmented_reduce_implIS3_PKfPfPKlfN6hipcub16HIPCUB_304000_NS6detail27convert_result_type_wrapperIS8_S9_N2at6native12_GLOBAL__N_19CustomMinEEEEE10hipError_tPvRmT0_T1_jT2_SQ_T4_T3_P12ihipStream_tbEUlT_E_NS1_11comp_targetILNS1_3genE9ELNS1_11target_archE1100ELNS1_3gpuE3ELNS1_3repE0EEENS1_30default_config_static_selectorELNS0_4arch9wavefront6targetE0EEEvSP_
    .private_segment_fixed_size: 0
    .sgpr_count:     0
    .sgpr_spill_count: 0
    .symbol:         _ZN7rocprim17ROCPRIM_400000_NS6detail17trampoline_kernelINS0_14default_configENS1_32segmented_reduce_config_selectorIfEEZNS1_21segmented_reduce_implIS3_PKfPfPKlfN6hipcub16HIPCUB_304000_NS6detail27convert_result_type_wrapperIS8_S9_N2at6native12_GLOBAL__N_19CustomMinEEEEE10hipError_tPvRmT0_T1_jT2_SQ_T4_T3_P12ihipStream_tbEUlT_E_NS1_11comp_targetILNS1_3genE9ELNS1_11target_archE1100ELNS1_3gpuE3ELNS1_3repE0EEENS1_30default_config_static_selectorELNS0_4arch9wavefront6targetE0EEEvSP_.kd
    .uniform_work_group_size: 1
    .uses_dynamic_stack: false
    .vgpr_count:     0
    .vgpr_spill_count: 0
    .wavefront_size: 32
    .workgroup_processor_mode: 1
  - .args:
      - .offset:         0
        .size:           48
        .value_kind:     by_value
    .group_segment_fixed_size: 32
    .kernarg_segment_align: 8
    .kernarg_segment_size: 48
    .language:       OpenCL C
    .language_version:
      - 2
      - 0
    .max_flat_workgroup_size: 256
    .name:           _ZN7rocprim17ROCPRIM_400000_NS6detail17trampoline_kernelINS0_14default_configENS1_32segmented_reduce_config_selectorIfEEZNS1_21segmented_reduce_implIS3_PKfPfPKlfN6hipcub16HIPCUB_304000_NS6detail27convert_result_type_wrapperIS8_S9_N2at6native12_GLOBAL__N_19CustomMinEEEEE10hipError_tPvRmT0_T1_jT2_SQ_T4_T3_P12ihipStream_tbEUlT_E_NS1_11comp_targetILNS1_3genE8ELNS1_11target_archE1030ELNS1_3gpuE2ELNS1_3repE0EEENS1_30default_config_static_selectorELNS0_4arch9wavefront6targetE0EEEvSP_
    .private_segment_fixed_size: 0
    .sgpr_count:     23
    .sgpr_spill_count: 0
    .symbol:         _ZN7rocprim17ROCPRIM_400000_NS6detail17trampoline_kernelINS0_14default_configENS1_32segmented_reduce_config_selectorIfEEZNS1_21segmented_reduce_implIS3_PKfPfPKlfN6hipcub16HIPCUB_304000_NS6detail27convert_result_type_wrapperIS8_S9_N2at6native12_GLOBAL__N_19CustomMinEEEEE10hipError_tPvRmT0_T1_jT2_SQ_T4_T3_P12ihipStream_tbEUlT_E_NS1_11comp_targetILNS1_3genE8ELNS1_11target_archE1030ELNS1_3gpuE2ELNS1_3repE0EEENS1_30default_config_static_selectorELNS0_4arch9wavefront6targetE0EEEvSP_.kd
    .uniform_work_group_size: 1
    .uses_dynamic_stack: false
    .vgpr_count:     33
    .vgpr_spill_count: 0
    .wavefront_size: 32
    .workgroup_processor_mode: 1
  - .args:
      - .offset:         0
        .size:           48
        .value_kind:     by_value
    .group_segment_fixed_size: 0
    .kernarg_segment_align: 8
    .kernarg_segment_size: 48
    .language:       OpenCL C
    .language_version:
      - 2
      - 0
    .max_flat_workgroup_size: 256
    .name:           _ZN7rocprim17ROCPRIM_400000_NS6detail17trampoline_kernelINS0_14default_configENS1_32segmented_reduce_config_selectorIfEEZNS1_21segmented_reduce_implIS3_PKfPfPKlfN6hipcub16HIPCUB_304000_NS6detail27convert_result_type_wrapperIS8_S9_N2at6native12_GLOBAL__N_110CustomProdEEEEE10hipError_tPvRmT0_T1_jT2_SQ_T4_T3_P12ihipStream_tbEUlT_E_NS1_11comp_targetILNS1_3genE0ELNS1_11target_archE4294967295ELNS1_3gpuE0ELNS1_3repE0EEENS1_30default_config_static_selectorELNS0_4arch9wavefront6targetE0EEEvSP_
    .private_segment_fixed_size: 0
    .sgpr_count:     0
    .sgpr_spill_count: 0
    .symbol:         _ZN7rocprim17ROCPRIM_400000_NS6detail17trampoline_kernelINS0_14default_configENS1_32segmented_reduce_config_selectorIfEEZNS1_21segmented_reduce_implIS3_PKfPfPKlfN6hipcub16HIPCUB_304000_NS6detail27convert_result_type_wrapperIS8_S9_N2at6native12_GLOBAL__N_110CustomProdEEEEE10hipError_tPvRmT0_T1_jT2_SQ_T4_T3_P12ihipStream_tbEUlT_E_NS1_11comp_targetILNS1_3genE0ELNS1_11target_archE4294967295ELNS1_3gpuE0ELNS1_3repE0EEENS1_30default_config_static_selectorELNS0_4arch9wavefront6targetE0EEEvSP_.kd
    .uniform_work_group_size: 1
    .uses_dynamic_stack: false
    .vgpr_count:     0
    .vgpr_spill_count: 0
    .wavefront_size: 32
    .workgroup_processor_mode: 1
  - .args:
      - .offset:         0
        .size:           48
        .value_kind:     by_value
    .group_segment_fixed_size: 0
    .kernarg_segment_align: 8
    .kernarg_segment_size: 48
    .language:       OpenCL C
    .language_version:
      - 2
      - 0
    .max_flat_workgroup_size: 256
    .name:           _ZN7rocprim17ROCPRIM_400000_NS6detail17trampoline_kernelINS0_14default_configENS1_32segmented_reduce_config_selectorIfEEZNS1_21segmented_reduce_implIS3_PKfPfPKlfN6hipcub16HIPCUB_304000_NS6detail27convert_result_type_wrapperIS8_S9_N2at6native12_GLOBAL__N_110CustomProdEEEEE10hipError_tPvRmT0_T1_jT2_SQ_T4_T3_P12ihipStream_tbEUlT_E_NS1_11comp_targetILNS1_3genE5ELNS1_11target_archE942ELNS1_3gpuE9ELNS1_3repE0EEENS1_30default_config_static_selectorELNS0_4arch9wavefront6targetE0EEEvSP_
    .private_segment_fixed_size: 0
    .sgpr_count:     0
    .sgpr_spill_count: 0
    .symbol:         _ZN7rocprim17ROCPRIM_400000_NS6detail17trampoline_kernelINS0_14default_configENS1_32segmented_reduce_config_selectorIfEEZNS1_21segmented_reduce_implIS3_PKfPfPKlfN6hipcub16HIPCUB_304000_NS6detail27convert_result_type_wrapperIS8_S9_N2at6native12_GLOBAL__N_110CustomProdEEEEE10hipError_tPvRmT0_T1_jT2_SQ_T4_T3_P12ihipStream_tbEUlT_E_NS1_11comp_targetILNS1_3genE5ELNS1_11target_archE942ELNS1_3gpuE9ELNS1_3repE0EEENS1_30default_config_static_selectorELNS0_4arch9wavefront6targetE0EEEvSP_.kd
    .uniform_work_group_size: 1
    .uses_dynamic_stack: false
    .vgpr_count:     0
    .vgpr_spill_count: 0
    .wavefront_size: 32
    .workgroup_processor_mode: 1
  - .args:
      - .offset:         0
        .size:           48
        .value_kind:     by_value
    .group_segment_fixed_size: 0
    .kernarg_segment_align: 8
    .kernarg_segment_size: 48
    .language:       OpenCL C
    .language_version:
      - 2
      - 0
    .max_flat_workgroup_size: 256
    .name:           _ZN7rocprim17ROCPRIM_400000_NS6detail17trampoline_kernelINS0_14default_configENS1_32segmented_reduce_config_selectorIfEEZNS1_21segmented_reduce_implIS3_PKfPfPKlfN6hipcub16HIPCUB_304000_NS6detail27convert_result_type_wrapperIS8_S9_N2at6native12_GLOBAL__N_110CustomProdEEEEE10hipError_tPvRmT0_T1_jT2_SQ_T4_T3_P12ihipStream_tbEUlT_E_NS1_11comp_targetILNS1_3genE10ELNS1_11target_archE1201ELNS1_3gpuE5ELNS1_3repE0EEENS1_30default_config_static_selectorELNS0_4arch9wavefront6targetE0EEEvSP_
    .private_segment_fixed_size: 0
    .sgpr_count:     0
    .sgpr_spill_count: 0
    .symbol:         _ZN7rocprim17ROCPRIM_400000_NS6detail17trampoline_kernelINS0_14default_configENS1_32segmented_reduce_config_selectorIfEEZNS1_21segmented_reduce_implIS3_PKfPfPKlfN6hipcub16HIPCUB_304000_NS6detail27convert_result_type_wrapperIS8_S9_N2at6native12_GLOBAL__N_110CustomProdEEEEE10hipError_tPvRmT0_T1_jT2_SQ_T4_T3_P12ihipStream_tbEUlT_E_NS1_11comp_targetILNS1_3genE10ELNS1_11target_archE1201ELNS1_3gpuE5ELNS1_3repE0EEENS1_30default_config_static_selectorELNS0_4arch9wavefront6targetE0EEEvSP_.kd
    .uniform_work_group_size: 1
    .uses_dynamic_stack: false
    .vgpr_count:     0
    .vgpr_spill_count: 0
    .wavefront_size: 32
    .workgroup_processor_mode: 1
  - .args:
      - .offset:         0
        .size:           48
        .value_kind:     by_value
    .group_segment_fixed_size: 0
    .kernarg_segment_align: 8
    .kernarg_segment_size: 48
    .language:       OpenCL C
    .language_version:
      - 2
      - 0
    .max_flat_workgroup_size: 256
    .name:           _ZN7rocprim17ROCPRIM_400000_NS6detail17trampoline_kernelINS0_14default_configENS1_32segmented_reduce_config_selectorIfEEZNS1_21segmented_reduce_implIS3_PKfPfPKlfN6hipcub16HIPCUB_304000_NS6detail27convert_result_type_wrapperIS8_S9_N2at6native12_GLOBAL__N_110CustomProdEEEEE10hipError_tPvRmT0_T1_jT2_SQ_T4_T3_P12ihipStream_tbEUlT_E_NS1_11comp_targetILNS1_3genE4ELNS1_11target_archE910ELNS1_3gpuE8ELNS1_3repE0EEENS1_30default_config_static_selectorELNS0_4arch9wavefront6targetE0EEEvSP_
    .private_segment_fixed_size: 0
    .sgpr_count:     0
    .sgpr_spill_count: 0
    .symbol:         _ZN7rocprim17ROCPRIM_400000_NS6detail17trampoline_kernelINS0_14default_configENS1_32segmented_reduce_config_selectorIfEEZNS1_21segmented_reduce_implIS3_PKfPfPKlfN6hipcub16HIPCUB_304000_NS6detail27convert_result_type_wrapperIS8_S9_N2at6native12_GLOBAL__N_110CustomProdEEEEE10hipError_tPvRmT0_T1_jT2_SQ_T4_T3_P12ihipStream_tbEUlT_E_NS1_11comp_targetILNS1_3genE4ELNS1_11target_archE910ELNS1_3gpuE8ELNS1_3repE0EEENS1_30default_config_static_selectorELNS0_4arch9wavefront6targetE0EEEvSP_.kd
    .uniform_work_group_size: 1
    .uses_dynamic_stack: false
    .vgpr_count:     0
    .vgpr_spill_count: 0
    .wavefront_size: 32
    .workgroup_processor_mode: 1
  - .args:
      - .offset:         0
        .size:           48
        .value_kind:     by_value
    .group_segment_fixed_size: 0
    .kernarg_segment_align: 8
    .kernarg_segment_size: 48
    .language:       OpenCL C
    .language_version:
      - 2
      - 0
    .max_flat_workgroup_size: 256
    .name:           _ZN7rocprim17ROCPRIM_400000_NS6detail17trampoline_kernelINS0_14default_configENS1_32segmented_reduce_config_selectorIfEEZNS1_21segmented_reduce_implIS3_PKfPfPKlfN6hipcub16HIPCUB_304000_NS6detail27convert_result_type_wrapperIS8_S9_N2at6native12_GLOBAL__N_110CustomProdEEEEE10hipError_tPvRmT0_T1_jT2_SQ_T4_T3_P12ihipStream_tbEUlT_E_NS1_11comp_targetILNS1_3genE3ELNS1_11target_archE908ELNS1_3gpuE7ELNS1_3repE0EEENS1_30default_config_static_selectorELNS0_4arch9wavefront6targetE0EEEvSP_
    .private_segment_fixed_size: 0
    .sgpr_count:     0
    .sgpr_spill_count: 0
    .symbol:         _ZN7rocprim17ROCPRIM_400000_NS6detail17trampoline_kernelINS0_14default_configENS1_32segmented_reduce_config_selectorIfEEZNS1_21segmented_reduce_implIS3_PKfPfPKlfN6hipcub16HIPCUB_304000_NS6detail27convert_result_type_wrapperIS8_S9_N2at6native12_GLOBAL__N_110CustomProdEEEEE10hipError_tPvRmT0_T1_jT2_SQ_T4_T3_P12ihipStream_tbEUlT_E_NS1_11comp_targetILNS1_3genE3ELNS1_11target_archE908ELNS1_3gpuE7ELNS1_3repE0EEENS1_30default_config_static_selectorELNS0_4arch9wavefront6targetE0EEEvSP_.kd
    .uniform_work_group_size: 1
    .uses_dynamic_stack: false
    .vgpr_count:     0
    .vgpr_spill_count: 0
    .wavefront_size: 32
    .workgroup_processor_mode: 1
  - .args:
      - .offset:         0
        .size:           48
        .value_kind:     by_value
    .group_segment_fixed_size: 0
    .kernarg_segment_align: 8
    .kernarg_segment_size: 48
    .language:       OpenCL C
    .language_version:
      - 2
      - 0
    .max_flat_workgroup_size: 256
    .name:           _ZN7rocprim17ROCPRIM_400000_NS6detail17trampoline_kernelINS0_14default_configENS1_32segmented_reduce_config_selectorIfEEZNS1_21segmented_reduce_implIS3_PKfPfPKlfN6hipcub16HIPCUB_304000_NS6detail27convert_result_type_wrapperIS8_S9_N2at6native12_GLOBAL__N_110CustomProdEEEEE10hipError_tPvRmT0_T1_jT2_SQ_T4_T3_P12ihipStream_tbEUlT_E_NS1_11comp_targetILNS1_3genE2ELNS1_11target_archE906ELNS1_3gpuE6ELNS1_3repE0EEENS1_30default_config_static_selectorELNS0_4arch9wavefront6targetE0EEEvSP_
    .private_segment_fixed_size: 0
    .sgpr_count:     0
    .sgpr_spill_count: 0
    .symbol:         _ZN7rocprim17ROCPRIM_400000_NS6detail17trampoline_kernelINS0_14default_configENS1_32segmented_reduce_config_selectorIfEEZNS1_21segmented_reduce_implIS3_PKfPfPKlfN6hipcub16HIPCUB_304000_NS6detail27convert_result_type_wrapperIS8_S9_N2at6native12_GLOBAL__N_110CustomProdEEEEE10hipError_tPvRmT0_T1_jT2_SQ_T4_T3_P12ihipStream_tbEUlT_E_NS1_11comp_targetILNS1_3genE2ELNS1_11target_archE906ELNS1_3gpuE6ELNS1_3repE0EEENS1_30default_config_static_selectorELNS0_4arch9wavefront6targetE0EEEvSP_.kd
    .uniform_work_group_size: 1
    .uses_dynamic_stack: false
    .vgpr_count:     0
    .vgpr_spill_count: 0
    .wavefront_size: 32
    .workgroup_processor_mode: 1
  - .args:
      - .offset:         0
        .size:           48
        .value_kind:     by_value
    .group_segment_fixed_size: 0
    .kernarg_segment_align: 8
    .kernarg_segment_size: 48
    .language:       OpenCL C
    .language_version:
      - 2
      - 0
    .max_flat_workgroup_size: 256
    .name:           _ZN7rocprim17ROCPRIM_400000_NS6detail17trampoline_kernelINS0_14default_configENS1_32segmented_reduce_config_selectorIfEEZNS1_21segmented_reduce_implIS3_PKfPfPKlfN6hipcub16HIPCUB_304000_NS6detail27convert_result_type_wrapperIS8_S9_N2at6native12_GLOBAL__N_110CustomProdEEEEE10hipError_tPvRmT0_T1_jT2_SQ_T4_T3_P12ihipStream_tbEUlT_E_NS1_11comp_targetILNS1_3genE9ELNS1_11target_archE1100ELNS1_3gpuE3ELNS1_3repE0EEENS1_30default_config_static_selectorELNS0_4arch9wavefront6targetE0EEEvSP_
    .private_segment_fixed_size: 0
    .sgpr_count:     0
    .sgpr_spill_count: 0
    .symbol:         _ZN7rocprim17ROCPRIM_400000_NS6detail17trampoline_kernelINS0_14default_configENS1_32segmented_reduce_config_selectorIfEEZNS1_21segmented_reduce_implIS3_PKfPfPKlfN6hipcub16HIPCUB_304000_NS6detail27convert_result_type_wrapperIS8_S9_N2at6native12_GLOBAL__N_110CustomProdEEEEE10hipError_tPvRmT0_T1_jT2_SQ_T4_T3_P12ihipStream_tbEUlT_E_NS1_11comp_targetILNS1_3genE9ELNS1_11target_archE1100ELNS1_3gpuE3ELNS1_3repE0EEENS1_30default_config_static_selectorELNS0_4arch9wavefront6targetE0EEEvSP_.kd
    .uniform_work_group_size: 1
    .uses_dynamic_stack: false
    .vgpr_count:     0
    .vgpr_spill_count: 0
    .wavefront_size: 32
    .workgroup_processor_mode: 1
  - .args:
      - .offset:         0
        .size:           48
        .value_kind:     by_value
    .group_segment_fixed_size: 32
    .kernarg_segment_align: 8
    .kernarg_segment_size: 48
    .language:       OpenCL C
    .language_version:
      - 2
      - 0
    .max_flat_workgroup_size: 256
    .name:           _ZN7rocprim17ROCPRIM_400000_NS6detail17trampoline_kernelINS0_14default_configENS1_32segmented_reduce_config_selectorIfEEZNS1_21segmented_reduce_implIS3_PKfPfPKlfN6hipcub16HIPCUB_304000_NS6detail27convert_result_type_wrapperIS8_S9_N2at6native12_GLOBAL__N_110CustomProdEEEEE10hipError_tPvRmT0_T1_jT2_SQ_T4_T3_P12ihipStream_tbEUlT_E_NS1_11comp_targetILNS1_3genE8ELNS1_11target_archE1030ELNS1_3gpuE2ELNS1_3repE0EEENS1_30default_config_static_selectorELNS0_4arch9wavefront6targetE0EEEvSP_
    .private_segment_fixed_size: 0
    .sgpr_count:     34
    .sgpr_spill_count: 0
    .symbol:         _ZN7rocprim17ROCPRIM_400000_NS6detail17trampoline_kernelINS0_14default_configENS1_32segmented_reduce_config_selectorIfEEZNS1_21segmented_reduce_implIS3_PKfPfPKlfN6hipcub16HIPCUB_304000_NS6detail27convert_result_type_wrapperIS8_S9_N2at6native12_GLOBAL__N_110CustomProdEEEEE10hipError_tPvRmT0_T1_jT2_SQ_T4_T3_P12ihipStream_tbEUlT_E_NS1_11comp_targetILNS1_3genE8ELNS1_11target_archE1030ELNS1_3gpuE2ELNS1_3repE0EEENS1_30default_config_static_selectorELNS0_4arch9wavefront6targetE0EEEvSP_.kd
    .uniform_work_group_size: 1
    .uses_dynamic_stack: false
    .vgpr_count:     23
    .vgpr_spill_count: 0
    .wavefront_size: 32
    .workgroup_processor_mode: 1
  - .args:
      - .offset:         0
        .size:           4
        .value_kind:     by_value
      - .address_space:  global
        .offset:         8
        .size:           8
        .value_kind:     global_buffer
      - .address_space:  global
        .offset:         16
        .size:           8
        .value_kind:     global_buffer
      - .address_space:  global
        .offset:         24
        .size:           8
        .value_kind:     global_buffer
      - .address_space:  global
        .offset:         32
        .size:           8
        .value_kind:     global_buffer
      - .offset:         40
        .size:           8
        .value_kind:     by_value
      - .offset:         48
        .size:           8
        .value_kind:     by_value
      - .offset:         56
        .size:           1
        .value_kind:     by_value
      - .offset:         58
        .size:           2
        .value_kind:     by_value
      - .offset:         64
        .size:           8
        .value_kind:     by_value
      - .offset:         72
        .size:           8
        .value_kind:     by_value
      - .offset:         80
        .size:           8
        .value_kind:     by_value
      - .offset:         88
        .size:           8
        .value_kind:     by_value
      - .offset:         96
        .size:           8
        .value_kind:     by_value
      - .offset:         104
        .size:           8
        .value_kind:     by_value
      - .offset:         112
        .size:           8
        .value_kind:     by_value
      - .offset:         120
        .size:           4
        .value_kind:     hidden_block_count_x
      - .offset:         124
        .size:           4
        .value_kind:     hidden_block_count_y
      - .offset:         128
        .size:           4
        .value_kind:     hidden_block_count_z
      - .offset:         132
        .size:           2
        .value_kind:     hidden_group_size_x
      - .offset:         134
        .size:           2
        .value_kind:     hidden_group_size_y
      - .offset:         136
        .size:           2
        .value_kind:     hidden_group_size_z
      - .offset:         138
        .size:           2
        .value_kind:     hidden_remainder_x
      - .offset:         140
        .size:           2
        .value_kind:     hidden_remainder_y
      - .offset:         142
        .size:           2
        .value_kind:     hidden_remainder_z
      - .offset:         160
        .size:           8
        .value_kind:     hidden_global_offset_x
      - .offset:         168
        .size:           8
        .value_kind:     hidden_global_offset_y
      - .offset:         176
        .size:           8
        .value_kind:     hidden_global_offset_z
      - .offset:         184
        .size:           2
        .value_kind:     hidden_grid_dims
    .group_segment_fixed_size: 0
    .kernarg_segment_align: 8
    .kernarg_segment_size: 376
    .language:       OpenCL C
    .language_version:
      - 2
      - 0
    .max_flat_workgroup_size: 1024
    .name:           _ZN2at6native12_GLOBAL__N_129segment_reduce_forward_kernelIN3c104HalfElEEvNS0_13ReductionTypeEPT_PKS6_PKT0_SC_llbS6_lllllll
    .private_segment_fixed_size: 0
    .sgpr_count:     44
    .sgpr_spill_count: 0
    .symbol:         _ZN2at6native12_GLOBAL__N_129segment_reduce_forward_kernelIN3c104HalfElEEvNS0_13ReductionTypeEPT_PKS6_PKT0_SC_llbS6_lllllll.kd
    .uniform_work_group_size: 1
    .uses_dynamic_stack: false
    .vgpr_count:     22
    .vgpr_spill_count: 0
    .wavefront_size: 32
    .workgroup_processor_mode: 1
  - .args:
      - .offset:         0
        .size:           48
        .value_kind:     by_value
    .group_segment_fixed_size: 0
    .kernarg_segment_align: 8
    .kernarg_segment_size: 48
    .language:       OpenCL C
    .language_version:
      - 2
      - 0
    .max_flat_workgroup_size: 256
    .name:           _ZN7rocprim17ROCPRIM_400000_NS6detail17trampoline_kernelINS0_14default_configENS1_32segmented_reduce_config_selectorIN3c104HalfEEEZNS1_21segmented_reduce_implIS3_PKS6_PS6_PKlS6_N6hipcub16HIPCUB_304000_NS6detail27convert_result_type_wrapperISA_SB_N2at6native12_GLOBAL__N_19CustomMaxEEEEE10hipError_tPvRmT0_T1_jT2_SS_T4_T3_P12ihipStream_tbEUlT_E_NS1_11comp_targetILNS1_3genE0ELNS1_11target_archE4294967295ELNS1_3gpuE0ELNS1_3repE0EEENS1_30default_config_static_selectorELNS0_4arch9wavefront6targetE0EEEvSR_
    .private_segment_fixed_size: 0
    .sgpr_count:     0
    .sgpr_spill_count: 0
    .symbol:         _ZN7rocprim17ROCPRIM_400000_NS6detail17trampoline_kernelINS0_14default_configENS1_32segmented_reduce_config_selectorIN3c104HalfEEEZNS1_21segmented_reduce_implIS3_PKS6_PS6_PKlS6_N6hipcub16HIPCUB_304000_NS6detail27convert_result_type_wrapperISA_SB_N2at6native12_GLOBAL__N_19CustomMaxEEEEE10hipError_tPvRmT0_T1_jT2_SS_T4_T3_P12ihipStream_tbEUlT_E_NS1_11comp_targetILNS1_3genE0ELNS1_11target_archE4294967295ELNS1_3gpuE0ELNS1_3repE0EEENS1_30default_config_static_selectorELNS0_4arch9wavefront6targetE0EEEvSR_.kd
    .uniform_work_group_size: 1
    .uses_dynamic_stack: false
    .vgpr_count:     0
    .vgpr_spill_count: 0
    .wavefront_size: 32
    .workgroup_processor_mode: 1
  - .args:
      - .offset:         0
        .size:           48
        .value_kind:     by_value
    .group_segment_fixed_size: 0
    .kernarg_segment_align: 8
    .kernarg_segment_size: 48
    .language:       OpenCL C
    .language_version:
      - 2
      - 0
    .max_flat_workgroup_size: 256
    .name:           _ZN7rocprim17ROCPRIM_400000_NS6detail17trampoline_kernelINS0_14default_configENS1_32segmented_reduce_config_selectorIN3c104HalfEEEZNS1_21segmented_reduce_implIS3_PKS6_PS6_PKlS6_N6hipcub16HIPCUB_304000_NS6detail27convert_result_type_wrapperISA_SB_N2at6native12_GLOBAL__N_19CustomMaxEEEEE10hipError_tPvRmT0_T1_jT2_SS_T4_T3_P12ihipStream_tbEUlT_E_NS1_11comp_targetILNS1_3genE5ELNS1_11target_archE942ELNS1_3gpuE9ELNS1_3repE0EEENS1_30default_config_static_selectorELNS0_4arch9wavefront6targetE0EEEvSR_
    .private_segment_fixed_size: 0
    .sgpr_count:     0
    .sgpr_spill_count: 0
    .symbol:         _ZN7rocprim17ROCPRIM_400000_NS6detail17trampoline_kernelINS0_14default_configENS1_32segmented_reduce_config_selectorIN3c104HalfEEEZNS1_21segmented_reduce_implIS3_PKS6_PS6_PKlS6_N6hipcub16HIPCUB_304000_NS6detail27convert_result_type_wrapperISA_SB_N2at6native12_GLOBAL__N_19CustomMaxEEEEE10hipError_tPvRmT0_T1_jT2_SS_T4_T3_P12ihipStream_tbEUlT_E_NS1_11comp_targetILNS1_3genE5ELNS1_11target_archE942ELNS1_3gpuE9ELNS1_3repE0EEENS1_30default_config_static_selectorELNS0_4arch9wavefront6targetE0EEEvSR_.kd
    .uniform_work_group_size: 1
    .uses_dynamic_stack: false
    .vgpr_count:     0
    .vgpr_spill_count: 0
    .wavefront_size: 32
    .workgroup_processor_mode: 1
  - .args:
      - .offset:         0
        .size:           48
        .value_kind:     by_value
    .group_segment_fixed_size: 0
    .kernarg_segment_align: 8
    .kernarg_segment_size: 48
    .language:       OpenCL C
    .language_version:
      - 2
      - 0
    .max_flat_workgroup_size: 256
    .name:           _ZN7rocprim17ROCPRIM_400000_NS6detail17trampoline_kernelINS0_14default_configENS1_32segmented_reduce_config_selectorIN3c104HalfEEEZNS1_21segmented_reduce_implIS3_PKS6_PS6_PKlS6_N6hipcub16HIPCUB_304000_NS6detail27convert_result_type_wrapperISA_SB_N2at6native12_GLOBAL__N_19CustomMaxEEEEE10hipError_tPvRmT0_T1_jT2_SS_T4_T3_P12ihipStream_tbEUlT_E_NS1_11comp_targetILNS1_3genE10ELNS1_11target_archE1201ELNS1_3gpuE5ELNS1_3repE0EEENS1_30default_config_static_selectorELNS0_4arch9wavefront6targetE0EEEvSR_
    .private_segment_fixed_size: 0
    .sgpr_count:     0
    .sgpr_spill_count: 0
    .symbol:         _ZN7rocprim17ROCPRIM_400000_NS6detail17trampoline_kernelINS0_14default_configENS1_32segmented_reduce_config_selectorIN3c104HalfEEEZNS1_21segmented_reduce_implIS3_PKS6_PS6_PKlS6_N6hipcub16HIPCUB_304000_NS6detail27convert_result_type_wrapperISA_SB_N2at6native12_GLOBAL__N_19CustomMaxEEEEE10hipError_tPvRmT0_T1_jT2_SS_T4_T3_P12ihipStream_tbEUlT_E_NS1_11comp_targetILNS1_3genE10ELNS1_11target_archE1201ELNS1_3gpuE5ELNS1_3repE0EEENS1_30default_config_static_selectorELNS0_4arch9wavefront6targetE0EEEvSR_.kd
    .uniform_work_group_size: 1
    .uses_dynamic_stack: false
    .vgpr_count:     0
    .vgpr_spill_count: 0
    .wavefront_size: 32
    .workgroup_processor_mode: 1
  - .args:
      - .offset:         0
        .size:           48
        .value_kind:     by_value
    .group_segment_fixed_size: 0
    .kernarg_segment_align: 8
    .kernarg_segment_size: 48
    .language:       OpenCL C
    .language_version:
      - 2
      - 0
    .max_flat_workgroup_size: 256
    .name:           _ZN7rocprim17ROCPRIM_400000_NS6detail17trampoline_kernelINS0_14default_configENS1_32segmented_reduce_config_selectorIN3c104HalfEEEZNS1_21segmented_reduce_implIS3_PKS6_PS6_PKlS6_N6hipcub16HIPCUB_304000_NS6detail27convert_result_type_wrapperISA_SB_N2at6native12_GLOBAL__N_19CustomMaxEEEEE10hipError_tPvRmT0_T1_jT2_SS_T4_T3_P12ihipStream_tbEUlT_E_NS1_11comp_targetILNS1_3genE4ELNS1_11target_archE910ELNS1_3gpuE8ELNS1_3repE0EEENS1_30default_config_static_selectorELNS0_4arch9wavefront6targetE0EEEvSR_
    .private_segment_fixed_size: 0
    .sgpr_count:     0
    .sgpr_spill_count: 0
    .symbol:         _ZN7rocprim17ROCPRIM_400000_NS6detail17trampoline_kernelINS0_14default_configENS1_32segmented_reduce_config_selectorIN3c104HalfEEEZNS1_21segmented_reduce_implIS3_PKS6_PS6_PKlS6_N6hipcub16HIPCUB_304000_NS6detail27convert_result_type_wrapperISA_SB_N2at6native12_GLOBAL__N_19CustomMaxEEEEE10hipError_tPvRmT0_T1_jT2_SS_T4_T3_P12ihipStream_tbEUlT_E_NS1_11comp_targetILNS1_3genE4ELNS1_11target_archE910ELNS1_3gpuE8ELNS1_3repE0EEENS1_30default_config_static_selectorELNS0_4arch9wavefront6targetE0EEEvSR_.kd
    .uniform_work_group_size: 1
    .uses_dynamic_stack: false
    .vgpr_count:     0
    .vgpr_spill_count: 0
    .wavefront_size: 32
    .workgroup_processor_mode: 1
  - .args:
      - .offset:         0
        .size:           48
        .value_kind:     by_value
    .group_segment_fixed_size: 0
    .kernarg_segment_align: 8
    .kernarg_segment_size: 48
    .language:       OpenCL C
    .language_version:
      - 2
      - 0
    .max_flat_workgroup_size: 256
    .name:           _ZN7rocprim17ROCPRIM_400000_NS6detail17trampoline_kernelINS0_14default_configENS1_32segmented_reduce_config_selectorIN3c104HalfEEEZNS1_21segmented_reduce_implIS3_PKS6_PS6_PKlS6_N6hipcub16HIPCUB_304000_NS6detail27convert_result_type_wrapperISA_SB_N2at6native12_GLOBAL__N_19CustomMaxEEEEE10hipError_tPvRmT0_T1_jT2_SS_T4_T3_P12ihipStream_tbEUlT_E_NS1_11comp_targetILNS1_3genE3ELNS1_11target_archE908ELNS1_3gpuE7ELNS1_3repE0EEENS1_30default_config_static_selectorELNS0_4arch9wavefront6targetE0EEEvSR_
    .private_segment_fixed_size: 0
    .sgpr_count:     0
    .sgpr_spill_count: 0
    .symbol:         _ZN7rocprim17ROCPRIM_400000_NS6detail17trampoline_kernelINS0_14default_configENS1_32segmented_reduce_config_selectorIN3c104HalfEEEZNS1_21segmented_reduce_implIS3_PKS6_PS6_PKlS6_N6hipcub16HIPCUB_304000_NS6detail27convert_result_type_wrapperISA_SB_N2at6native12_GLOBAL__N_19CustomMaxEEEEE10hipError_tPvRmT0_T1_jT2_SS_T4_T3_P12ihipStream_tbEUlT_E_NS1_11comp_targetILNS1_3genE3ELNS1_11target_archE908ELNS1_3gpuE7ELNS1_3repE0EEENS1_30default_config_static_selectorELNS0_4arch9wavefront6targetE0EEEvSR_.kd
    .uniform_work_group_size: 1
    .uses_dynamic_stack: false
    .vgpr_count:     0
    .vgpr_spill_count: 0
    .wavefront_size: 32
    .workgroup_processor_mode: 1
  - .args:
      - .offset:         0
        .size:           48
        .value_kind:     by_value
    .group_segment_fixed_size: 0
    .kernarg_segment_align: 8
    .kernarg_segment_size: 48
    .language:       OpenCL C
    .language_version:
      - 2
      - 0
    .max_flat_workgroup_size: 256
    .name:           _ZN7rocprim17ROCPRIM_400000_NS6detail17trampoline_kernelINS0_14default_configENS1_32segmented_reduce_config_selectorIN3c104HalfEEEZNS1_21segmented_reduce_implIS3_PKS6_PS6_PKlS6_N6hipcub16HIPCUB_304000_NS6detail27convert_result_type_wrapperISA_SB_N2at6native12_GLOBAL__N_19CustomMaxEEEEE10hipError_tPvRmT0_T1_jT2_SS_T4_T3_P12ihipStream_tbEUlT_E_NS1_11comp_targetILNS1_3genE2ELNS1_11target_archE906ELNS1_3gpuE6ELNS1_3repE0EEENS1_30default_config_static_selectorELNS0_4arch9wavefront6targetE0EEEvSR_
    .private_segment_fixed_size: 0
    .sgpr_count:     0
    .sgpr_spill_count: 0
    .symbol:         _ZN7rocprim17ROCPRIM_400000_NS6detail17trampoline_kernelINS0_14default_configENS1_32segmented_reduce_config_selectorIN3c104HalfEEEZNS1_21segmented_reduce_implIS3_PKS6_PS6_PKlS6_N6hipcub16HIPCUB_304000_NS6detail27convert_result_type_wrapperISA_SB_N2at6native12_GLOBAL__N_19CustomMaxEEEEE10hipError_tPvRmT0_T1_jT2_SS_T4_T3_P12ihipStream_tbEUlT_E_NS1_11comp_targetILNS1_3genE2ELNS1_11target_archE906ELNS1_3gpuE6ELNS1_3repE0EEENS1_30default_config_static_selectorELNS0_4arch9wavefront6targetE0EEEvSR_.kd
    .uniform_work_group_size: 1
    .uses_dynamic_stack: false
    .vgpr_count:     0
    .vgpr_spill_count: 0
    .wavefront_size: 32
    .workgroup_processor_mode: 1
  - .args:
      - .offset:         0
        .size:           48
        .value_kind:     by_value
    .group_segment_fixed_size: 0
    .kernarg_segment_align: 8
    .kernarg_segment_size: 48
    .language:       OpenCL C
    .language_version:
      - 2
      - 0
    .max_flat_workgroup_size: 256
    .name:           _ZN7rocprim17ROCPRIM_400000_NS6detail17trampoline_kernelINS0_14default_configENS1_32segmented_reduce_config_selectorIN3c104HalfEEEZNS1_21segmented_reduce_implIS3_PKS6_PS6_PKlS6_N6hipcub16HIPCUB_304000_NS6detail27convert_result_type_wrapperISA_SB_N2at6native12_GLOBAL__N_19CustomMaxEEEEE10hipError_tPvRmT0_T1_jT2_SS_T4_T3_P12ihipStream_tbEUlT_E_NS1_11comp_targetILNS1_3genE9ELNS1_11target_archE1100ELNS1_3gpuE3ELNS1_3repE0EEENS1_30default_config_static_selectorELNS0_4arch9wavefront6targetE0EEEvSR_
    .private_segment_fixed_size: 0
    .sgpr_count:     0
    .sgpr_spill_count: 0
    .symbol:         _ZN7rocprim17ROCPRIM_400000_NS6detail17trampoline_kernelINS0_14default_configENS1_32segmented_reduce_config_selectorIN3c104HalfEEEZNS1_21segmented_reduce_implIS3_PKS6_PS6_PKlS6_N6hipcub16HIPCUB_304000_NS6detail27convert_result_type_wrapperISA_SB_N2at6native12_GLOBAL__N_19CustomMaxEEEEE10hipError_tPvRmT0_T1_jT2_SS_T4_T3_P12ihipStream_tbEUlT_E_NS1_11comp_targetILNS1_3genE9ELNS1_11target_archE1100ELNS1_3gpuE3ELNS1_3repE0EEENS1_30default_config_static_selectorELNS0_4arch9wavefront6targetE0EEEvSR_.kd
    .uniform_work_group_size: 1
    .uses_dynamic_stack: false
    .vgpr_count:     0
    .vgpr_spill_count: 0
    .wavefront_size: 32
    .workgroup_processor_mode: 1
  - .args:
      - .offset:         0
        .size:           48
        .value_kind:     by_value
    .group_segment_fixed_size: 16
    .kernarg_segment_align: 8
    .kernarg_segment_size: 48
    .language:       OpenCL C
    .language_version:
      - 2
      - 0
    .max_flat_workgroup_size: 256
    .name:           _ZN7rocprim17ROCPRIM_400000_NS6detail17trampoline_kernelINS0_14default_configENS1_32segmented_reduce_config_selectorIN3c104HalfEEEZNS1_21segmented_reduce_implIS3_PKS6_PS6_PKlS6_N6hipcub16HIPCUB_304000_NS6detail27convert_result_type_wrapperISA_SB_N2at6native12_GLOBAL__N_19CustomMaxEEEEE10hipError_tPvRmT0_T1_jT2_SS_T4_T3_P12ihipStream_tbEUlT_E_NS1_11comp_targetILNS1_3genE8ELNS1_11target_archE1030ELNS1_3gpuE2ELNS1_3repE0EEENS1_30default_config_static_selectorELNS0_4arch9wavefront6targetE0EEEvSR_
    .private_segment_fixed_size: 0
    .sgpr_count:     27
    .sgpr_spill_count: 0
    .symbol:         _ZN7rocprim17ROCPRIM_400000_NS6detail17trampoline_kernelINS0_14default_configENS1_32segmented_reduce_config_selectorIN3c104HalfEEEZNS1_21segmented_reduce_implIS3_PKS6_PS6_PKlS6_N6hipcub16HIPCUB_304000_NS6detail27convert_result_type_wrapperISA_SB_N2at6native12_GLOBAL__N_19CustomMaxEEEEE10hipError_tPvRmT0_T1_jT2_SS_T4_T3_P12ihipStream_tbEUlT_E_NS1_11comp_targetILNS1_3genE8ELNS1_11target_archE1030ELNS1_3gpuE2ELNS1_3repE0EEENS1_30default_config_static_selectorELNS0_4arch9wavefront6targetE0EEEvSR_.kd
    .uniform_work_group_size: 1
    .uses_dynamic_stack: false
    .vgpr_count:     15
    .vgpr_spill_count: 0
    .wavefront_size: 32
    .workgroup_processor_mode: 1
  - .args:
      - .offset:         0
        .size:           48
        .value_kind:     by_value
    .group_segment_fixed_size: 0
    .kernarg_segment_align: 8
    .kernarg_segment_size: 48
    .language:       OpenCL C
    .language_version:
      - 2
      - 0
    .max_flat_workgroup_size: 256
    .name:           _ZN7rocprim17ROCPRIM_400000_NS6detail17trampoline_kernelINS0_14default_configENS1_32segmented_reduce_config_selectorIN3c104HalfEEEZNS1_21segmented_reduce_implIS3_PKS6_PS6_PKlS6_N6hipcub16HIPCUB_304000_NS6detail27convert_result_type_wrapperISA_SB_N2at6native12_GLOBAL__N_19CustomSumEEEEE10hipError_tPvRmT0_T1_jT2_SS_T4_T3_P12ihipStream_tbEUlT_E_NS1_11comp_targetILNS1_3genE0ELNS1_11target_archE4294967295ELNS1_3gpuE0ELNS1_3repE0EEENS1_30default_config_static_selectorELNS0_4arch9wavefront6targetE0EEEvSR_
    .private_segment_fixed_size: 0
    .sgpr_count:     0
    .sgpr_spill_count: 0
    .symbol:         _ZN7rocprim17ROCPRIM_400000_NS6detail17trampoline_kernelINS0_14default_configENS1_32segmented_reduce_config_selectorIN3c104HalfEEEZNS1_21segmented_reduce_implIS3_PKS6_PS6_PKlS6_N6hipcub16HIPCUB_304000_NS6detail27convert_result_type_wrapperISA_SB_N2at6native12_GLOBAL__N_19CustomSumEEEEE10hipError_tPvRmT0_T1_jT2_SS_T4_T3_P12ihipStream_tbEUlT_E_NS1_11comp_targetILNS1_3genE0ELNS1_11target_archE4294967295ELNS1_3gpuE0ELNS1_3repE0EEENS1_30default_config_static_selectorELNS0_4arch9wavefront6targetE0EEEvSR_.kd
    .uniform_work_group_size: 1
    .uses_dynamic_stack: false
    .vgpr_count:     0
    .vgpr_spill_count: 0
    .wavefront_size: 32
    .workgroup_processor_mode: 1
  - .args:
      - .offset:         0
        .size:           48
        .value_kind:     by_value
    .group_segment_fixed_size: 0
    .kernarg_segment_align: 8
    .kernarg_segment_size: 48
    .language:       OpenCL C
    .language_version:
      - 2
      - 0
    .max_flat_workgroup_size: 256
    .name:           _ZN7rocprim17ROCPRIM_400000_NS6detail17trampoline_kernelINS0_14default_configENS1_32segmented_reduce_config_selectorIN3c104HalfEEEZNS1_21segmented_reduce_implIS3_PKS6_PS6_PKlS6_N6hipcub16HIPCUB_304000_NS6detail27convert_result_type_wrapperISA_SB_N2at6native12_GLOBAL__N_19CustomSumEEEEE10hipError_tPvRmT0_T1_jT2_SS_T4_T3_P12ihipStream_tbEUlT_E_NS1_11comp_targetILNS1_3genE5ELNS1_11target_archE942ELNS1_3gpuE9ELNS1_3repE0EEENS1_30default_config_static_selectorELNS0_4arch9wavefront6targetE0EEEvSR_
    .private_segment_fixed_size: 0
    .sgpr_count:     0
    .sgpr_spill_count: 0
    .symbol:         _ZN7rocprim17ROCPRIM_400000_NS6detail17trampoline_kernelINS0_14default_configENS1_32segmented_reduce_config_selectorIN3c104HalfEEEZNS1_21segmented_reduce_implIS3_PKS6_PS6_PKlS6_N6hipcub16HIPCUB_304000_NS6detail27convert_result_type_wrapperISA_SB_N2at6native12_GLOBAL__N_19CustomSumEEEEE10hipError_tPvRmT0_T1_jT2_SS_T4_T3_P12ihipStream_tbEUlT_E_NS1_11comp_targetILNS1_3genE5ELNS1_11target_archE942ELNS1_3gpuE9ELNS1_3repE0EEENS1_30default_config_static_selectorELNS0_4arch9wavefront6targetE0EEEvSR_.kd
    .uniform_work_group_size: 1
    .uses_dynamic_stack: false
    .vgpr_count:     0
    .vgpr_spill_count: 0
    .wavefront_size: 32
    .workgroup_processor_mode: 1
  - .args:
      - .offset:         0
        .size:           48
        .value_kind:     by_value
    .group_segment_fixed_size: 0
    .kernarg_segment_align: 8
    .kernarg_segment_size: 48
    .language:       OpenCL C
    .language_version:
      - 2
      - 0
    .max_flat_workgroup_size: 256
    .name:           _ZN7rocprim17ROCPRIM_400000_NS6detail17trampoline_kernelINS0_14default_configENS1_32segmented_reduce_config_selectorIN3c104HalfEEEZNS1_21segmented_reduce_implIS3_PKS6_PS6_PKlS6_N6hipcub16HIPCUB_304000_NS6detail27convert_result_type_wrapperISA_SB_N2at6native12_GLOBAL__N_19CustomSumEEEEE10hipError_tPvRmT0_T1_jT2_SS_T4_T3_P12ihipStream_tbEUlT_E_NS1_11comp_targetILNS1_3genE10ELNS1_11target_archE1201ELNS1_3gpuE5ELNS1_3repE0EEENS1_30default_config_static_selectorELNS0_4arch9wavefront6targetE0EEEvSR_
    .private_segment_fixed_size: 0
    .sgpr_count:     0
    .sgpr_spill_count: 0
    .symbol:         _ZN7rocprim17ROCPRIM_400000_NS6detail17trampoline_kernelINS0_14default_configENS1_32segmented_reduce_config_selectorIN3c104HalfEEEZNS1_21segmented_reduce_implIS3_PKS6_PS6_PKlS6_N6hipcub16HIPCUB_304000_NS6detail27convert_result_type_wrapperISA_SB_N2at6native12_GLOBAL__N_19CustomSumEEEEE10hipError_tPvRmT0_T1_jT2_SS_T4_T3_P12ihipStream_tbEUlT_E_NS1_11comp_targetILNS1_3genE10ELNS1_11target_archE1201ELNS1_3gpuE5ELNS1_3repE0EEENS1_30default_config_static_selectorELNS0_4arch9wavefront6targetE0EEEvSR_.kd
    .uniform_work_group_size: 1
    .uses_dynamic_stack: false
    .vgpr_count:     0
    .vgpr_spill_count: 0
    .wavefront_size: 32
    .workgroup_processor_mode: 1
  - .args:
      - .offset:         0
        .size:           48
        .value_kind:     by_value
    .group_segment_fixed_size: 0
    .kernarg_segment_align: 8
    .kernarg_segment_size: 48
    .language:       OpenCL C
    .language_version:
      - 2
      - 0
    .max_flat_workgroup_size: 256
    .name:           _ZN7rocprim17ROCPRIM_400000_NS6detail17trampoline_kernelINS0_14default_configENS1_32segmented_reduce_config_selectorIN3c104HalfEEEZNS1_21segmented_reduce_implIS3_PKS6_PS6_PKlS6_N6hipcub16HIPCUB_304000_NS6detail27convert_result_type_wrapperISA_SB_N2at6native12_GLOBAL__N_19CustomSumEEEEE10hipError_tPvRmT0_T1_jT2_SS_T4_T3_P12ihipStream_tbEUlT_E_NS1_11comp_targetILNS1_3genE4ELNS1_11target_archE910ELNS1_3gpuE8ELNS1_3repE0EEENS1_30default_config_static_selectorELNS0_4arch9wavefront6targetE0EEEvSR_
    .private_segment_fixed_size: 0
    .sgpr_count:     0
    .sgpr_spill_count: 0
    .symbol:         _ZN7rocprim17ROCPRIM_400000_NS6detail17trampoline_kernelINS0_14default_configENS1_32segmented_reduce_config_selectorIN3c104HalfEEEZNS1_21segmented_reduce_implIS3_PKS6_PS6_PKlS6_N6hipcub16HIPCUB_304000_NS6detail27convert_result_type_wrapperISA_SB_N2at6native12_GLOBAL__N_19CustomSumEEEEE10hipError_tPvRmT0_T1_jT2_SS_T4_T3_P12ihipStream_tbEUlT_E_NS1_11comp_targetILNS1_3genE4ELNS1_11target_archE910ELNS1_3gpuE8ELNS1_3repE0EEENS1_30default_config_static_selectorELNS0_4arch9wavefront6targetE0EEEvSR_.kd
    .uniform_work_group_size: 1
    .uses_dynamic_stack: false
    .vgpr_count:     0
    .vgpr_spill_count: 0
    .wavefront_size: 32
    .workgroup_processor_mode: 1
  - .args:
      - .offset:         0
        .size:           48
        .value_kind:     by_value
    .group_segment_fixed_size: 0
    .kernarg_segment_align: 8
    .kernarg_segment_size: 48
    .language:       OpenCL C
    .language_version:
      - 2
      - 0
    .max_flat_workgroup_size: 256
    .name:           _ZN7rocprim17ROCPRIM_400000_NS6detail17trampoline_kernelINS0_14default_configENS1_32segmented_reduce_config_selectorIN3c104HalfEEEZNS1_21segmented_reduce_implIS3_PKS6_PS6_PKlS6_N6hipcub16HIPCUB_304000_NS6detail27convert_result_type_wrapperISA_SB_N2at6native12_GLOBAL__N_19CustomSumEEEEE10hipError_tPvRmT0_T1_jT2_SS_T4_T3_P12ihipStream_tbEUlT_E_NS1_11comp_targetILNS1_3genE3ELNS1_11target_archE908ELNS1_3gpuE7ELNS1_3repE0EEENS1_30default_config_static_selectorELNS0_4arch9wavefront6targetE0EEEvSR_
    .private_segment_fixed_size: 0
    .sgpr_count:     0
    .sgpr_spill_count: 0
    .symbol:         _ZN7rocprim17ROCPRIM_400000_NS6detail17trampoline_kernelINS0_14default_configENS1_32segmented_reduce_config_selectorIN3c104HalfEEEZNS1_21segmented_reduce_implIS3_PKS6_PS6_PKlS6_N6hipcub16HIPCUB_304000_NS6detail27convert_result_type_wrapperISA_SB_N2at6native12_GLOBAL__N_19CustomSumEEEEE10hipError_tPvRmT0_T1_jT2_SS_T4_T3_P12ihipStream_tbEUlT_E_NS1_11comp_targetILNS1_3genE3ELNS1_11target_archE908ELNS1_3gpuE7ELNS1_3repE0EEENS1_30default_config_static_selectorELNS0_4arch9wavefront6targetE0EEEvSR_.kd
    .uniform_work_group_size: 1
    .uses_dynamic_stack: false
    .vgpr_count:     0
    .vgpr_spill_count: 0
    .wavefront_size: 32
    .workgroup_processor_mode: 1
  - .args:
      - .offset:         0
        .size:           48
        .value_kind:     by_value
    .group_segment_fixed_size: 0
    .kernarg_segment_align: 8
    .kernarg_segment_size: 48
    .language:       OpenCL C
    .language_version:
      - 2
      - 0
    .max_flat_workgroup_size: 256
    .name:           _ZN7rocprim17ROCPRIM_400000_NS6detail17trampoline_kernelINS0_14default_configENS1_32segmented_reduce_config_selectorIN3c104HalfEEEZNS1_21segmented_reduce_implIS3_PKS6_PS6_PKlS6_N6hipcub16HIPCUB_304000_NS6detail27convert_result_type_wrapperISA_SB_N2at6native12_GLOBAL__N_19CustomSumEEEEE10hipError_tPvRmT0_T1_jT2_SS_T4_T3_P12ihipStream_tbEUlT_E_NS1_11comp_targetILNS1_3genE2ELNS1_11target_archE906ELNS1_3gpuE6ELNS1_3repE0EEENS1_30default_config_static_selectorELNS0_4arch9wavefront6targetE0EEEvSR_
    .private_segment_fixed_size: 0
    .sgpr_count:     0
    .sgpr_spill_count: 0
    .symbol:         _ZN7rocprim17ROCPRIM_400000_NS6detail17trampoline_kernelINS0_14default_configENS1_32segmented_reduce_config_selectorIN3c104HalfEEEZNS1_21segmented_reduce_implIS3_PKS6_PS6_PKlS6_N6hipcub16HIPCUB_304000_NS6detail27convert_result_type_wrapperISA_SB_N2at6native12_GLOBAL__N_19CustomSumEEEEE10hipError_tPvRmT0_T1_jT2_SS_T4_T3_P12ihipStream_tbEUlT_E_NS1_11comp_targetILNS1_3genE2ELNS1_11target_archE906ELNS1_3gpuE6ELNS1_3repE0EEENS1_30default_config_static_selectorELNS0_4arch9wavefront6targetE0EEEvSR_.kd
    .uniform_work_group_size: 1
    .uses_dynamic_stack: false
    .vgpr_count:     0
    .vgpr_spill_count: 0
    .wavefront_size: 32
    .workgroup_processor_mode: 1
  - .args:
      - .offset:         0
        .size:           48
        .value_kind:     by_value
    .group_segment_fixed_size: 0
    .kernarg_segment_align: 8
    .kernarg_segment_size: 48
    .language:       OpenCL C
    .language_version:
      - 2
      - 0
    .max_flat_workgroup_size: 256
    .name:           _ZN7rocprim17ROCPRIM_400000_NS6detail17trampoline_kernelINS0_14default_configENS1_32segmented_reduce_config_selectorIN3c104HalfEEEZNS1_21segmented_reduce_implIS3_PKS6_PS6_PKlS6_N6hipcub16HIPCUB_304000_NS6detail27convert_result_type_wrapperISA_SB_N2at6native12_GLOBAL__N_19CustomSumEEEEE10hipError_tPvRmT0_T1_jT2_SS_T4_T3_P12ihipStream_tbEUlT_E_NS1_11comp_targetILNS1_3genE9ELNS1_11target_archE1100ELNS1_3gpuE3ELNS1_3repE0EEENS1_30default_config_static_selectorELNS0_4arch9wavefront6targetE0EEEvSR_
    .private_segment_fixed_size: 0
    .sgpr_count:     0
    .sgpr_spill_count: 0
    .symbol:         _ZN7rocprim17ROCPRIM_400000_NS6detail17trampoline_kernelINS0_14default_configENS1_32segmented_reduce_config_selectorIN3c104HalfEEEZNS1_21segmented_reduce_implIS3_PKS6_PS6_PKlS6_N6hipcub16HIPCUB_304000_NS6detail27convert_result_type_wrapperISA_SB_N2at6native12_GLOBAL__N_19CustomSumEEEEE10hipError_tPvRmT0_T1_jT2_SS_T4_T3_P12ihipStream_tbEUlT_E_NS1_11comp_targetILNS1_3genE9ELNS1_11target_archE1100ELNS1_3gpuE3ELNS1_3repE0EEENS1_30default_config_static_selectorELNS0_4arch9wavefront6targetE0EEEvSR_.kd
    .uniform_work_group_size: 1
    .uses_dynamic_stack: false
    .vgpr_count:     0
    .vgpr_spill_count: 0
    .wavefront_size: 32
    .workgroup_processor_mode: 1
  - .args:
      - .offset:         0
        .size:           48
        .value_kind:     by_value
    .group_segment_fixed_size: 16
    .kernarg_segment_align: 8
    .kernarg_segment_size: 48
    .language:       OpenCL C
    .language_version:
      - 2
      - 0
    .max_flat_workgroup_size: 256
    .name:           _ZN7rocprim17ROCPRIM_400000_NS6detail17trampoline_kernelINS0_14default_configENS1_32segmented_reduce_config_selectorIN3c104HalfEEEZNS1_21segmented_reduce_implIS3_PKS6_PS6_PKlS6_N6hipcub16HIPCUB_304000_NS6detail27convert_result_type_wrapperISA_SB_N2at6native12_GLOBAL__N_19CustomSumEEEEE10hipError_tPvRmT0_T1_jT2_SS_T4_T3_P12ihipStream_tbEUlT_E_NS1_11comp_targetILNS1_3genE8ELNS1_11target_archE1030ELNS1_3gpuE2ELNS1_3repE0EEENS1_30default_config_static_selectorELNS0_4arch9wavefront6targetE0EEEvSR_
    .private_segment_fixed_size: 0
    .sgpr_count:     24
    .sgpr_spill_count: 0
    .symbol:         _ZN7rocprim17ROCPRIM_400000_NS6detail17trampoline_kernelINS0_14default_configENS1_32segmented_reduce_config_selectorIN3c104HalfEEEZNS1_21segmented_reduce_implIS3_PKS6_PS6_PKlS6_N6hipcub16HIPCUB_304000_NS6detail27convert_result_type_wrapperISA_SB_N2at6native12_GLOBAL__N_19CustomSumEEEEE10hipError_tPvRmT0_T1_jT2_SS_T4_T3_P12ihipStream_tbEUlT_E_NS1_11comp_targetILNS1_3genE8ELNS1_11target_archE1030ELNS1_3gpuE2ELNS1_3repE0EEENS1_30default_config_static_selectorELNS0_4arch9wavefront6targetE0EEEvSR_.kd
    .uniform_work_group_size: 1
    .uses_dynamic_stack: false
    .vgpr_count:     15
    .vgpr_spill_count: 0
    .wavefront_size: 32
    .workgroup_processor_mode: 1
  - .args:
      - .address_space:  global
        .offset:         0
        .size:           8
        .value_kind:     global_buffer
      - .address_space:  global
        .offset:         8
        .size:           8
        .value_kind:     global_buffer
      - .offset:         16
        .size:           8
        .value_kind:     by_value
      - .offset:         24
        .size:           1
        .value_kind:     by_value
      - .offset:         26
        .size:           2
        .value_kind:     by_value
      - .offset:         32
        .size:           4
        .value_kind:     hidden_block_count_x
      - .offset:         36
        .size:           4
        .value_kind:     hidden_block_count_y
      - .offset:         40
        .size:           4
        .value_kind:     hidden_block_count_z
      - .offset:         44
        .size:           2
        .value_kind:     hidden_group_size_x
      - .offset:         46
        .size:           2
        .value_kind:     hidden_group_size_y
      - .offset:         48
        .size:           2
        .value_kind:     hidden_group_size_z
      - .offset:         50
        .size:           2
        .value_kind:     hidden_remainder_x
      - .offset:         52
        .size:           2
        .value_kind:     hidden_remainder_y
      - .offset:         54
        .size:           2
        .value_kind:     hidden_remainder_z
      - .offset:         72
        .size:           8
        .value_kind:     hidden_global_offset_x
      - .offset:         80
        .size:           8
        .value_kind:     hidden_global_offset_y
      - .offset:         88
        .size:           8
        .value_kind:     hidden_global_offset_z
      - .offset:         96
        .size:           2
        .value_kind:     hidden_grid_dims
    .group_segment_fixed_size: 0
    .kernarg_segment_align: 8
    .kernarg_segment_size: 288
    .language:       OpenCL C
    .language_version:
      - 2
      - 0
    .max_flat_workgroup_size: 1024
    .name:           _ZN2at6native12_GLOBAL__N_119post_sum_div_kernelIN3c104HalfElEEvPT_PKT0_lbS5_
    .private_segment_fixed_size: 0
    .sgpr_count:     19
    .sgpr_spill_count: 0
    .symbol:         _ZN2at6native12_GLOBAL__N_119post_sum_div_kernelIN3c104HalfElEEvPT_PKT0_lbS5_.kd
    .uniform_work_group_size: 1
    .uses_dynamic_stack: false
    .vgpr_count:     12
    .vgpr_spill_count: 0
    .wavefront_size: 32
    .workgroup_processor_mode: 1
  - .args:
      - .offset:         0
        .size:           48
        .value_kind:     by_value
    .group_segment_fixed_size: 0
    .kernarg_segment_align: 8
    .kernarg_segment_size: 48
    .language:       OpenCL C
    .language_version:
      - 2
      - 0
    .max_flat_workgroup_size: 256
    .name:           _ZN7rocprim17ROCPRIM_400000_NS6detail17trampoline_kernelINS0_14default_configENS1_32segmented_reduce_config_selectorIN3c104HalfEEEZNS1_21segmented_reduce_implIS3_PKS6_PS6_PKlS6_N6hipcub16HIPCUB_304000_NS6detail27convert_result_type_wrapperISA_SB_N2at6native12_GLOBAL__N_19CustomMinEEEEE10hipError_tPvRmT0_T1_jT2_SS_T4_T3_P12ihipStream_tbEUlT_E_NS1_11comp_targetILNS1_3genE0ELNS1_11target_archE4294967295ELNS1_3gpuE0ELNS1_3repE0EEENS1_30default_config_static_selectorELNS0_4arch9wavefront6targetE0EEEvSR_
    .private_segment_fixed_size: 0
    .sgpr_count:     0
    .sgpr_spill_count: 0
    .symbol:         _ZN7rocprim17ROCPRIM_400000_NS6detail17trampoline_kernelINS0_14default_configENS1_32segmented_reduce_config_selectorIN3c104HalfEEEZNS1_21segmented_reduce_implIS3_PKS6_PS6_PKlS6_N6hipcub16HIPCUB_304000_NS6detail27convert_result_type_wrapperISA_SB_N2at6native12_GLOBAL__N_19CustomMinEEEEE10hipError_tPvRmT0_T1_jT2_SS_T4_T3_P12ihipStream_tbEUlT_E_NS1_11comp_targetILNS1_3genE0ELNS1_11target_archE4294967295ELNS1_3gpuE0ELNS1_3repE0EEENS1_30default_config_static_selectorELNS0_4arch9wavefront6targetE0EEEvSR_.kd
    .uniform_work_group_size: 1
    .uses_dynamic_stack: false
    .vgpr_count:     0
    .vgpr_spill_count: 0
    .wavefront_size: 32
    .workgroup_processor_mode: 1
  - .args:
      - .offset:         0
        .size:           48
        .value_kind:     by_value
    .group_segment_fixed_size: 0
    .kernarg_segment_align: 8
    .kernarg_segment_size: 48
    .language:       OpenCL C
    .language_version:
      - 2
      - 0
    .max_flat_workgroup_size: 256
    .name:           _ZN7rocprim17ROCPRIM_400000_NS6detail17trampoline_kernelINS0_14default_configENS1_32segmented_reduce_config_selectorIN3c104HalfEEEZNS1_21segmented_reduce_implIS3_PKS6_PS6_PKlS6_N6hipcub16HIPCUB_304000_NS6detail27convert_result_type_wrapperISA_SB_N2at6native12_GLOBAL__N_19CustomMinEEEEE10hipError_tPvRmT0_T1_jT2_SS_T4_T3_P12ihipStream_tbEUlT_E_NS1_11comp_targetILNS1_3genE5ELNS1_11target_archE942ELNS1_3gpuE9ELNS1_3repE0EEENS1_30default_config_static_selectorELNS0_4arch9wavefront6targetE0EEEvSR_
    .private_segment_fixed_size: 0
    .sgpr_count:     0
    .sgpr_spill_count: 0
    .symbol:         _ZN7rocprim17ROCPRIM_400000_NS6detail17trampoline_kernelINS0_14default_configENS1_32segmented_reduce_config_selectorIN3c104HalfEEEZNS1_21segmented_reduce_implIS3_PKS6_PS6_PKlS6_N6hipcub16HIPCUB_304000_NS6detail27convert_result_type_wrapperISA_SB_N2at6native12_GLOBAL__N_19CustomMinEEEEE10hipError_tPvRmT0_T1_jT2_SS_T4_T3_P12ihipStream_tbEUlT_E_NS1_11comp_targetILNS1_3genE5ELNS1_11target_archE942ELNS1_3gpuE9ELNS1_3repE0EEENS1_30default_config_static_selectorELNS0_4arch9wavefront6targetE0EEEvSR_.kd
    .uniform_work_group_size: 1
    .uses_dynamic_stack: false
    .vgpr_count:     0
    .vgpr_spill_count: 0
    .wavefront_size: 32
    .workgroup_processor_mode: 1
  - .args:
      - .offset:         0
        .size:           48
        .value_kind:     by_value
    .group_segment_fixed_size: 0
    .kernarg_segment_align: 8
    .kernarg_segment_size: 48
    .language:       OpenCL C
    .language_version:
      - 2
      - 0
    .max_flat_workgroup_size: 256
    .name:           _ZN7rocprim17ROCPRIM_400000_NS6detail17trampoline_kernelINS0_14default_configENS1_32segmented_reduce_config_selectorIN3c104HalfEEEZNS1_21segmented_reduce_implIS3_PKS6_PS6_PKlS6_N6hipcub16HIPCUB_304000_NS6detail27convert_result_type_wrapperISA_SB_N2at6native12_GLOBAL__N_19CustomMinEEEEE10hipError_tPvRmT0_T1_jT2_SS_T4_T3_P12ihipStream_tbEUlT_E_NS1_11comp_targetILNS1_3genE10ELNS1_11target_archE1201ELNS1_3gpuE5ELNS1_3repE0EEENS1_30default_config_static_selectorELNS0_4arch9wavefront6targetE0EEEvSR_
    .private_segment_fixed_size: 0
    .sgpr_count:     0
    .sgpr_spill_count: 0
    .symbol:         _ZN7rocprim17ROCPRIM_400000_NS6detail17trampoline_kernelINS0_14default_configENS1_32segmented_reduce_config_selectorIN3c104HalfEEEZNS1_21segmented_reduce_implIS3_PKS6_PS6_PKlS6_N6hipcub16HIPCUB_304000_NS6detail27convert_result_type_wrapperISA_SB_N2at6native12_GLOBAL__N_19CustomMinEEEEE10hipError_tPvRmT0_T1_jT2_SS_T4_T3_P12ihipStream_tbEUlT_E_NS1_11comp_targetILNS1_3genE10ELNS1_11target_archE1201ELNS1_3gpuE5ELNS1_3repE0EEENS1_30default_config_static_selectorELNS0_4arch9wavefront6targetE0EEEvSR_.kd
    .uniform_work_group_size: 1
    .uses_dynamic_stack: false
    .vgpr_count:     0
    .vgpr_spill_count: 0
    .wavefront_size: 32
    .workgroup_processor_mode: 1
  - .args:
      - .offset:         0
        .size:           48
        .value_kind:     by_value
    .group_segment_fixed_size: 0
    .kernarg_segment_align: 8
    .kernarg_segment_size: 48
    .language:       OpenCL C
    .language_version:
      - 2
      - 0
    .max_flat_workgroup_size: 256
    .name:           _ZN7rocprim17ROCPRIM_400000_NS6detail17trampoline_kernelINS0_14default_configENS1_32segmented_reduce_config_selectorIN3c104HalfEEEZNS1_21segmented_reduce_implIS3_PKS6_PS6_PKlS6_N6hipcub16HIPCUB_304000_NS6detail27convert_result_type_wrapperISA_SB_N2at6native12_GLOBAL__N_19CustomMinEEEEE10hipError_tPvRmT0_T1_jT2_SS_T4_T3_P12ihipStream_tbEUlT_E_NS1_11comp_targetILNS1_3genE4ELNS1_11target_archE910ELNS1_3gpuE8ELNS1_3repE0EEENS1_30default_config_static_selectorELNS0_4arch9wavefront6targetE0EEEvSR_
    .private_segment_fixed_size: 0
    .sgpr_count:     0
    .sgpr_spill_count: 0
    .symbol:         _ZN7rocprim17ROCPRIM_400000_NS6detail17trampoline_kernelINS0_14default_configENS1_32segmented_reduce_config_selectorIN3c104HalfEEEZNS1_21segmented_reduce_implIS3_PKS6_PS6_PKlS6_N6hipcub16HIPCUB_304000_NS6detail27convert_result_type_wrapperISA_SB_N2at6native12_GLOBAL__N_19CustomMinEEEEE10hipError_tPvRmT0_T1_jT2_SS_T4_T3_P12ihipStream_tbEUlT_E_NS1_11comp_targetILNS1_3genE4ELNS1_11target_archE910ELNS1_3gpuE8ELNS1_3repE0EEENS1_30default_config_static_selectorELNS0_4arch9wavefront6targetE0EEEvSR_.kd
    .uniform_work_group_size: 1
    .uses_dynamic_stack: false
    .vgpr_count:     0
    .vgpr_spill_count: 0
    .wavefront_size: 32
    .workgroup_processor_mode: 1
  - .args:
      - .offset:         0
        .size:           48
        .value_kind:     by_value
    .group_segment_fixed_size: 0
    .kernarg_segment_align: 8
    .kernarg_segment_size: 48
    .language:       OpenCL C
    .language_version:
      - 2
      - 0
    .max_flat_workgroup_size: 256
    .name:           _ZN7rocprim17ROCPRIM_400000_NS6detail17trampoline_kernelINS0_14default_configENS1_32segmented_reduce_config_selectorIN3c104HalfEEEZNS1_21segmented_reduce_implIS3_PKS6_PS6_PKlS6_N6hipcub16HIPCUB_304000_NS6detail27convert_result_type_wrapperISA_SB_N2at6native12_GLOBAL__N_19CustomMinEEEEE10hipError_tPvRmT0_T1_jT2_SS_T4_T3_P12ihipStream_tbEUlT_E_NS1_11comp_targetILNS1_3genE3ELNS1_11target_archE908ELNS1_3gpuE7ELNS1_3repE0EEENS1_30default_config_static_selectorELNS0_4arch9wavefront6targetE0EEEvSR_
    .private_segment_fixed_size: 0
    .sgpr_count:     0
    .sgpr_spill_count: 0
    .symbol:         _ZN7rocprim17ROCPRIM_400000_NS6detail17trampoline_kernelINS0_14default_configENS1_32segmented_reduce_config_selectorIN3c104HalfEEEZNS1_21segmented_reduce_implIS3_PKS6_PS6_PKlS6_N6hipcub16HIPCUB_304000_NS6detail27convert_result_type_wrapperISA_SB_N2at6native12_GLOBAL__N_19CustomMinEEEEE10hipError_tPvRmT0_T1_jT2_SS_T4_T3_P12ihipStream_tbEUlT_E_NS1_11comp_targetILNS1_3genE3ELNS1_11target_archE908ELNS1_3gpuE7ELNS1_3repE0EEENS1_30default_config_static_selectorELNS0_4arch9wavefront6targetE0EEEvSR_.kd
    .uniform_work_group_size: 1
    .uses_dynamic_stack: false
    .vgpr_count:     0
    .vgpr_spill_count: 0
    .wavefront_size: 32
    .workgroup_processor_mode: 1
  - .args:
      - .offset:         0
        .size:           48
        .value_kind:     by_value
    .group_segment_fixed_size: 0
    .kernarg_segment_align: 8
    .kernarg_segment_size: 48
    .language:       OpenCL C
    .language_version:
      - 2
      - 0
    .max_flat_workgroup_size: 256
    .name:           _ZN7rocprim17ROCPRIM_400000_NS6detail17trampoline_kernelINS0_14default_configENS1_32segmented_reduce_config_selectorIN3c104HalfEEEZNS1_21segmented_reduce_implIS3_PKS6_PS6_PKlS6_N6hipcub16HIPCUB_304000_NS6detail27convert_result_type_wrapperISA_SB_N2at6native12_GLOBAL__N_19CustomMinEEEEE10hipError_tPvRmT0_T1_jT2_SS_T4_T3_P12ihipStream_tbEUlT_E_NS1_11comp_targetILNS1_3genE2ELNS1_11target_archE906ELNS1_3gpuE6ELNS1_3repE0EEENS1_30default_config_static_selectorELNS0_4arch9wavefront6targetE0EEEvSR_
    .private_segment_fixed_size: 0
    .sgpr_count:     0
    .sgpr_spill_count: 0
    .symbol:         _ZN7rocprim17ROCPRIM_400000_NS6detail17trampoline_kernelINS0_14default_configENS1_32segmented_reduce_config_selectorIN3c104HalfEEEZNS1_21segmented_reduce_implIS3_PKS6_PS6_PKlS6_N6hipcub16HIPCUB_304000_NS6detail27convert_result_type_wrapperISA_SB_N2at6native12_GLOBAL__N_19CustomMinEEEEE10hipError_tPvRmT0_T1_jT2_SS_T4_T3_P12ihipStream_tbEUlT_E_NS1_11comp_targetILNS1_3genE2ELNS1_11target_archE906ELNS1_3gpuE6ELNS1_3repE0EEENS1_30default_config_static_selectorELNS0_4arch9wavefront6targetE0EEEvSR_.kd
    .uniform_work_group_size: 1
    .uses_dynamic_stack: false
    .vgpr_count:     0
    .vgpr_spill_count: 0
    .wavefront_size: 32
    .workgroup_processor_mode: 1
  - .args:
      - .offset:         0
        .size:           48
        .value_kind:     by_value
    .group_segment_fixed_size: 0
    .kernarg_segment_align: 8
    .kernarg_segment_size: 48
    .language:       OpenCL C
    .language_version:
      - 2
      - 0
    .max_flat_workgroup_size: 256
    .name:           _ZN7rocprim17ROCPRIM_400000_NS6detail17trampoline_kernelINS0_14default_configENS1_32segmented_reduce_config_selectorIN3c104HalfEEEZNS1_21segmented_reduce_implIS3_PKS6_PS6_PKlS6_N6hipcub16HIPCUB_304000_NS6detail27convert_result_type_wrapperISA_SB_N2at6native12_GLOBAL__N_19CustomMinEEEEE10hipError_tPvRmT0_T1_jT2_SS_T4_T3_P12ihipStream_tbEUlT_E_NS1_11comp_targetILNS1_3genE9ELNS1_11target_archE1100ELNS1_3gpuE3ELNS1_3repE0EEENS1_30default_config_static_selectorELNS0_4arch9wavefront6targetE0EEEvSR_
    .private_segment_fixed_size: 0
    .sgpr_count:     0
    .sgpr_spill_count: 0
    .symbol:         _ZN7rocprim17ROCPRIM_400000_NS6detail17trampoline_kernelINS0_14default_configENS1_32segmented_reduce_config_selectorIN3c104HalfEEEZNS1_21segmented_reduce_implIS3_PKS6_PS6_PKlS6_N6hipcub16HIPCUB_304000_NS6detail27convert_result_type_wrapperISA_SB_N2at6native12_GLOBAL__N_19CustomMinEEEEE10hipError_tPvRmT0_T1_jT2_SS_T4_T3_P12ihipStream_tbEUlT_E_NS1_11comp_targetILNS1_3genE9ELNS1_11target_archE1100ELNS1_3gpuE3ELNS1_3repE0EEENS1_30default_config_static_selectorELNS0_4arch9wavefront6targetE0EEEvSR_.kd
    .uniform_work_group_size: 1
    .uses_dynamic_stack: false
    .vgpr_count:     0
    .vgpr_spill_count: 0
    .wavefront_size: 32
    .workgroup_processor_mode: 1
  - .args:
      - .offset:         0
        .size:           48
        .value_kind:     by_value
    .group_segment_fixed_size: 16
    .kernarg_segment_align: 8
    .kernarg_segment_size: 48
    .language:       OpenCL C
    .language_version:
      - 2
      - 0
    .max_flat_workgroup_size: 256
    .name:           _ZN7rocprim17ROCPRIM_400000_NS6detail17trampoline_kernelINS0_14default_configENS1_32segmented_reduce_config_selectorIN3c104HalfEEEZNS1_21segmented_reduce_implIS3_PKS6_PS6_PKlS6_N6hipcub16HIPCUB_304000_NS6detail27convert_result_type_wrapperISA_SB_N2at6native12_GLOBAL__N_19CustomMinEEEEE10hipError_tPvRmT0_T1_jT2_SS_T4_T3_P12ihipStream_tbEUlT_E_NS1_11comp_targetILNS1_3genE8ELNS1_11target_archE1030ELNS1_3gpuE2ELNS1_3repE0EEENS1_30default_config_static_selectorELNS0_4arch9wavefront6targetE0EEEvSR_
    .private_segment_fixed_size: 0
    .sgpr_count:     27
    .sgpr_spill_count: 0
    .symbol:         _ZN7rocprim17ROCPRIM_400000_NS6detail17trampoline_kernelINS0_14default_configENS1_32segmented_reduce_config_selectorIN3c104HalfEEEZNS1_21segmented_reduce_implIS3_PKS6_PS6_PKlS6_N6hipcub16HIPCUB_304000_NS6detail27convert_result_type_wrapperISA_SB_N2at6native12_GLOBAL__N_19CustomMinEEEEE10hipError_tPvRmT0_T1_jT2_SS_T4_T3_P12ihipStream_tbEUlT_E_NS1_11comp_targetILNS1_3genE8ELNS1_11target_archE1030ELNS1_3gpuE2ELNS1_3repE0EEENS1_30default_config_static_selectorELNS0_4arch9wavefront6targetE0EEEvSR_.kd
    .uniform_work_group_size: 1
    .uses_dynamic_stack: false
    .vgpr_count:     15
    .vgpr_spill_count: 0
    .wavefront_size: 32
    .workgroup_processor_mode: 1
  - .args:
      - .offset:         0
        .size:           48
        .value_kind:     by_value
    .group_segment_fixed_size: 0
    .kernarg_segment_align: 8
    .kernarg_segment_size: 48
    .language:       OpenCL C
    .language_version:
      - 2
      - 0
    .max_flat_workgroup_size: 256
    .name:           _ZN7rocprim17ROCPRIM_400000_NS6detail17trampoline_kernelINS0_14default_configENS1_32segmented_reduce_config_selectorIN3c104HalfEEEZNS1_21segmented_reduce_implIS3_PKS6_PS6_PKlS6_N6hipcub16HIPCUB_304000_NS6detail27convert_result_type_wrapperISA_SB_N2at6native12_GLOBAL__N_110CustomProdEEEEE10hipError_tPvRmT0_T1_jT2_SS_T4_T3_P12ihipStream_tbEUlT_E_NS1_11comp_targetILNS1_3genE0ELNS1_11target_archE4294967295ELNS1_3gpuE0ELNS1_3repE0EEENS1_30default_config_static_selectorELNS0_4arch9wavefront6targetE0EEEvSR_
    .private_segment_fixed_size: 0
    .sgpr_count:     0
    .sgpr_spill_count: 0
    .symbol:         _ZN7rocprim17ROCPRIM_400000_NS6detail17trampoline_kernelINS0_14default_configENS1_32segmented_reduce_config_selectorIN3c104HalfEEEZNS1_21segmented_reduce_implIS3_PKS6_PS6_PKlS6_N6hipcub16HIPCUB_304000_NS6detail27convert_result_type_wrapperISA_SB_N2at6native12_GLOBAL__N_110CustomProdEEEEE10hipError_tPvRmT0_T1_jT2_SS_T4_T3_P12ihipStream_tbEUlT_E_NS1_11comp_targetILNS1_3genE0ELNS1_11target_archE4294967295ELNS1_3gpuE0ELNS1_3repE0EEENS1_30default_config_static_selectorELNS0_4arch9wavefront6targetE0EEEvSR_.kd
    .uniform_work_group_size: 1
    .uses_dynamic_stack: false
    .vgpr_count:     0
    .vgpr_spill_count: 0
    .wavefront_size: 32
    .workgroup_processor_mode: 1
  - .args:
      - .offset:         0
        .size:           48
        .value_kind:     by_value
    .group_segment_fixed_size: 0
    .kernarg_segment_align: 8
    .kernarg_segment_size: 48
    .language:       OpenCL C
    .language_version:
      - 2
      - 0
    .max_flat_workgroup_size: 256
    .name:           _ZN7rocprim17ROCPRIM_400000_NS6detail17trampoline_kernelINS0_14default_configENS1_32segmented_reduce_config_selectorIN3c104HalfEEEZNS1_21segmented_reduce_implIS3_PKS6_PS6_PKlS6_N6hipcub16HIPCUB_304000_NS6detail27convert_result_type_wrapperISA_SB_N2at6native12_GLOBAL__N_110CustomProdEEEEE10hipError_tPvRmT0_T1_jT2_SS_T4_T3_P12ihipStream_tbEUlT_E_NS1_11comp_targetILNS1_3genE5ELNS1_11target_archE942ELNS1_3gpuE9ELNS1_3repE0EEENS1_30default_config_static_selectorELNS0_4arch9wavefront6targetE0EEEvSR_
    .private_segment_fixed_size: 0
    .sgpr_count:     0
    .sgpr_spill_count: 0
    .symbol:         _ZN7rocprim17ROCPRIM_400000_NS6detail17trampoline_kernelINS0_14default_configENS1_32segmented_reduce_config_selectorIN3c104HalfEEEZNS1_21segmented_reduce_implIS3_PKS6_PS6_PKlS6_N6hipcub16HIPCUB_304000_NS6detail27convert_result_type_wrapperISA_SB_N2at6native12_GLOBAL__N_110CustomProdEEEEE10hipError_tPvRmT0_T1_jT2_SS_T4_T3_P12ihipStream_tbEUlT_E_NS1_11comp_targetILNS1_3genE5ELNS1_11target_archE942ELNS1_3gpuE9ELNS1_3repE0EEENS1_30default_config_static_selectorELNS0_4arch9wavefront6targetE0EEEvSR_.kd
    .uniform_work_group_size: 1
    .uses_dynamic_stack: false
    .vgpr_count:     0
    .vgpr_spill_count: 0
    .wavefront_size: 32
    .workgroup_processor_mode: 1
  - .args:
      - .offset:         0
        .size:           48
        .value_kind:     by_value
    .group_segment_fixed_size: 0
    .kernarg_segment_align: 8
    .kernarg_segment_size: 48
    .language:       OpenCL C
    .language_version:
      - 2
      - 0
    .max_flat_workgroup_size: 256
    .name:           _ZN7rocprim17ROCPRIM_400000_NS6detail17trampoline_kernelINS0_14default_configENS1_32segmented_reduce_config_selectorIN3c104HalfEEEZNS1_21segmented_reduce_implIS3_PKS6_PS6_PKlS6_N6hipcub16HIPCUB_304000_NS6detail27convert_result_type_wrapperISA_SB_N2at6native12_GLOBAL__N_110CustomProdEEEEE10hipError_tPvRmT0_T1_jT2_SS_T4_T3_P12ihipStream_tbEUlT_E_NS1_11comp_targetILNS1_3genE10ELNS1_11target_archE1201ELNS1_3gpuE5ELNS1_3repE0EEENS1_30default_config_static_selectorELNS0_4arch9wavefront6targetE0EEEvSR_
    .private_segment_fixed_size: 0
    .sgpr_count:     0
    .sgpr_spill_count: 0
    .symbol:         _ZN7rocprim17ROCPRIM_400000_NS6detail17trampoline_kernelINS0_14default_configENS1_32segmented_reduce_config_selectorIN3c104HalfEEEZNS1_21segmented_reduce_implIS3_PKS6_PS6_PKlS6_N6hipcub16HIPCUB_304000_NS6detail27convert_result_type_wrapperISA_SB_N2at6native12_GLOBAL__N_110CustomProdEEEEE10hipError_tPvRmT0_T1_jT2_SS_T4_T3_P12ihipStream_tbEUlT_E_NS1_11comp_targetILNS1_3genE10ELNS1_11target_archE1201ELNS1_3gpuE5ELNS1_3repE0EEENS1_30default_config_static_selectorELNS0_4arch9wavefront6targetE0EEEvSR_.kd
    .uniform_work_group_size: 1
    .uses_dynamic_stack: false
    .vgpr_count:     0
    .vgpr_spill_count: 0
    .wavefront_size: 32
    .workgroup_processor_mode: 1
  - .args:
      - .offset:         0
        .size:           48
        .value_kind:     by_value
    .group_segment_fixed_size: 0
    .kernarg_segment_align: 8
    .kernarg_segment_size: 48
    .language:       OpenCL C
    .language_version:
      - 2
      - 0
    .max_flat_workgroup_size: 256
    .name:           _ZN7rocprim17ROCPRIM_400000_NS6detail17trampoline_kernelINS0_14default_configENS1_32segmented_reduce_config_selectorIN3c104HalfEEEZNS1_21segmented_reduce_implIS3_PKS6_PS6_PKlS6_N6hipcub16HIPCUB_304000_NS6detail27convert_result_type_wrapperISA_SB_N2at6native12_GLOBAL__N_110CustomProdEEEEE10hipError_tPvRmT0_T1_jT2_SS_T4_T3_P12ihipStream_tbEUlT_E_NS1_11comp_targetILNS1_3genE4ELNS1_11target_archE910ELNS1_3gpuE8ELNS1_3repE0EEENS1_30default_config_static_selectorELNS0_4arch9wavefront6targetE0EEEvSR_
    .private_segment_fixed_size: 0
    .sgpr_count:     0
    .sgpr_spill_count: 0
    .symbol:         _ZN7rocprim17ROCPRIM_400000_NS6detail17trampoline_kernelINS0_14default_configENS1_32segmented_reduce_config_selectorIN3c104HalfEEEZNS1_21segmented_reduce_implIS3_PKS6_PS6_PKlS6_N6hipcub16HIPCUB_304000_NS6detail27convert_result_type_wrapperISA_SB_N2at6native12_GLOBAL__N_110CustomProdEEEEE10hipError_tPvRmT0_T1_jT2_SS_T4_T3_P12ihipStream_tbEUlT_E_NS1_11comp_targetILNS1_3genE4ELNS1_11target_archE910ELNS1_3gpuE8ELNS1_3repE0EEENS1_30default_config_static_selectorELNS0_4arch9wavefront6targetE0EEEvSR_.kd
    .uniform_work_group_size: 1
    .uses_dynamic_stack: false
    .vgpr_count:     0
    .vgpr_spill_count: 0
    .wavefront_size: 32
    .workgroup_processor_mode: 1
  - .args:
      - .offset:         0
        .size:           48
        .value_kind:     by_value
    .group_segment_fixed_size: 0
    .kernarg_segment_align: 8
    .kernarg_segment_size: 48
    .language:       OpenCL C
    .language_version:
      - 2
      - 0
    .max_flat_workgroup_size: 256
    .name:           _ZN7rocprim17ROCPRIM_400000_NS6detail17trampoline_kernelINS0_14default_configENS1_32segmented_reduce_config_selectorIN3c104HalfEEEZNS1_21segmented_reduce_implIS3_PKS6_PS6_PKlS6_N6hipcub16HIPCUB_304000_NS6detail27convert_result_type_wrapperISA_SB_N2at6native12_GLOBAL__N_110CustomProdEEEEE10hipError_tPvRmT0_T1_jT2_SS_T4_T3_P12ihipStream_tbEUlT_E_NS1_11comp_targetILNS1_3genE3ELNS1_11target_archE908ELNS1_3gpuE7ELNS1_3repE0EEENS1_30default_config_static_selectorELNS0_4arch9wavefront6targetE0EEEvSR_
    .private_segment_fixed_size: 0
    .sgpr_count:     0
    .sgpr_spill_count: 0
    .symbol:         _ZN7rocprim17ROCPRIM_400000_NS6detail17trampoline_kernelINS0_14default_configENS1_32segmented_reduce_config_selectorIN3c104HalfEEEZNS1_21segmented_reduce_implIS3_PKS6_PS6_PKlS6_N6hipcub16HIPCUB_304000_NS6detail27convert_result_type_wrapperISA_SB_N2at6native12_GLOBAL__N_110CustomProdEEEEE10hipError_tPvRmT0_T1_jT2_SS_T4_T3_P12ihipStream_tbEUlT_E_NS1_11comp_targetILNS1_3genE3ELNS1_11target_archE908ELNS1_3gpuE7ELNS1_3repE0EEENS1_30default_config_static_selectorELNS0_4arch9wavefront6targetE0EEEvSR_.kd
    .uniform_work_group_size: 1
    .uses_dynamic_stack: false
    .vgpr_count:     0
    .vgpr_spill_count: 0
    .wavefront_size: 32
    .workgroup_processor_mode: 1
  - .args:
      - .offset:         0
        .size:           48
        .value_kind:     by_value
    .group_segment_fixed_size: 0
    .kernarg_segment_align: 8
    .kernarg_segment_size: 48
    .language:       OpenCL C
    .language_version:
      - 2
      - 0
    .max_flat_workgroup_size: 256
    .name:           _ZN7rocprim17ROCPRIM_400000_NS6detail17trampoline_kernelINS0_14default_configENS1_32segmented_reduce_config_selectorIN3c104HalfEEEZNS1_21segmented_reduce_implIS3_PKS6_PS6_PKlS6_N6hipcub16HIPCUB_304000_NS6detail27convert_result_type_wrapperISA_SB_N2at6native12_GLOBAL__N_110CustomProdEEEEE10hipError_tPvRmT0_T1_jT2_SS_T4_T3_P12ihipStream_tbEUlT_E_NS1_11comp_targetILNS1_3genE2ELNS1_11target_archE906ELNS1_3gpuE6ELNS1_3repE0EEENS1_30default_config_static_selectorELNS0_4arch9wavefront6targetE0EEEvSR_
    .private_segment_fixed_size: 0
    .sgpr_count:     0
    .sgpr_spill_count: 0
    .symbol:         _ZN7rocprim17ROCPRIM_400000_NS6detail17trampoline_kernelINS0_14default_configENS1_32segmented_reduce_config_selectorIN3c104HalfEEEZNS1_21segmented_reduce_implIS3_PKS6_PS6_PKlS6_N6hipcub16HIPCUB_304000_NS6detail27convert_result_type_wrapperISA_SB_N2at6native12_GLOBAL__N_110CustomProdEEEEE10hipError_tPvRmT0_T1_jT2_SS_T4_T3_P12ihipStream_tbEUlT_E_NS1_11comp_targetILNS1_3genE2ELNS1_11target_archE906ELNS1_3gpuE6ELNS1_3repE0EEENS1_30default_config_static_selectorELNS0_4arch9wavefront6targetE0EEEvSR_.kd
    .uniform_work_group_size: 1
    .uses_dynamic_stack: false
    .vgpr_count:     0
    .vgpr_spill_count: 0
    .wavefront_size: 32
    .workgroup_processor_mode: 1
  - .args:
      - .offset:         0
        .size:           48
        .value_kind:     by_value
    .group_segment_fixed_size: 0
    .kernarg_segment_align: 8
    .kernarg_segment_size: 48
    .language:       OpenCL C
    .language_version:
      - 2
      - 0
    .max_flat_workgroup_size: 256
    .name:           _ZN7rocprim17ROCPRIM_400000_NS6detail17trampoline_kernelINS0_14default_configENS1_32segmented_reduce_config_selectorIN3c104HalfEEEZNS1_21segmented_reduce_implIS3_PKS6_PS6_PKlS6_N6hipcub16HIPCUB_304000_NS6detail27convert_result_type_wrapperISA_SB_N2at6native12_GLOBAL__N_110CustomProdEEEEE10hipError_tPvRmT0_T1_jT2_SS_T4_T3_P12ihipStream_tbEUlT_E_NS1_11comp_targetILNS1_3genE9ELNS1_11target_archE1100ELNS1_3gpuE3ELNS1_3repE0EEENS1_30default_config_static_selectorELNS0_4arch9wavefront6targetE0EEEvSR_
    .private_segment_fixed_size: 0
    .sgpr_count:     0
    .sgpr_spill_count: 0
    .symbol:         _ZN7rocprim17ROCPRIM_400000_NS6detail17trampoline_kernelINS0_14default_configENS1_32segmented_reduce_config_selectorIN3c104HalfEEEZNS1_21segmented_reduce_implIS3_PKS6_PS6_PKlS6_N6hipcub16HIPCUB_304000_NS6detail27convert_result_type_wrapperISA_SB_N2at6native12_GLOBAL__N_110CustomProdEEEEE10hipError_tPvRmT0_T1_jT2_SS_T4_T3_P12ihipStream_tbEUlT_E_NS1_11comp_targetILNS1_3genE9ELNS1_11target_archE1100ELNS1_3gpuE3ELNS1_3repE0EEENS1_30default_config_static_selectorELNS0_4arch9wavefront6targetE0EEEvSR_.kd
    .uniform_work_group_size: 1
    .uses_dynamic_stack: false
    .vgpr_count:     0
    .vgpr_spill_count: 0
    .wavefront_size: 32
    .workgroup_processor_mode: 1
  - .args:
      - .offset:         0
        .size:           48
        .value_kind:     by_value
    .group_segment_fixed_size: 16
    .kernarg_segment_align: 8
    .kernarg_segment_size: 48
    .language:       OpenCL C
    .language_version:
      - 2
      - 0
    .max_flat_workgroup_size: 256
    .name:           _ZN7rocprim17ROCPRIM_400000_NS6detail17trampoline_kernelINS0_14default_configENS1_32segmented_reduce_config_selectorIN3c104HalfEEEZNS1_21segmented_reduce_implIS3_PKS6_PS6_PKlS6_N6hipcub16HIPCUB_304000_NS6detail27convert_result_type_wrapperISA_SB_N2at6native12_GLOBAL__N_110CustomProdEEEEE10hipError_tPvRmT0_T1_jT2_SS_T4_T3_P12ihipStream_tbEUlT_E_NS1_11comp_targetILNS1_3genE8ELNS1_11target_archE1030ELNS1_3gpuE2ELNS1_3repE0EEENS1_30default_config_static_selectorELNS0_4arch9wavefront6targetE0EEEvSR_
    .private_segment_fixed_size: 0
    .sgpr_count:     24
    .sgpr_spill_count: 0
    .symbol:         _ZN7rocprim17ROCPRIM_400000_NS6detail17trampoline_kernelINS0_14default_configENS1_32segmented_reduce_config_selectorIN3c104HalfEEEZNS1_21segmented_reduce_implIS3_PKS6_PS6_PKlS6_N6hipcub16HIPCUB_304000_NS6detail27convert_result_type_wrapperISA_SB_N2at6native12_GLOBAL__N_110CustomProdEEEEE10hipError_tPvRmT0_T1_jT2_SS_T4_T3_P12ihipStream_tbEUlT_E_NS1_11comp_targetILNS1_3genE8ELNS1_11target_archE1030ELNS1_3gpuE2ELNS1_3repE0EEENS1_30default_config_static_selectorELNS0_4arch9wavefront6targetE0EEEvSR_.kd
    .uniform_work_group_size: 1
    .uses_dynamic_stack: false
    .vgpr_count:     15
    .vgpr_spill_count: 0
    .wavefront_size: 32
    .workgroup_processor_mode: 1
  - .args:
      - .offset:         0
        .size:           4
        .value_kind:     by_value
      - .address_space:  global
        .offset:         8
        .size:           8
        .value_kind:     global_buffer
      - .address_space:  global
        .offset:         16
        .size:           8
        .value_kind:     global_buffer
      - .address_space:  global
        .offset:         24
        .size:           8
        .value_kind:     global_buffer
      - .address_space:  global
        .offset:         32
        .size:           8
        .value_kind:     global_buffer
      - .offset:         40
        .size:           8
        .value_kind:     by_value
      - .offset:         48
        .size:           8
        .value_kind:     by_value
      - .offset:         56
        .size:           1
        .value_kind:     by_value
      - .offset:         58
        .size:           2
        .value_kind:     by_value
      - .offset:         64
        .size:           8
        .value_kind:     by_value
      - .offset:         72
        .size:           8
        .value_kind:     by_value
      - .offset:         80
        .size:           8
        .value_kind:     by_value
      - .offset:         88
        .size:           8
        .value_kind:     by_value
      - .offset:         96
        .size:           8
        .value_kind:     by_value
      - .offset:         104
        .size:           8
        .value_kind:     by_value
      - .offset:         112
        .size:           8
        .value_kind:     by_value
      - .offset:         120
        .size:           4
        .value_kind:     hidden_block_count_x
      - .offset:         124
        .size:           4
        .value_kind:     hidden_block_count_y
      - .offset:         128
        .size:           4
        .value_kind:     hidden_block_count_z
      - .offset:         132
        .size:           2
        .value_kind:     hidden_group_size_x
      - .offset:         134
        .size:           2
        .value_kind:     hidden_group_size_y
      - .offset:         136
        .size:           2
        .value_kind:     hidden_group_size_z
      - .offset:         138
        .size:           2
        .value_kind:     hidden_remainder_x
      - .offset:         140
        .size:           2
        .value_kind:     hidden_remainder_y
      - .offset:         142
        .size:           2
        .value_kind:     hidden_remainder_z
      - .offset:         160
        .size:           8
        .value_kind:     hidden_global_offset_x
      - .offset:         168
        .size:           8
        .value_kind:     hidden_global_offset_y
      - .offset:         176
        .size:           8
        .value_kind:     hidden_global_offset_z
      - .offset:         184
        .size:           2
        .value_kind:     hidden_grid_dims
    .group_segment_fixed_size: 0
    .kernarg_segment_align: 8
    .kernarg_segment_size: 376
    .language:       OpenCL C
    .language_version:
      - 2
      - 0
    .max_flat_workgroup_size: 1024
    .name:           _ZN2at6native12_GLOBAL__N_129segment_reduce_forward_kernelIN3c108BFloat16ElEEvNS0_13ReductionTypeEPT_PKS6_PKT0_SC_llbS6_lllllll
    .private_segment_fixed_size: 0
    .sgpr_count:     44
    .sgpr_spill_count: 0
    .symbol:         _ZN2at6native12_GLOBAL__N_129segment_reduce_forward_kernelIN3c108BFloat16ElEEvNS0_13ReductionTypeEPT_PKS6_PKT0_SC_llbS6_lllllll.kd
    .uniform_work_group_size: 1
    .uses_dynamic_stack: false
    .vgpr_count:     24
    .vgpr_spill_count: 0
    .wavefront_size: 32
    .workgroup_processor_mode: 1
  - .args:
      - .offset:         0
        .size:           48
        .value_kind:     by_value
    .group_segment_fixed_size: 0
    .kernarg_segment_align: 8
    .kernarg_segment_size: 48
    .language:       OpenCL C
    .language_version:
      - 2
      - 0
    .max_flat_workgroup_size: 256
    .name:           _ZN7rocprim17ROCPRIM_400000_NS6detail17trampoline_kernelINS0_14default_configENS1_32segmented_reduce_config_selectorIN3c108BFloat16EEEZNS1_21segmented_reduce_implIS3_PKS6_PS6_PKlS6_N6hipcub16HIPCUB_304000_NS6detail27convert_result_type_wrapperISA_SB_N2at6native12_GLOBAL__N_19CustomMaxEEEEE10hipError_tPvRmT0_T1_jT2_SS_T4_T3_P12ihipStream_tbEUlT_E_NS1_11comp_targetILNS1_3genE0ELNS1_11target_archE4294967295ELNS1_3gpuE0ELNS1_3repE0EEENS1_30default_config_static_selectorELNS0_4arch9wavefront6targetE0EEEvSR_
    .private_segment_fixed_size: 0
    .sgpr_count:     0
    .sgpr_spill_count: 0
    .symbol:         _ZN7rocprim17ROCPRIM_400000_NS6detail17trampoline_kernelINS0_14default_configENS1_32segmented_reduce_config_selectorIN3c108BFloat16EEEZNS1_21segmented_reduce_implIS3_PKS6_PS6_PKlS6_N6hipcub16HIPCUB_304000_NS6detail27convert_result_type_wrapperISA_SB_N2at6native12_GLOBAL__N_19CustomMaxEEEEE10hipError_tPvRmT0_T1_jT2_SS_T4_T3_P12ihipStream_tbEUlT_E_NS1_11comp_targetILNS1_3genE0ELNS1_11target_archE4294967295ELNS1_3gpuE0ELNS1_3repE0EEENS1_30default_config_static_selectorELNS0_4arch9wavefront6targetE0EEEvSR_.kd
    .uniform_work_group_size: 1
    .uses_dynamic_stack: false
    .vgpr_count:     0
    .vgpr_spill_count: 0
    .wavefront_size: 32
    .workgroup_processor_mode: 1
  - .args:
      - .offset:         0
        .size:           48
        .value_kind:     by_value
    .group_segment_fixed_size: 0
    .kernarg_segment_align: 8
    .kernarg_segment_size: 48
    .language:       OpenCL C
    .language_version:
      - 2
      - 0
    .max_flat_workgroup_size: 256
    .name:           _ZN7rocprim17ROCPRIM_400000_NS6detail17trampoline_kernelINS0_14default_configENS1_32segmented_reduce_config_selectorIN3c108BFloat16EEEZNS1_21segmented_reduce_implIS3_PKS6_PS6_PKlS6_N6hipcub16HIPCUB_304000_NS6detail27convert_result_type_wrapperISA_SB_N2at6native12_GLOBAL__N_19CustomMaxEEEEE10hipError_tPvRmT0_T1_jT2_SS_T4_T3_P12ihipStream_tbEUlT_E_NS1_11comp_targetILNS1_3genE5ELNS1_11target_archE942ELNS1_3gpuE9ELNS1_3repE0EEENS1_30default_config_static_selectorELNS0_4arch9wavefront6targetE0EEEvSR_
    .private_segment_fixed_size: 0
    .sgpr_count:     0
    .sgpr_spill_count: 0
    .symbol:         _ZN7rocprim17ROCPRIM_400000_NS6detail17trampoline_kernelINS0_14default_configENS1_32segmented_reduce_config_selectorIN3c108BFloat16EEEZNS1_21segmented_reduce_implIS3_PKS6_PS6_PKlS6_N6hipcub16HIPCUB_304000_NS6detail27convert_result_type_wrapperISA_SB_N2at6native12_GLOBAL__N_19CustomMaxEEEEE10hipError_tPvRmT0_T1_jT2_SS_T4_T3_P12ihipStream_tbEUlT_E_NS1_11comp_targetILNS1_3genE5ELNS1_11target_archE942ELNS1_3gpuE9ELNS1_3repE0EEENS1_30default_config_static_selectorELNS0_4arch9wavefront6targetE0EEEvSR_.kd
    .uniform_work_group_size: 1
    .uses_dynamic_stack: false
    .vgpr_count:     0
    .vgpr_spill_count: 0
    .wavefront_size: 32
    .workgroup_processor_mode: 1
  - .args:
      - .offset:         0
        .size:           48
        .value_kind:     by_value
    .group_segment_fixed_size: 0
    .kernarg_segment_align: 8
    .kernarg_segment_size: 48
    .language:       OpenCL C
    .language_version:
      - 2
      - 0
    .max_flat_workgroup_size: 256
    .name:           _ZN7rocprim17ROCPRIM_400000_NS6detail17trampoline_kernelINS0_14default_configENS1_32segmented_reduce_config_selectorIN3c108BFloat16EEEZNS1_21segmented_reduce_implIS3_PKS6_PS6_PKlS6_N6hipcub16HIPCUB_304000_NS6detail27convert_result_type_wrapperISA_SB_N2at6native12_GLOBAL__N_19CustomMaxEEEEE10hipError_tPvRmT0_T1_jT2_SS_T4_T3_P12ihipStream_tbEUlT_E_NS1_11comp_targetILNS1_3genE10ELNS1_11target_archE1201ELNS1_3gpuE5ELNS1_3repE0EEENS1_30default_config_static_selectorELNS0_4arch9wavefront6targetE0EEEvSR_
    .private_segment_fixed_size: 0
    .sgpr_count:     0
    .sgpr_spill_count: 0
    .symbol:         _ZN7rocprim17ROCPRIM_400000_NS6detail17trampoline_kernelINS0_14default_configENS1_32segmented_reduce_config_selectorIN3c108BFloat16EEEZNS1_21segmented_reduce_implIS3_PKS6_PS6_PKlS6_N6hipcub16HIPCUB_304000_NS6detail27convert_result_type_wrapperISA_SB_N2at6native12_GLOBAL__N_19CustomMaxEEEEE10hipError_tPvRmT0_T1_jT2_SS_T4_T3_P12ihipStream_tbEUlT_E_NS1_11comp_targetILNS1_3genE10ELNS1_11target_archE1201ELNS1_3gpuE5ELNS1_3repE0EEENS1_30default_config_static_selectorELNS0_4arch9wavefront6targetE0EEEvSR_.kd
    .uniform_work_group_size: 1
    .uses_dynamic_stack: false
    .vgpr_count:     0
    .vgpr_spill_count: 0
    .wavefront_size: 32
    .workgroup_processor_mode: 1
  - .args:
      - .offset:         0
        .size:           48
        .value_kind:     by_value
    .group_segment_fixed_size: 0
    .kernarg_segment_align: 8
    .kernarg_segment_size: 48
    .language:       OpenCL C
    .language_version:
      - 2
      - 0
    .max_flat_workgroup_size: 256
    .name:           _ZN7rocprim17ROCPRIM_400000_NS6detail17trampoline_kernelINS0_14default_configENS1_32segmented_reduce_config_selectorIN3c108BFloat16EEEZNS1_21segmented_reduce_implIS3_PKS6_PS6_PKlS6_N6hipcub16HIPCUB_304000_NS6detail27convert_result_type_wrapperISA_SB_N2at6native12_GLOBAL__N_19CustomMaxEEEEE10hipError_tPvRmT0_T1_jT2_SS_T4_T3_P12ihipStream_tbEUlT_E_NS1_11comp_targetILNS1_3genE4ELNS1_11target_archE910ELNS1_3gpuE8ELNS1_3repE0EEENS1_30default_config_static_selectorELNS0_4arch9wavefront6targetE0EEEvSR_
    .private_segment_fixed_size: 0
    .sgpr_count:     0
    .sgpr_spill_count: 0
    .symbol:         _ZN7rocprim17ROCPRIM_400000_NS6detail17trampoline_kernelINS0_14default_configENS1_32segmented_reduce_config_selectorIN3c108BFloat16EEEZNS1_21segmented_reduce_implIS3_PKS6_PS6_PKlS6_N6hipcub16HIPCUB_304000_NS6detail27convert_result_type_wrapperISA_SB_N2at6native12_GLOBAL__N_19CustomMaxEEEEE10hipError_tPvRmT0_T1_jT2_SS_T4_T3_P12ihipStream_tbEUlT_E_NS1_11comp_targetILNS1_3genE4ELNS1_11target_archE910ELNS1_3gpuE8ELNS1_3repE0EEENS1_30default_config_static_selectorELNS0_4arch9wavefront6targetE0EEEvSR_.kd
    .uniform_work_group_size: 1
    .uses_dynamic_stack: false
    .vgpr_count:     0
    .vgpr_spill_count: 0
    .wavefront_size: 32
    .workgroup_processor_mode: 1
  - .args:
      - .offset:         0
        .size:           48
        .value_kind:     by_value
    .group_segment_fixed_size: 0
    .kernarg_segment_align: 8
    .kernarg_segment_size: 48
    .language:       OpenCL C
    .language_version:
      - 2
      - 0
    .max_flat_workgroup_size: 256
    .name:           _ZN7rocprim17ROCPRIM_400000_NS6detail17trampoline_kernelINS0_14default_configENS1_32segmented_reduce_config_selectorIN3c108BFloat16EEEZNS1_21segmented_reduce_implIS3_PKS6_PS6_PKlS6_N6hipcub16HIPCUB_304000_NS6detail27convert_result_type_wrapperISA_SB_N2at6native12_GLOBAL__N_19CustomMaxEEEEE10hipError_tPvRmT0_T1_jT2_SS_T4_T3_P12ihipStream_tbEUlT_E_NS1_11comp_targetILNS1_3genE3ELNS1_11target_archE908ELNS1_3gpuE7ELNS1_3repE0EEENS1_30default_config_static_selectorELNS0_4arch9wavefront6targetE0EEEvSR_
    .private_segment_fixed_size: 0
    .sgpr_count:     0
    .sgpr_spill_count: 0
    .symbol:         _ZN7rocprim17ROCPRIM_400000_NS6detail17trampoline_kernelINS0_14default_configENS1_32segmented_reduce_config_selectorIN3c108BFloat16EEEZNS1_21segmented_reduce_implIS3_PKS6_PS6_PKlS6_N6hipcub16HIPCUB_304000_NS6detail27convert_result_type_wrapperISA_SB_N2at6native12_GLOBAL__N_19CustomMaxEEEEE10hipError_tPvRmT0_T1_jT2_SS_T4_T3_P12ihipStream_tbEUlT_E_NS1_11comp_targetILNS1_3genE3ELNS1_11target_archE908ELNS1_3gpuE7ELNS1_3repE0EEENS1_30default_config_static_selectorELNS0_4arch9wavefront6targetE0EEEvSR_.kd
    .uniform_work_group_size: 1
    .uses_dynamic_stack: false
    .vgpr_count:     0
    .vgpr_spill_count: 0
    .wavefront_size: 32
    .workgroup_processor_mode: 1
  - .args:
      - .offset:         0
        .size:           48
        .value_kind:     by_value
    .group_segment_fixed_size: 0
    .kernarg_segment_align: 8
    .kernarg_segment_size: 48
    .language:       OpenCL C
    .language_version:
      - 2
      - 0
    .max_flat_workgroup_size: 256
    .name:           _ZN7rocprim17ROCPRIM_400000_NS6detail17trampoline_kernelINS0_14default_configENS1_32segmented_reduce_config_selectorIN3c108BFloat16EEEZNS1_21segmented_reduce_implIS3_PKS6_PS6_PKlS6_N6hipcub16HIPCUB_304000_NS6detail27convert_result_type_wrapperISA_SB_N2at6native12_GLOBAL__N_19CustomMaxEEEEE10hipError_tPvRmT0_T1_jT2_SS_T4_T3_P12ihipStream_tbEUlT_E_NS1_11comp_targetILNS1_3genE2ELNS1_11target_archE906ELNS1_3gpuE6ELNS1_3repE0EEENS1_30default_config_static_selectorELNS0_4arch9wavefront6targetE0EEEvSR_
    .private_segment_fixed_size: 0
    .sgpr_count:     0
    .sgpr_spill_count: 0
    .symbol:         _ZN7rocprim17ROCPRIM_400000_NS6detail17trampoline_kernelINS0_14default_configENS1_32segmented_reduce_config_selectorIN3c108BFloat16EEEZNS1_21segmented_reduce_implIS3_PKS6_PS6_PKlS6_N6hipcub16HIPCUB_304000_NS6detail27convert_result_type_wrapperISA_SB_N2at6native12_GLOBAL__N_19CustomMaxEEEEE10hipError_tPvRmT0_T1_jT2_SS_T4_T3_P12ihipStream_tbEUlT_E_NS1_11comp_targetILNS1_3genE2ELNS1_11target_archE906ELNS1_3gpuE6ELNS1_3repE0EEENS1_30default_config_static_selectorELNS0_4arch9wavefront6targetE0EEEvSR_.kd
    .uniform_work_group_size: 1
    .uses_dynamic_stack: false
    .vgpr_count:     0
    .vgpr_spill_count: 0
    .wavefront_size: 32
    .workgroup_processor_mode: 1
  - .args:
      - .offset:         0
        .size:           48
        .value_kind:     by_value
    .group_segment_fixed_size: 0
    .kernarg_segment_align: 8
    .kernarg_segment_size: 48
    .language:       OpenCL C
    .language_version:
      - 2
      - 0
    .max_flat_workgroup_size: 256
    .name:           _ZN7rocprim17ROCPRIM_400000_NS6detail17trampoline_kernelINS0_14default_configENS1_32segmented_reduce_config_selectorIN3c108BFloat16EEEZNS1_21segmented_reduce_implIS3_PKS6_PS6_PKlS6_N6hipcub16HIPCUB_304000_NS6detail27convert_result_type_wrapperISA_SB_N2at6native12_GLOBAL__N_19CustomMaxEEEEE10hipError_tPvRmT0_T1_jT2_SS_T4_T3_P12ihipStream_tbEUlT_E_NS1_11comp_targetILNS1_3genE9ELNS1_11target_archE1100ELNS1_3gpuE3ELNS1_3repE0EEENS1_30default_config_static_selectorELNS0_4arch9wavefront6targetE0EEEvSR_
    .private_segment_fixed_size: 0
    .sgpr_count:     0
    .sgpr_spill_count: 0
    .symbol:         _ZN7rocprim17ROCPRIM_400000_NS6detail17trampoline_kernelINS0_14default_configENS1_32segmented_reduce_config_selectorIN3c108BFloat16EEEZNS1_21segmented_reduce_implIS3_PKS6_PS6_PKlS6_N6hipcub16HIPCUB_304000_NS6detail27convert_result_type_wrapperISA_SB_N2at6native12_GLOBAL__N_19CustomMaxEEEEE10hipError_tPvRmT0_T1_jT2_SS_T4_T3_P12ihipStream_tbEUlT_E_NS1_11comp_targetILNS1_3genE9ELNS1_11target_archE1100ELNS1_3gpuE3ELNS1_3repE0EEENS1_30default_config_static_selectorELNS0_4arch9wavefront6targetE0EEEvSR_.kd
    .uniform_work_group_size: 1
    .uses_dynamic_stack: false
    .vgpr_count:     0
    .vgpr_spill_count: 0
    .wavefront_size: 32
    .workgroup_processor_mode: 1
  - .args:
      - .offset:         0
        .size:           48
        .value_kind:     by_value
    .group_segment_fixed_size: 16
    .kernarg_segment_align: 8
    .kernarg_segment_size: 48
    .language:       OpenCL C
    .language_version:
      - 2
      - 0
    .max_flat_workgroup_size: 256
    .name:           _ZN7rocprim17ROCPRIM_400000_NS6detail17trampoline_kernelINS0_14default_configENS1_32segmented_reduce_config_selectorIN3c108BFloat16EEEZNS1_21segmented_reduce_implIS3_PKS6_PS6_PKlS6_N6hipcub16HIPCUB_304000_NS6detail27convert_result_type_wrapperISA_SB_N2at6native12_GLOBAL__N_19CustomMaxEEEEE10hipError_tPvRmT0_T1_jT2_SS_T4_T3_P12ihipStream_tbEUlT_E_NS1_11comp_targetILNS1_3genE8ELNS1_11target_archE1030ELNS1_3gpuE2ELNS1_3repE0EEENS1_30default_config_static_selectorELNS0_4arch9wavefront6targetE0EEEvSR_
    .private_segment_fixed_size: 0
    .sgpr_count:     27
    .sgpr_spill_count: 0
    .symbol:         _ZN7rocprim17ROCPRIM_400000_NS6detail17trampoline_kernelINS0_14default_configENS1_32segmented_reduce_config_selectorIN3c108BFloat16EEEZNS1_21segmented_reduce_implIS3_PKS6_PS6_PKlS6_N6hipcub16HIPCUB_304000_NS6detail27convert_result_type_wrapperISA_SB_N2at6native12_GLOBAL__N_19CustomMaxEEEEE10hipError_tPvRmT0_T1_jT2_SS_T4_T3_P12ihipStream_tbEUlT_E_NS1_11comp_targetILNS1_3genE8ELNS1_11target_archE1030ELNS1_3gpuE2ELNS1_3repE0EEENS1_30default_config_static_selectorELNS0_4arch9wavefront6targetE0EEEvSR_.kd
    .uniform_work_group_size: 1
    .uses_dynamic_stack: false
    .vgpr_count:     16
    .vgpr_spill_count: 0
    .wavefront_size: 32
    .workgroup_processor_mode: 1
  - .args:
      - .offset:         0
        .size:           48
        .value_kind:     by_value
    .group_segment_fixed_size: 0
    .kernarg_segment_align: 8
    .kernarg_segment_size: 48
    .language:       OpenCL C
    .language_version:
      - 2
      - 0
    .max_flat_workgroup_size: 256
    .name:           _ZN7rocprim17ROCPRIM_400000_NS6detail17trampoline_kernelINS0_14default_configENS1_32segmented_reduce_config_selectorIN3c108BFloat16EEEZNS1_21segmented_reduce_implIS3_PKS6_PS6_PKlS6_N6hipcub16HIPCUB_304000_NS6detail27convert_result_type_wrapperISA_SB_N2at6native12_GLOBAL__N_19CustomSumEEEEE10hipError_tPvRmT0_T1_jT2_SS_T4_T3_P12ihipStream_tbEUlT_E_NS1_11comp_targetILNS1_3genE0ELNS1_11target_archE4294967295ELNS1_3gpuE0ELNS1_3repE0EEENS1_30default_config_static_selectorELNS0_4arch9wavefront6targetE0EEEvSR_
    .private_segment_fixed_size: 0
    .sgpr_count:     0
    .sgpr_spill_count: 0
    .symbol:         _ZN7rocprim17ROCPRIM_400000_NS6detail17trampoline_kernelINS0_14default_configENS1_32segmented_reduce_config_selectorIN3c108BFloat16EEEZNS1_21segmented_reduce_implIS3_PKS6_PS6_PKlS6_N6hipcub16HIPCUB_304000_NS6detail27convert_result_type_wrapperISA_SB_N2at6native12_GLOBAL__N_19CustomSumEEEEE10hipError_tPvRmT0_T1_jT2_SS_T4_T3_P12ihipStream_tbEUlT_E_NS1_11comp_targetILNS1_3genE0ELNS1_11target_archE4294967295ELNS1_3gpuE0ELNS1_3repE0EEENS1_30default_config_static_selectorELNS0_4arch9wavefront6targetE0EEEvSR_.kd
    .uniform_work_group_size: 1
    .uses_dynamic_stack: false
    .vgpr_count:     0
    .vgpr_spill_count: 0
    .wavefront_size: 32
    .workgroup_processor_mode: 1
  - .args:
      - .offset:         0
        .size:           48
        .value_kind:     by_value
    .group_segment_fixed_size: 0
    .kernarg_segment_align: 8
    .kernarg_segment_size: 48
    .language:       OpenCL C
    .language_version:
      - 2
      - 0
    .max_flat_workgroup_size: 256
    .name:           _ZN7rocprim17ROCPRIM_400000_NS6detail17trampoline_kernelINS0_14default_configENS1_32segmented_reduce_config_selectorIN3c108BFloat16EEEZNS1_21segmented_reduce_implIS3_PKS6_PS6_PKlS6_N6hipcub16HIPCUB_304000_NS6detail27convert_result_type_wrapperISA_SB_N2at6native12_GLOBAL__N_19CustomSumEEEEE10hipError_tPvRmT0_T1_jT2_SS_T4_T3_P12ihipStream_tbEUlT_E_NS1_11comp_targetILNS1_3genE5ELNS1_11target_archE942ELNS1_3gpuE9ELNS1_3repE0EEENS1_30default_config_static_selectorELNS0_4arch9wavefront6targetE0EEEvSR_
    .private_segment_fixed_size: 0
    .sgpr_count:     0
    .sgpr_spill_count: 0
    .symbol:         _ZN7rocprim17ROCPRIM_400000_NS6detail17trampoline_kernelINS0_14default_configENS1_32segmented_reduce_config_selectorIN3c108BFloat16EEEZNS1_21segmented_reduce_implIS3_PKS6_PS6_PKlS6_N6hipcub16HIPCUB_304000_NS6detail27convert_result_type_wrapperISA_SB_N2at6native12_GLOBAL__N_19CustomSumEEEEE10hipError_tPvRmT0_T1_jT2_SS_T4_T3_P12ihipStream_tbEUlT_E_NS1_11comp_targetILNS1_3genE5ELNS1_11target_archE942ELNS1_3gpuE9ELNS1_3repE0EEENS1_30default_config_static_selectorELNS0_4arch9wavefront6targetE0EEEvSR_.kd
    .uniform_work_group_size: 1
    .uses_dynamic_stack: false
    .vgpr_count:     0
    .vgpr_spill_count: 0
    .wavefront_size: 32
    .workgroup_processor_mode: 1
  - .args:
      - .offset:         0
        .size:           48
        .value_kind:     by_value
    .group_segment_fixed_size: 0
    .kernarg_segment_align: 8
    .kernarg_segment_size: 48
    .language:       OpenCL C
    .language_version:
      - 2
      - 0
    .max_flat_workgroup_size: 256
    .name:           _ZN7rocprim17ROCPRIM_400000_NS6detail17trampoline_kernelINS0_14default_configENS1_32segmented_reduce_config_selectorIN3c108BFloat16EEEZNS1_21segmented_reduce_implIS3_PKS6_PS6_PKlS6_N6hipcub16HIPCUB_304000_NS6detail27convert_result_type_wrapperISA_SB_N2at6native12_GLOBAL__N_19CustomSumEEEEE10hipError_tPvRmT0_T1_jT2_SS_T4_T3_P12ihipStream_tbEUlT_E_NS1_11comp_targetILNS1_3genE10ELNS1_11target_archE1201ELNS1_3gpuE5ELNS1_3repE0EEENS1_30default_config_static_selectorELNS0_4arch9wavefront6targetE0EEEvSR_
    .private_segment_fixed_size: 0
    .sgpr_count:     0
    .sgpr_spill_count: 0
    .symbol:         _ZN7rocprim17ROCPRIM_400000_NS6detail17trampoline_kernelINS0_14default_configENS1_32segmented_reduce_config_selectorIN3c108BFloat16EEEZNS1_21segmented_reduce_implIS3_PKS6_PS6_PKlS6_N6hipcub16HIPCUB_304000_NS6detail27convert_result_type_wrapperISA_SB_N2at6native12_GLOBAL__N_19CustomSumEEEEE10hipError_tPvRmT0_T1_jT2_SS_T4_T3_P12ihipStream_tbEUlT_E_NS1_11comp_targetILNS1_3genE10ELNS1_11target_archE1201ELNS1_3gpuE5ELNS1_3repE0EEENS1_30default_config_static_selectorELNS0_4arch9wavefront6targetE0EEEvSR_.kd
    .uniform_work_group_size: 1
    .uses_dynamic_stack: false
    .vgpr_count:     0
    .vgpr_spill_count: 0
    .wavefront_size: 32
    .workgroup_processor_mode: 1
  - .args:
      - .offset:         0
        .size:           48
        .value_kind:     by_value
    .group_segment_fixed_size: 0
    .kernarg_segment_align: 8
    .kernarg_segment_size: 48
    .language:       OpenCL C
    .language_version:
      - 2
      - 0
    .max_flat_workgroup_size: 256
    .name:           _ZN7rocprim17ROCPRIM_400000_NS6detail17trampoline_kernelINS0_14default_configENS1_32segmented_reduce_config_selectorIN3c108BFloat16EEEZNS1_21segmented_reduce_implIS3_PKS6_PS6_PKlS6_N6hipcub16HIPCUB_304000_NS6detail27convert_result_type_wrapperISA_SB_N2at6native12_GLOBAL__N_19CustomSumEEEEE10hipError_tPvRmT0_T1_jT2_SS_T4_T3_P12ihipStream_tbEUlT_E_NS1_11comp_targetILNS1_3genE4ELNS1_11target_archE910ELNS1_3gpuE8ELNS1_3repE0EEENS1_30default_config_static_selectorELNS0_4arch9wavefront6targetE0EEEvSR_
    .private_segment_fixed_size: 0
    .sgpr_count:     0
    .sgpr_spill_count: 0
    .symbol:         _ZN7rocprim17ROCPRIM_400000_NS6detail17trampoline_kernelINS0_14default_configENS1_32segmented_reduce_config_selectorIN3c108BFloat16EEEZNS1_21segmented_reduce_implIS3_PKS6_PS6_PKlS6_N6hipcub16HIPCUB_304000_NS6detail27convert_result_type_wrapperISA_SB_N2at6native12_GLOBAL__N_19CustomSumEEEEE10hipError_tPvRmT0_T1_jT2_SS_T4_T3_P12ihipStream_tbEUlT_E_NS1_11comp_targetILNS1_3genE4ELNS1_11target_archE910ELNS1_3gpuE8ELNS1_3repE0EEENS1_30default_config_static_selectorELNS0_4arch9wavefront6targetE0EEEvSR_.kd
    .uniform_work_group_size: 1
    .uses_dynamic_stack: false
    .vgpr_count:     0
    .vgpr_spill_count: 0
    .wavefront_size: 32
    .workgroup_processor_mode: 1
  - .args:
      - .offset:         0
        .size:           48
        .value_kind:     by_value
    .group_segment_fixed_size: 0
    .kernarg_segment_align: 8
    .kernarg_segment_size: 48
    .language:       OpenCL C
    .language_version:
      - 2
      - 0
    .max_flat_workgroup_size: 256
    .name:           _ZN7rocprim17ROCPRIM_400000_NS6detail17trampoline_kernelINS0_14default_configENS1_32segmented_reduce_config_selectorIN3c108BFloat16EEEZNS1_21segmented_reduce_implIS3_PKS6_PS6_PKlS6_N6hipcub16HIPCUB_304000_NS6detail27convert_result_type_wrapperISA_SB_N2at6native12_GLOBAL__N_19CustomSumEEEEE10hipError_tPvRmT0_T1_jT2_SS_T4_T3_P12ihipStream_tbEUlT_E_NS1_11comp_targetILNS1_3genE3ELNS1_11target_archE908ELNS1_3gpuE7ELNS1_3repE0EEENS1_30default_config_static_selectorELNS0_4arch9wavefront6targetE0EEEvSR_
    .private_segment_fixed_size: 0
    .sgpr_count:     0
    .sgpr_spill_count: 0
    .symbol:         _ZN7rocprim17ROCPRIM_400000_NS6detail17trampoline_kernelINS0_14default_configENS1_32segmented_reduce_config_selectorIN3c108BFloat16EEEZNS1_21segmented_reduce_implIS3_PKS6_PS6_PKlS6_N6hipcub16HIPCUB_304000_NS6detail27convert_result_type_wrapperISA_SB_N2at6native12_GLOBAL__N_19CustomSumEEEEE10hipError_tPvRmT0_T1_jT2_SS_T4_T3_P12ihipStream_tbEUlT_E_NS1_11comp_targetILNS1_3genE3ELNS1_11target_archE908ELNS1_3gpuE7ELNS1_3repE0EEENS1_30default_config_static_selectorELNS0_4arch9wavefront6targetE0EEEvSR_.kd
    .uniform_work_group_size: 1
    .uses_dynamic_stack: false
    .vgpr_count:     0
    .vgpr_spill_count: 0
    .wavefront_size: 32
    .workgroup_processor_mode: 1
  - .args:
      - .offset:         0
        .size:           48
        .value_kind:     by_value
    .group_segment_fixed_size: 0
    .kernarg_segment_align: 8
    .kernarg_segment_size: 48
    .language:       OpenCL C
    .language_version:
      - 2
      - 0
    .max_flat_workgroup_size: 256
    .name:           _ZN7rocprim17ROCPRIM_400000_NS6detail17trampoline_kernelINS0_14default_configENS1_32segmented_reduce_config_selectorIN3c108BFloat16EEEZNS1_21segmented_reduce_implIS3_PKS6_PS6_PKlS6_N6hipcub16HIPCUB_304000_NS6detail27convert_result_type_wrapperISA_SB_N2at6native12_GLOBAL__N_19CustomSumEEEEE10hipError_tPvRmT0_T1_jT2_SS_T4_T3_P12ihipStream_tbEUlT_E_NS1_11comp_targetILNS1_3genE2ELNS1_11target_archE906ELNS1_3gpuE6ELNS1_3repE0EEENS1_30default_config_static_selectorELNS0_4arch9wavefront6targetE0EEEvSR_
    .private_segment_fixed_size: 0
    .sgpr_count:     0
    .sgpr_spill_count: 0
    .symbol:         _ZN7rocprim17ROCPRIM_400000_NS6detail17trampoline_kernelINS0_14default_configENS1_32segmented_reduce_config_selectorIN3c108BFloat16EEEZNS1_21segmented_reduce_implIS3_PKS6_PS6_PKlS6_N6hipcub16HIPCUB_304000_NS6detail27convert_result_type_wrapperISA_SB_N2at6native12_GLOBAL__N_19CustomSumEEEEE10hipError_tPvRmT0_T1_jT2_SS_T4_T3_P12ihipStream_tbEUlT_E_NS1_11comp_targetILNS1_3genE2ELNS1_11target_archE906ELNS1_3gpuE6ELNS1_3repE0EEENS1_30default_config_static_selectorELNS0_4arch9wavefront6targetE0EEEvSR_.kd
    .uniform_work_group_size: 1
    .uses_dynamic_stack: false
    .vgpr_count:     0
    .vgpr_spill_count: 0
    .wavefront_size: 32
    .workgroup_processor_mode: 1
  - .args:
      - .offset:         0
        .size:           48
        .value_kind:     by_value
    .group_segment_fixed_size: 0
    .kernarg_segment_align: 8
    .kernarg_segment_size: 48
    .language:       OpenCL C
    .language_version:
      - 2
      - 0
    .max_flat_workgroup_size: 256
    .name:           _ZN7rocprim17ROCPRIM_400000_NS6detail17trampoline_kernelINS0_14default_configENS1_32segmented_reduce_config_selectorIN3c108BFloat16EEEZNS1_21segmented_reduce_implIS3_PKS6_PS6_PKlS6_N6hipcub16HIPCUB_304000_NS6detail27convert_result_type_wrapperISA_SB_N2at6native12_GLOBAL__N_19CustomSumEEEEE10hipError_tPvRmT0_T1_jT2_SS_T4_T3_P12ihipStream_tbEUlT_E_NS1_11comp_targetILNS1_3genE9ELNS1_11target_archE1100ELNS1_3gpuE3ELNS1_3repE0EEENS1_30default_config_static_selectorELNS0_4arch9wavefront6targetE0EEEvSR_
    .private_segment_fixed_size: 0
    .sgpr_count:     0
    .sgpr_spill_count: 0
    .symbol:         _ZN7rocprim17ROCPRIM_400000_NS6detail17trampoline_kernelINS0_14default_configENS1_32segmented_reduce_config_selectorIN3c108BFloat16EEEZNS1_21segmented_reduce_implIS3_PKS6_PS6_PKlS6_N6hipcub16HIPCUB_304000_NS6detail27convert_result_type_wrapperISA_SB_N2at6native12_GLOBAL__N_19CustomSumEEEEE10hipError_tPvRmT0_T1_jT2_SS_T4_T3_P12ihipStream_tbEUlT_E_NS1_11comp_targetILNS1_3genE9ELNS1_11target_archE1100ELNS1_3gpuE3ELNS1_3repE0EEENS1_30default_config_static_selectorELNS0_4arch9wavefront6targetE0EEEvSR_.kd
    .uniform_work_group_size: 1
    .uses_dynamic_stack: false
    .vgpr_count:     0
    .vgpr_spill_count: 0
    .wavefront_size: 32
    .workgroup_processor_mode: 1
  - .args:
      - .offset:         0
        .size:           48
        .value_kind:     by_value
    .group_segment_fixed_size: 16
    .kernarg_segment_align: 8
    .kernarg_segment_size: 48
    .language:       OpenCL C
    .language_version:
      - 2
      - 0
    .max_flat_workgroup_size: 256
    .name:           _ZN7rocprim17ROCPRIM_400000_NS6detail17trampoline_kernelINS0_14default_configENS1_32segmented_reduce_config_selectorIN3c108BFloat16EEEZNS1_21segmented_reduce_implIS3_PKS6_PS6_PKlS6_N6hipcub16HIPCUB_304000_NS6detail27convert_result_type_wrapperISA_SB_N2at6native12_GLOBAL__N_19CustomSumEEEEE10hipError_tPvRmT0_T1_jT2_SS_T4_T3_P12ihipStream_tbEUlT_E_NS1_11comp_targetILNS1_3genE8ELNS1_11target_archE1030ELNS1_3gpuE2ELNS1_3repE0EEENS1_30default_config_static_selectorELNS0_4arch9wavefront6targetE0EEEvSR_
    .private_segment_fixed_size: 0
    .sgpr_count:     26
    .sgpr_spill_count: 0
    .symbol:         _ZN7rocprim17ROCPRIM_400000_NS6detail17trampoline_kernelINS0_14default_configENS1_32segmented_reduce_config_selectorIN3c108BFloat16EEEZNS1_21segmented_reduce_implIS3_PKS6_PS6_PKlS6_N6hipcub16HIPCUB_304000_NS6detail27convert_result_type_wrapperISA_SB_N2at6native12_GLOBAL__N_19CustomSumEEEEE10hipError_tPvRmT0_T1_jT2_SS_T4_T3_P12ihipStream_tbEUlT_E_NS1_11comp_targetILNS1_3genE8ELNS1_11target_archE1030ELNS1_3gpuE2ELNS1_3repE0EEENS1_30default_config_static_selectorELNS0_4arch9wavefront6targetE0EEEvSR_.kd
    .uniform_work_group_size: 1
    .uses_dynamic_stack: false
    .vgpr_count:     15
    .vgpr_spill_count: 0
    .wavefront_size: 32
    .workgroup_processor_mode: 1
  - .args:
      - .address_space:  global
        .offset:         0
        .size:           8
        .value_kind:     global_buffer
      - .address_space:  global
        .offset:         8
        .size:           8
        .value_kind:     global_buffer
      - .offset:         16
        .size:           8
        .value_kind:     by_value
      - .offset:         24
        .size:           1
        .value_kind:     by_value
      - .offset:         26
        .size:           2
        .value_kind:     by_value
      - .offset:         32
        .size:           4
        .value_kind:     hidden_block_count_x
      - .offset:         36
        .size:           4
        .value_kind:     hidden_block_count_y
      - .offset:         40
        .size:           4
        .value_kind:     hidden_block_count_z
      - .offset:         44
        .size:           2
        .value_kind:     hidden_group_size_x
      - .offset:         46
        .size:           2
        .value_kind:     hidden_group_size_y
      - .offset:         48
        .size:           2
        .value_kind:     hidden_group_size_z
      - .offset:         50
        .size:           2
        .value_kind:     hidden_remainder_x
      - .offset:         52
        .size:           2
        .value_kind:     hidden_remainder_y
      - .offset:         54
        .size:           2
        .value_kind:     hidden_remainder_z
      - .offset:         72
        .size:           8
        .value_kind:     hidden_global_offset_x
      - .offset:         80
        .size:           8
        .value_kind:     hidden_global_offset_y
      - .offset:         88
        .size:           8
        .value_kind:     hidden_global_offset_z
      - .offset:         96
        .size:           2
        .value_kind:     hidden_grid_dims
    .group_segment_fixed_size: 0
    .kernarg_segment_align: 8
    .kernarg_segment_size: 288
    .language:       OpenCL C
    .language_version:
      - 2
      - 0
    .max_flat_workgroup_size: 1024
    .name:           _ZN2at6native12_GLOBAL__N_119post_sum_div_kernelIN3c108BFloat16ElEEvPT_PKT0_lbS5_
    .private_segment_fixed_size: 0
    .sgpr_count:     19
    .sgpr_spill_count: 0
    .symbol:         _ZN2at6native12_GLOBAL__N_119post_sum_div_kernelIN3c108BFloat16ElEEvPT_PKT0_lbS5_.kd
    .uniform_work_group_size: 1
    .uses_dynamic_stack: false
    .vgpr_count:     14
    .vgpr_spill_count: 0
    .wavefront_size: 32
    .workgroup_processor_mode: 1
  - .args:
      - .offset:         0
        .size:           48
        .value_kind:     by_value
    .group_segment_fixed_size: 0
    .kernarg_segment_align: 8
    .kernarg_segment_size: 48
    .language:       OpenCL C
    .language_version:
      - 2
      - 0
    .max_flat_workgroup_size: 256
    .name:           _ZN7rocprim17ROCPRIM_400000_NS6detail17trampoline_kernelINS0_14default_configENS1_32segmented_reduce_config_selectorIN3c108BFloat16EEEZNS1_21segmented_reduce_implIS3_PKS6_PS6_PKlS6_N6hipcub16HIPCUB_304000_NS6detail27convert_result_type_wrapperISA_SB_N2at6native12_GLOBAL__N_19CustomMinEEEEE10hipError_tPvRmT0_T1_jT2_SS_T4_T3_P12ihipStream_tbEUlT_E_NS1_11comp_targetILNS1_3genE0ELNS1_11target_archE4294967295ELNS1_3gpuE0ELNS1_3repE0EEENS1_30default_config_static_selectorELNS0_4arch9wavefront6targetE0EEEvSR_
    .private_segment_fixed_size: 0
    .sgpr_count:     0
    .sgpr_spill_count: 0
    .symbol:         _ZN7rocprim17ROCPRIM_400000_NS6detail17trampoline_kernelINS0_14default_configENS1_32segmented_reduce_config_selectorIN3c108BFloat16EEEZNS1_21segmented_reduce_implIS3_PKS6_PS6_PKlS6_N6hipcub16HIPCUB_304000_NS6detail27convert_result_type_wrapperISA_SB_N2at6native12_GLOBAL__N_19CustomMinEEEEE10hipError_tPvRmT0_T1_jT2_SS_T4_T3_P12ihipStream_tbEUlT_E_NS1_11comp_targetILNS1_3genE0ELNS1_11target_archE4294967295ELNS1_3gpuE0ELNS1_3repE0EEENS1_30default_config_static_selectorELNS0_4arch9wavefront6targetE0EEEvSR_.kd
    .uniform_work_group_size: 1
    .uses_dynamic_stack: false
    .vgpr_count:     0
    .vgpr_spill_count: 0
    .wavefront_size: 32
    .workgroup_processor_mode: 1
  - .args:
      - .offset:         0
        .size:           48
        .value_kind:     by_value
    .group_segment_fixed_size: 0
    .kernarg_segment_align: 8
    .kernarg_segment_size: 48
    .language:       OpenCL C
    .language_version:
      - 2
      - 0
    .max_flat_workgroup_size: 256
    .name:           _ZN7rocprim17ROCPRIM_400000_NS6detail17trampoline_kernelINS0_14default_configENS1_32segmented_reduce_config_selectorIN3c108BFloat16EEEZNS1_21segmented_reduce_implIS3_PKS6_PS6_PKlS6_N6hipcub16HIPCUB_304000_NS6detail27convert_result_type_wrapperISA_SB_N2at6native12_GLOBAL__N_19CustomMinEEEEE10hipError_tPvRmT0_T1_jT2_SS_T4_T3_P12ihipStream_tbEUlT_E_NS1_11comp_targetILNS1_3genE5ELNS1_11target_archE942ELNS1_3gpuE9ELNS1_3repE0EEENS1_30default_config_static_selectorELNS0_4arch9wavefront6targetE0EEEvSR_
    .private_segment_fixed_size: 0
    .sgpr_count:     0
    .sgpr_spill_count: 0
    .symbol:         _ZN7rocprim17ROCPRIM_400000_NS6detail17trampoline_kernelINS0_14default_configENS1_32segmented_reduce_config_selectorIN3c108BFloat16EEEZNS1_21segmented_reduce_implIS3_PKS6_PS6_PKlS6_N6hipcub16HIPCUB_304000_NS6detail27convert_result_type_wrapperISA_SB_N2at6native12_GLOBAL__N_19CustomMinEEEEE10hipError_tPvRmT0_T1_jT2_SS_T4_T3_P12ihipStream_tbEUlT_E_NS1_11comp_targetILNS1_3genE5ELNS1_11target_archE942ELNS1_3gpuE9ELNS1_3repE0EEENS1_30default_config_static_selectorELNS0_4arch9wavefront6targetE0EEEvSR_.kd
    .uniform_work_group_size: 1
    .uses_dynamic_stack: false
    .vgpr_count:     0
    .vgpr_spill_count: 0
    .wavefront_size: 32
    .workgroup_processor_mode: 1
  - .args:
      - .offset:         0
        .size:           48
        .value_kind:     by_value
    .group_segment_fixed_size: 0
    .kernarg_segment_align: 8
    .kernarg_segment_size: 48
    .language:       OpenCL C
    .language_version:
      - 2
      - 0
    .max_flat_workgroup_size: 256
    .name:           _ZN7rocprim17ROCPRIM_400000_NS6detail17trampoline_kernelINS0_14default_configENS1_32segmented_reduce_config_selectorIN3c108BFloat16EEEZNS1_21segmented_reduce_implIS3_PKS6_PS6_PKlS6_N6hipcub16HIPCUB_304000_NS6detail27convert_result_type_wrapperISA_SB_N2at6native12_GLOBAL__N_19CustomMinEEEEE10hipError_tPvRmT0_T1_jT2_SS_T4_T3_P12ihipStream_tbEUlT_E_NS1_11comp_targetILNS1_3genE10ELNS1_11target_archE1201ELNS1_3gpuE5ELNS1_3repE0EEENS1_30default_config_static_selectorELNS0_4arch9wavefront6targetE0EEEvSR_
    .private_segment_fixed_size: 0
    .sgpr_count:     0
    .sgpr_spill_count: 0
    .symbol:         _ZN7rocprim17ROCPRIM_400000_NS6detail17trampoline_kernelINS0_14default_configENS1_32segmented_reduce_config_selectorIN3c108BFloat16EEEZNS1_21segmented_reduce_implIS3_PKS6_PS6_PKlS6_N6hipcub16HIPCUB_304000_NS6detail27convert_result_type_wrapperISA_SB_N2at6native12_GLOBAL__N_19CustomMinEEEEE10hipError_tPvRmT0_T1_jT2_SS_T4_T3_P12ihipStream_tbEUlT_E_NS1_11comp_targetILNS1_3genE10ELNS1_11target_archE1201ELNS1_3gpuE5ELNS1_3repE0EEENS1_30default_config_static_selectorELNS0_4arch9wavefront6targetE0EEEvSR_.kd
    .uniform_work_group_size: 1
    .uses_dynamic_stack: false
    .vgpr_count:     0
    .vgpr_spill_count: 0
    .wavefront_size: 32
    .workgroup_processor_mode: 1
  - .args:
      - .offset:         0
        .size:           48
        .value_kind:     by_value
    .group_segment_fixed_size: 0
    .kernarg_segment_align: 8
    .kernarg_segment_size: 48
    .language:       OpenCL C
    .language_version:
      - 2
      - 0
    .max_flat_workgroup_size: 256
    .name:           _ZN7rocprim17ROCPRIM_400000_NS6detail17trampoline_kernelINS0_14default_configENS1_32segmented_reduce_config_selectorIN3c108BFloat16EEEZNS1_21segmented_reduce_implIS3_PKS6_PS6_PKlS6_N6hipcub16HIPCUB_304000_NS6detail27convert_result_type_wrapperISA_SB_N2at6native12_GLOBAL__N_19CustomMinEEEEE10hipError_tPvRmT0_T1_jT2_SS_T4_T3_P12ihipStream_tbEUlT_E_NS1_11comp_targetILNS1_3genE4ELNS1_11target_archE910ELNS1_3gpuE8ELNS1_3repE0EEENS1_30default_config_static_selectorELNS0_4arch9wavefront6targetE0EEEvSR_
    .private_segment_fixed_size: 0
    .sgpr_count:     0
    .sgpr_spill_count: 0
    .symbol:         _ZN7rocprim17ROCPRIM_400000_NS6detail17trampoline_kernelINS0_14default_configENS1_32segmented_reduce_config_selectorIN3c108BFloat16EEEZNS1_21segmented_reduce_implIS3_PKS6_PS6_PKlS6_N6hipcub16HIPCUB_304000_NS6detail27convert_result_type_wrapperISA_SB_N2at6native12_GLOBAL__N_19CustomMinEEEEE10hipError_tPvRmT0_T1_jT2_SS_T4_T3_P12ihipStream_tbEUlT_E_NS1_11comp_targetILNS1_3genE4ELNS1_11target_archE910ELNS1_3gpuE8ELNS1_3repE0EEENS1_30default_config_static_selectorELNS0_4arch9wavefront6targetE0EEEvSR_.kd
    .uniform_work_group_size: 1
    .uses_dynamic_stack: false
    .vgpr_count:     0
    .vgpr_spill_count: 0
    .wavefront_size: 32
    .workgroup_processor_mode: 1
  - .args:
      - .offset:         0
        .size:           48
        .value_kind:     by_value
    .group_segment_fixed_size: 0
    .kernarg_segment_align: 8
    .kernarg_segment_size: 48
    .language:       OpenCL C
    .language_version:
      - 2
      - 0
    .max_flat_workgroup_size: 256
    .name:           _ZN7rocprim17ROCPRIM_400000_NS6detail17trampoline_kernelINS0_14default_configENS1_32segmented_reduce_config_selectorIN3c108BFloat16EEEZNS1_21segmented_reduce_implIS3_PKS6_PS6_PKlS6_N6hipcub16HIPCUB_304000_NS6detail27convert_result_type_wrapperISA_SB_N2at6native12_GLOBAL__N_19CustomMinEEEEE10hipError_tPvRmT0_T1_jT2_SS_T4_T3_P12ihipStream_tbEUlT_E_NS1_11comp_targetILNS1_3genE3ELNS1_11target_archE908ELNS1_3gpuE7ELNS1_3repE0EEENS1_30default_config_static_selectorELNS0_4arch9wavefront6targetE0EEEvSR_
    .private_segment_fixed_size: 0
    .sgpr_count:     0
    .sgpr_spill_count: 0
    .symbol:         _ZN7rocprim17ROCPRIM_400000_NS6detail17trampoline_kernelINS0_14default_configENS1_32segmented_reduce_config_selectorIN3c108BFloat16EEEZNS1_21segmented_reduce_implIS3_PKS6_PS6_PKlS6_N6hipcub16HIPCUB_304000_NS6detail27convert_result_type_wrapperISA_SB_N2at6native12_GLOBAL__N_19CustomMinEEEEE10hipError_tPvRmT0_T1_jT2_SS_T4_T3_P12ihipStream_tbEUlT_E_NS1_11comp_targetILNS1_3genE3ELNS1_11target_archE908ELNS1_3gpuE7ELNS1_3repE0EEENS1_30default_config_static_selectorELNS0_4arch9wavefront6targetE0EEEvSR_.kd
    .uniform_work_group_size: 1
    .uses_dynamic_stack: false
    .vgpr_count:     0
    .vgpr_spill_count: 0
    .wavefront_size: 32
    .workgroup_processor_mode: 1
  - .args:
      - .offset:         0
        .size:           48
        .value_kind:     by_value
    .group_segment_fixed_size: 0
    .kernarg_segment_align: 8
    .kernarg_segment_size: 48
    .language:       OpenCL C
    .language_version:
      - 2
      - 0
    .max_flat_workgroup_size: 256
    .name:           _ZN7rocprim17ROCPRIM_400000_NS6detail17trampoline_kernelINS0_14default_configENS1_32segmented_reduce_config_selectorIN3c108BFloat16EEEZNS1_21segmented_reduce_implIS3_PKS6_PS6_PKlS6_N6hipcub16HIPCUB_304000_NS6detail27convert_result_type_wrapperISA_SB_N2at6native12_GLOBAL__N_19CustomMinEEEEE10hipError_tPvRmT0_T1_jT2_SS_T4_T3_P12ihipStream_tbEUlT_E_NS1_11comp_targetILNS1_3genE2ELNS1_11target_archE906ELNS1_3gpuE6ELNS1_3repE0EEENS1_30default_config_static_selectorELNS0_4arch9wavefront6targetE0EEEvSR_
    .private_segment_fixed_size: 0
    .sgpr_count:     0
    .sgpr_spill_count: 0
    .symbol:         _ZN7rocprim17ROCPRIM_400000_NS6detail17trampoline_kernelINS0_14default_configENS1_32segmented_reduce_config_selectorIN3c108BFloat16EEEZNS1_21segmented_reduce_implIS3_PKS6_PS6_PKlS6_N6hipcub16HIPCUB_304000_NS6detail27convert_result_type_wrapperISA_SB_N2at6native12_GLOBAL__N_19CustomMinEEEEE10hipError_tPvRmT0_T1_jT2_SS_T4_T3_P12ihipStream_tbEUlT_E_NS1_11comp_targetILNS1_3genE2ELNS1_11target_archE906ELNS1_3gpuE6ELNS1_3repE0EEENS1_30default_config_static_selectorELNS0_4arch9wavefront6targetE0EEEvSR_.kd
    .uniform_work_group_size: 1
    .uses_dynamic_stack: false
    .vgpr_count:     0
    .vgpr_spill_count: 0
    .wavefront_size: 32
    .workgroup_processor_mode: 1
  - .args:
      - .offset:         0
        .size:           48
        .value_kind:     by_value
    .group_segment_fixed_size: 0
    .kernarg_segment_align: 8
    .kernarg_segment_size: 48
    .language:       OpenCL C
    .language_version:
      - 2
      - 0
    .max_flat_workgroup_size: 256
    .name:           _ZN7rocprim17ROCPRIM_400000_NS6detail17trampoline_kernelINS0_14default_configENS1_32segmented_reduce_config_selectorIN3c108BFloat16EEEZNS1_21segmented_reduce_implIS3_PKS6_PS6_PKlS6_N6hipcub16HIPCUB_304000_NS6detail27convert_result_type_wrapperISA_SB_N2at6native12_GLOBAL__N_19CustomMinEEEEE10hipError_tPvRmT0_T1_jT2_SS_T4_T3_P12ihipStream_tbEUlT_E_NS1_11comp_targetILNS1_3genE9ELNS1_11target_archE1100ELNS1_3gpuE3ELNS1_3repE0EEENS1_30default_config_static_selectorELNS0_4arch9wavefront6targetE0EEEvSR_
    .private_segment_fixed_size: 0
    .sgpr_count:     0
    .sgpr_spill_count: 0
    .symbol:         _ZN7rocprim17ROCPRIM_400000_NS6detail17trampoline_kernelINS0_14default_configENS1_32segmented_reduce_config_selectorIN3c108BFloat16EEEZNS1_21segmented_reduce_implIS3_PKS6_PS6_PKlS6_N6hipcub16HIPCUB_304000_NS6detail27convert_result_type_wrapperISA_SB_N2at6native12_GLOBAL__N_19CustomMinEEEEE10hipError_tPvRmT0_T1_jT2_SS_T4_T3_P12ihipStream_tbEUlT_E_NS1_11comp_targetILNS1_3genE9ELNS1_11target_archE1100ELNS1_3gpuE3ELNS1_3repE0EEENS1_30default_config_static_selectorELNS0_4arch9wavefront6targetE0EEEvSR_.kd
    .uniform_work_group_size: 1
    .uses_dynamic_stack: false
    .vgpr_count:     0
    .vgpr_spill_count: 0
    .wavefront_size: 32
    .workgroup_processor_mode: 1
  - .args:
      - .offset:         0
        .size:           48
        .value_kind:     by_value
    .group_segment_fixed_size: 16
    .kernarg_segment_align: 8
    .kernarg_segment_size: 48
    .language:       OpenCL C
    .language_version:
      - 2
      - 0
    .max_flat_workgroup_size: 256
    .name:           _ZN7rocprim17ROCPRIM_400000_NS6detail17trampoline_kernelINS0_14default_configENS1_32segmented_reduce_config_selectorIN3c108BFloat16EEEZNS1_21segmented_reduce_implIS3_PKS6_PS6_PKlS6_N6hipcub16HIPCUB_304000_NS6detail27convert_result_type_wrapperISA_SB_N2at6native12_GLOBAL__N_19CustomMinEEEEE10hipError_tPvRmT0_T1_jT2_SS_T4_T3_P12ihipStream_tbEUlT_E_NS1_11comp_targetILNS1_3genE8ELNS1_11target_archE1030ELNS1_3gpuE2ELNS1_3repE0EEENS1_30default_config_static_selectorELNS0_4arch9wavefront6targetE0EEEvSR_
    .private_segment_fixed_size: 0
    .sgpr_count:     27
    .sgpr_spill_count: 0
    .symbol:         _ZN7rocprim17ROCPRIM_400000_NS6detail17trampoline_kernelINS0_14default_configENS1_32segmented_reduce_config_selectorIN3c108BFloat16EEEZNS1_21segmented_reduce_implIS3_PKS6_PS6_PKlS6_N6hipcub16HIPCUB_304000_NS6detail27convert_result_type_wrapperISA_SB_N2at6native12_GLOBAL__N_19CustomMinEEEEE10hipError_tPvRmT0_T1_jT2_SS_T4_T3_P12ihipStream_tbEUlT_E_NS1_11comp_targetILNS1_3genE8ELNS1_11target_archE1030ELNS1_3gpuE2ELNS1_3repE0EEENS1_30default_config_static_selectorELNS0_4arch9wavefront6targetE0EEEvSR_.kd
    .uniform_work_group_size: 1
    .uses_dynamic_stack: false
    .vgpr_count:     16
    .vgpr_spill_count: 0
    .wavefront_size: 32
    .workgroup_processor_mode: 1
  - .args:
      - .offset:         0
        .size:           48
        .value_kind:     by_value
    .group_segment_fixed_size: 0
    .kernarg_segment_align: 8
    .kernarg_segment_size: 48
    .language:       OpenCL C
    .language_version:
      - 2
      - 0
    .max_flat_workgroup_size: 256
    .name:           _ZN7rocprim17ROCPRIM_400000_NS6detail17trampoline_kernelINS0_14default_configENS1_32segmented_reduce_config_selectorIN3c108BFloat16EEEZNS1_21segmented_reduce_implIS3_PKS6_PS6_PKlS6_N6hipcub16HIPCUB_304000_NS6detail27convert_result_type_wrapperISA_SB_N2at6native12_GLOBAL__N_110CustomProdEEEEE10hipError_tPvRmT0_T1_jT2_SS_T4_T3_P12ihipStream_tbEUlT_E_NS1_11comp_targetILNS1_3genE0ELNS1_11target_archE4294967295ELNS1_3gpuE0ELNS1_3repE0EEENS1_30default_config_static_selectorELNS0_4arch9wavefront6targetE0EEEvSR_
    .private_segment_fixed_size: 0
    .sgpr_count:     0
    .sgpr_spill_count: 0
    .symbol:         _ZN7rocprim17ROCPRIM_400000_NS6detail17trampoline_kernelINS0_14default_configENS1_32segmented_reduce_config_selectorIN3c108BFloat16EEEZNS1_21segmented_reduce_implIS3_PKS6_PS6_PKlS6_N6hipcub16HIPCUB_304000_NS6detail27convert_result_type_wrapperISA_SB_N2at6native12_GLOBAL__N_110CustomProdEEEEE10hipError_tPvRmT0_T1_jT2_SS_T4_T3_P12ihipStream_tbEUlT_E_NS1_11comp_targetILNS1_3genE0ELNS1_11target_archE4294967295ELNS1_3gpuE0ELNS1_3repE0EEENS1_30default_config_static_selectorELNS0_4arch9wavefront6targetE0EEEvSR_.kd
    .uniform_work_group_size: 1
    .uses_dynamic_stack: false
    .vgpr_count:     0
    .vgpr_spill_count: 0
    .wavefront_size: 32
    .workgroup_processor_mode: 1
  - .args:
      - .offset:         0
        .size:           48
        .value_kind:     by_value
    .group_segment_fixed_size: 0
    .kernarg_segment_align: 8
    .kernarg_segment_size: 48
    .language:       OpenCL C
    .language_version:
      - 2
      - 0
    .max_flat_workgroup_size: 256
    .name:           _ZN7rocprim17ROCPRIM_400000_NS6detail17trampoline_kernelINS0_14default_configENS1_32segmented_reduce_config_selectorIN3c108BFloat16EEEZNS1_21segmented_reduce_implIS3_PKS6_PS6_PKlS6_N6hipcub16HIPCUB_304000_NS6detail27convert_result_type_wrapperISA_SB_N2at6native12_GLOBAL__N_110CustomProdEEEEE10hipError_tPvRmT0_T1_jT2_SS_T4_T3_P12ihipStream_tbEUlT_E_NS1_11comp_targetILNS1_3genE5ELNS1_11target_archE942ELNS1_3gpuE9ELNS1_3repE0EEENS1_30default_config_static_selectorELNS0_4arch9wavefront6targetE0EEEvSR_
    .private_segment_fixed_size: 0
    .sgpr_count:     0
    .sgpr_spill_count: 0
    .symbol:         _ZN7rocprim17ROCPRIM_400000_NS6detail17trampoline_kernelINS0_14default_configENS1_32segmented_reduce_config_selectorIN3c108BFloat16EEEZNS1_21segmented_reduce_implIS3_PKS6_PS6_PKlS6_N6hipcub16HIPCUB_304000_NS6detail27convert_result_type_wrapperISA_SB_N2at6native12_GLOBAL__N_110CustomProdEEEEE10hipError_tPvRmT0_T1_jT2_SS_T4_T3_P12ihipStream_tbEUlT_E_NS1_11comp_targetILNS1_3genE5ELNS1_11target_archE942ELNS1_3gpuE9ELNS1_3repE0EEENS1_30default_config_static_selectorELNS0_4arch9wavefront6targetE0EEEvSR_.kd
    .uniform_work_group_size: 1
    .uses_dynamic_stack: false
    .vgpr_count:     0
    .vgpr_spill_count: 0
    .wavefront_size: 32
    .workgroup_processor_mode: 1
  - .args:
      - .offset:         0
        .size:           48
        .value_kind:     by_value
    .group_segment_fixed_size: 0
    .kernarg_segment_align: 8
    .kernarg_segment_size: 48
    .language:       OpenCL C
    .language_version:
      - 2
      - 0
    .max_flat_workgroup_size: 256
    .name:           _ZN7rocprim17ROCPRIM_400000_NS6detail17trampoline_kernelINS0_14default_configENS1_32segmented_reduce_config_selectorIN3c108BFloat16EEEZNS1_21segmented_reduce_implIS3_PKS6_PS6_PKlS6_N6hipcub16HIPCUB_304000_NS6detail27convert_result_type_wrapperISA_SB_N2at6native12_GLOBAL__N_110CustomProdEEEEE10hipError_tPvRmT0_T1_jT2_SS_T4_T3_P12ihipStream_tbEUlT_E_NS1_11comp_targetILNS1_3genE10ELNS1_11target_archE1201ELNS1_3gpuE5ELNS1_3repE0EEENS1_30default_config_static_selectorELNS0_4arch9wavefront6targetE0EEEvSR_
    .private_segment_fixed_size: 0
    .sgpr_count:     0
    .sgpr_spill_count: 0
    .symbol:         _ZN7rocprim17ROCPRIM_400000_NS6detail17trampoline_kernelINS0_14default_configENS1_32segmented_reduce_config_selectorIN3c108BFloat16EEEZNS1_21segmented_reduce_implIS3_PKS6_PS6_PKlS6_N6hipcub16HIPCUB_304000_NS6detail27convert_result_type_wrapperISA_SB_N2at6native12_GLOBAL__N_110CustomProdEEEEE10hipError_tPvRmT0_T1_jT2_SS_T4_T3_P12ihipStream_tbEUlT_E_NS1_11comp_targetILNS1_3genE10ELNS1_11target_archE1201ELNS1_3gpuE5ELNS1_3repE0EEENS1_30default_config_static_selectorELNS0_4arch9wavefront6targetE0EEEvSR_.kd
    .uniform_work_group_size: 1
    .uses_dynamic_stack: false
    .vgpr_count:     0
    .vgpr_spill_count: 0
    .wavefront_size: 32
    .workgroup_processor_mode: 1
  - .args:
      - .offset:         0
        .size:           48
        .value_kind:     by_value
    .group_segment_fixed_size: 0
    .kernarg_segment_align: 8
    .kernarg_segment_size: 48
    .language:       OpenCL C
    .language_version:
      - 2
      - 0
    .max_flat_workgroup_size: 256
    .name:           _ZN7rocprim17ROCPRIM_400000_NS6detail17trampoline_kernelINS0_14default_configENS1_32segmented_reduce_config_selectorIN3c108BFloat16EEEZNS1_21segmented_reduce_implIS3_PKS6_PS6_PKlS6_N6hipcub16HIPCUB_304000_NS6detail27convert_result_type_wrapperISA_SB_N2at6native12_GLOBAL__N_110CustomProdEEEEE10hipError_tPvRmT0_T1_jT2_SS_T4_T3_P12ihipStream_tbEUlT_E_NS1_11comp_targetILNS1_3genE4ELNS1_11target_archE910ELNS1_3gpuE8ELNS1_3repE0EEENS1_30default_config_static_selectorELNS0_4arch9wavefront6targetE0EEEvSR_
    .private_segment_fixed_size: 0
    .sgpr_count:     0
    .sgpr_spill_count: 0
    .symbol:         _ZN7rocprim17ROCPRIM_400000_NS6detail17trampoline_kernelINS0_14default_configENS1_32segmented_reduce_config_selectorIN3c108BFloat16EEEZNS1_21segmented_reduce_implIS3_PKS6_PS6_PKlS6_N6hipcub16HIPCUB_304000_NS6detail27convert_result_type_wrapperISA_SB_N2at6native12_GLOBAL__N_110CustomProdEEEEE10hipError_tPvRmT0_T1_jT2_SS_T4_T3_P12ihipStream_tbEUlT_E_NS1_11comp_targetILNS1_3genE4ELNS1_11target_archE910ELNS1_3gpuE8ELNS1_3repE0EEENS1_30default_config_static_selectorELNS0_4arch9wavefront6targetE0EEEvSR_.kd
    .uniform_work_group_size: 1
    .uses_dynamic_stack: false
    .vgpr_count:     0
    .vgpr_spill_count: 0
    .wavefront_size: 32
    .workgroup_processor_mode: 1
  - .args:
      - .offset:         0
        .size:           48
        .value_kind:     by_value
    .group_segment_fixed_size: 0
    .kernarg_segment_align: 8
    .kernarg_segment_size: 48
    .language:       OpenCL C
    .language_version:
      - 2
      - 0
    .max_flat_workgroup_size: 256
    .name:           _ZN7rocprim17ROCPRIM_400000_NS6detail17trampoline_kernelINS0_14default_configENS1_32segmented_reduce_config_selectorIN3c108BFloat16EEEZNS1_21segmented_reduce_implIS3_PKS6_PS6_PKlS6_N6hipcub16HIPCUB_304000_NS6detail27convert_result_type_wrapperISA_SB_N2at6native12_GLOBAL__N_110CustomProdEEEEE10hipError_tPvRmT0_T1_jT2_SS_T4_T3_P12ihipStream_tbEUlT_E_NS1_11comp_targetILNS1_3genE3ELNS1_11target_archE908ELNS1_3gpuE7ELNS1_3repE0EEENS1_30default_config_static_selectorELNS0_4arch9wavefront6targetE0EEEvSR_
    .private_segment_fixed_size: 0
    .sgpr_count:     0
    .sgpr_spill_count: 0
    .symbol:         _ZN7rocprim17ROCPRIM_400000_NS6detail17trampoline_kernelINS0_14default_configENS1_32segmented_reduce_config_selectorIN3c108BFloat16EEEZNS1_21segmented_reduce_implIS3_PKS6_PS6_PKlS6_N6hipcub16HIPCUB_304000_NS6detail27convert_result_type_wrapperISA_SB_N2at6native12_GLOBAL__N_110CustomProdEEEEE10hipError_tPvRmT0_T1_jT2_SS_T4_T3_P12ihipStream_tbEUlT_E_NS1_11comp_targetILNS1_3genE3ELNS1_11target_archE908ELNS1_3gpuE7ELNS1_3repE0EEENS1_30default_config_static_selectorELNS0_4arch9wavefront6targetE0EEEvSR_.kd
    .uniform_work_group_size: 1
    .uses_dynamic_stack: false
    .vgpr_count:     0
    .vgpr_spill_count: 0
    .wavefront_size: 32
    .workgroup_processor_mode: 1
  - .args:
      - .offset:         0
        .size:           48
        .value_kind:     by_value
    .group_segment_fixed_size: 0
    .kernarg_segment_align: 8
    .kernarg_segment_size: 48
    .language:       OpenCL C
    .language_version:
      - 2
      - 0
    .max_flat_workgroup_size: 256
    .name:           _ZN7rocprim17ROCPRIM_400000_NS6detail17trampoline_kernelINS0_14default_configENS1_32segmented_reduce_config_selectorIN3c108BFloat16EEEZNS1_21segmented_reduce_implIS3_PKS6_PS6_PKlS6_N6hipcub16HIPCUB_304000_NS6detail27convert_result_type_wrapperISA_SB_N2at6native12_GLOBAL__N_110CustomProdEEEEE10hipError_tPvRmT0_T1_jT2_SS_T4_T3_P12ihipStream_tbEUlT_E_NS1_11comp_targetILNS1_3genE2ELNS1_11target_archE906ELNS1_3gpuE6ELNS1_3repE0EEENS1_30default_config_static_selectorELNS0_4arch9wavefront6targetE0EEEvSR_
    .private_segment_fixed_size: 0
    .sgpr_count:     0
    .sgpr_spill_count: 0
    .symbol:         _ZN7rocprim17ROCPRIM_400000_NS6detail17trampoline_kernelINS0_14default_configENS1_32segmented_reduce_config_selectorIN3c108BFloat16EEEZNS1_21segmented_reduce_implIS3_PKS6_PS6_PKlS6_N6hipcub16HIPCUB_304000_NS6detail27convert_result_type_wrapperISA_SB_N2at6native12_GLOBAL__N_110CustomProdEEEEE10hipError_tPvRmT0_T1_jT2_SS_T4_T3_P12ihipStream_tbEUlT_E_NS1_11comp_targetILNS1_3genE2ELNS1_11target_archE906ELNS1_3gpuE6ELNS1_3repE0EEENS1_30default_config_static_selectorELNS0_4arch9wavefront6targetE0EEEvSR_.kd
    .uniform_work_group_size: 1
    .uses_dynamic_stack: false
    .vgpr_count:     0
    .vgpr_spill_count: 0
    .wavefront_size: 32
    .workgroup_processor_mode: 1
  - .args:
      - .offset:         0
        .size:           48
        .value_kind:     by_value
    .group_segment_fixed_size: 0
    .kernarg_segment_align: 8
    .kernarg_segment_size: 48
    .language:       OpenCL C
    .language_version:
      - 2
      - 0
    .max_flat_workgroup_size: 256
    .name:           _ZN7rocprim17ROCPRIM_400000_NS6detail17trampoline_kernelINS0_14default_configENS1_32segmented_reduce_config_selectorIN3c108BFloat16EEEZNS1_21segmented_reduce_implIS3_PKS6_PS6_PKlS6_N6hipcub16HIPCUB_304000_NS6detail27convert_result_type_wrapperISA_SB_N2at6native12_GLOBAL__N_110CustomProdEEEEE10hipError_tPvRmT0_T1_jT2_SS_T4_T3_P12ihipStream_tbEUlT_E_NS1_11comp_targetILNS1_3genE9ELNS1_11target_archE1100ELNS1_3gpuE3ELNS1_3repE0EEENS1_30default_config_static_selectorELNS0_4arch9wavefront6targetE0EEEvSR_
    .private_segment_fixed_size: 0
    .sgpr_count:     0
    .sgpr_spill_count: 0
    .symbol:         _ZN7rocprim17ROCPRIM_400000_NS6detail17trampoline_kernelINS0_14default_configENS1_32segmented_reduce_config_selectorIN3c108BFloat16EEEZNS1_21segmented_reduce_implIS3_PKS6_PS6_PKlS6_N6hipcub16HIPCUB_304000_NS6detail27convert_result_type_wrapperISA_SB_N2at6native12_GLOBAL__N_110CustomProdEEEEE10hipError_tPvRmT0_T1_jT2_SS_T4_T3_P12ihipStream_tbEUlT_E_NS1_11comp_targetILNS1_3genE9ELNS1_11target_archE1100ELNS1_3gpuE3ELNS1_3repE0EEENS1_30default_config_static_selectorELNS0_4arch9wavefront6targetE0EEEvSR_.kd
    .uniform_work_group_size: 1
    .uses_dynamic_stack: false
    .vgpr_count:     0
    .vgpr_spill_count: 0
    .wavefront_size: 32
    .workgroup_processor_mode: 1
  - .args:
      - .offset:         0
        .size:           48
        .value_kind:     by_value
    .group_segment_fixed_size: 16
    .kernarg_segment_align: 8
    .kernarg_segment_size: 48
    .language:       OpenCL C
    .language_version:
      - 2
      - 0
    .max_flat_workgroup_size: 256
    .name:           _ZN7rocprim17ROCPRIM_400000_NS6detail17trampoline_kernelINS0_14default_configENS1_32segmented_reduce_config_selectorIN3c108BFloat16EEEZNS1_21segmented_reduce_implIS3_PKS6_PS6_PKlS6_N6hipcub16HIPCUB_304000_NS6detail27convert_result_type_wrapperISA_SB_N2at6native12_GLOBAL__N_110CustomProdEEEEE10hipError_tPvRmT0_T1_jT2_SS_T4_T3_P12ihipStream_tbEUlT_E_NS1_11comp_targetILNS1_3genE8ELNS1_11target_archE1030ELNS1_3gpuE2ELNS1_3repE0EEENS1_30default_config_static_selectorELNS0_4arch9wavefront6targetE0EEEvSR_
    .private_segment_fixed_size: 0
    .sgpr_count:     26
    .sgpr_spill_count: 0
    .symbol:         _ZN7rocprim17ROCPRIM_400000_NS6detail17trampoline_kernelINS0_14default_configENS1_32segmented_reduce_config_selectorIN3c108BFloat16EEEZNS1_21segmented_reduce_implIS3_PKS6_PS6_PKlS6_N6hipcub16HIPCUB_304000_NS6detail27convert_result_type_wrapperISA_SB_N2at6native12_GLOBAL__N_110CustomProdEEEEE10hipError_tPvRmT0_T1_jT2_SS_T4_T3_P12ihipStream_tbEUlT_E_NS1_11comp_targetILNS1_3genE8ELNS1_11target_archE1030ELNS1_3gpuE2ELNS1_3repE0EEENS1_30default_config_static_selectorELNS0_4arch9wavefront6targetE0EEEvSR_.kd
    .uniform_work_group_size: 1
    .uses_dynamic_stack: false
    .vgpr_count:     15
    .vgpr_spill_count: 0
    .wavefront_size: 32
    .workgroup_processor_mode: 1
amdhsa.target:   amdgcn-amd-amdhsa--gfx1030
amdhsa.version:
  - 1
  - 2
...

	.end_amdgpu_metadata
